;; amdgpu-corpus repo=ROCm/rocSPARSE kind=compiled arch=gfx1030 opt=O3
	.amdgcn_target "amdgcn-amd-amdhsa--gfx1030"
	.amdhsa_code_object_version 6
	.section	.text._ZN9rocsparseL18bsrxmvn_4x4_kernelILj128ELj4EfiifffEEvT3_20rocsparse_direction_NS_24const_host_device_scalarIT1_EES1_PKS1_PKT2_SA_S7_PKT4_PKT5_S5_PT6_21rocsparse_index_base_b,"axG",@progbits,_ZN9rocsparseL18bsrxmvn_4x4_kernelILj128ELj4EfiifffEEvT3_20rocsparse_direction_NS_24const_host_device_scalarIT1_EES1_PKS1_PKT2_SA_S7_PKT4_PKT5_S5_PT6_21rocsparse_index_base_b,comdat
	.globl	_ZN9rocsparseL18bsrxmvn_4x4_kernelILj128ELj4EfiifffEEvT3_20rocsparse_direction_NS_24const_host_device_scalarIT1_EES1_PKS1_PKT2_SA_S7_PKT4_PKT5_S5_PT6_21rocsparse_index_base_b ; -- Begin function _ZN9rocsparseL18bsrxmvn_4x4_kernelILj128ELj4EfiifffEEvT3_20rocsparse_direction_NS_24const_host_device_scalarIT1_EES1_PKS1_PKT2_SA_S7_PKT4_PKT5_S5_PT6_21rocsparse_index_base_b
	.p2align	8
	.type	_ZN9rocsparseL18bsrxmvn_4x4_kernelILj128ELj4EfiifffEEvT3_20rocsparse_direction_NS_24const_host_device_scalarIT1_EES1_PKS1_PKT2_SA_S7_PKT4_PKT5_S5_PT6_21rocsparse_index_base_b,@function
_ZN9rocsparseL18bsrxmvn_4x4_kernelILj128ELj4EfiifffEEvT3_20rocsparse_direction_NS_24const_host_device_scalarIT1_EES1_PKS1_PKT2_SA_S7_PKT4_PKT5_S5_PT6_21rocsparse_index_base_b: ; @_ZN9rocsparseL18bsrxmvn_4x4_kernelILj128ELj4EfiifffEEvT3_20rocsparse_direction_NS_24const_host_device_scalarIT1_EES1_PKS1_PKT2_SA_S7_PKT4_PKT5_S5_PT6_21rocsparse_index_base_b
; %bb.0:
	s_clause 0x2
	s_load_dwordx2 s[18:19], s[4:5], 0x58
	s_load_dwordx2 s[16:17], s[4:5], 0x8
	;; [unrolled: 1-line block ×3, first 2 shown]
	s_waitcnt lgkmcnt(0)
	s_bitcmp1_b32 s19, 0
	s_cselect_b32 s0, -1, 0
	s_and_b32 vcc_lo, exec_lo, s0
	s_xor_b32 s0, s0, -1
	s_cbranch_vccnz .LBB0_2
; %bb.1:
	s_load_dword s16, s[16:17], 0x0
.LBB0_2:
	s_andn2_b32 vcc_lo, exec_lo, s0
	s_cbranch_vccnz .LBB0_4
; %bb.3:
	s_load_dword s2, s[2:3], 0x0
.LBB0_4:
	s_waitcnt lgkmcnt(0)
	v_cmp_neq_f32_e64 s0, s16, 0
	v_cmp_neq_f32_e64 s1, s2, 1.0
	s_mov_b32 s3, 0
	s_or_b32 s0, s0, s1
	s_andn2_b32 vcc_lo, exec_lo, s0
	s_cbranch_vccnz .LBB0_10
; %bb.5:
	s_clause 0x1
	s_load_dwordx2 s[8:9], s[4:5], 0x18
	s_load_dwordx2 s[0:1], s[4:5], 0x0
	v_lshrrev_b32_e32 v1, 2, v0
	v_lshl_or_b32 v4, s6, 5, v1
	s_waitcnt lgkmcnt(0)
	s_cmp_lg_u64 s[8:9], 0
	s_cbranch_scc0 .LBB0_11
; %bb.6:
	s_load_dword s3, s[4:5], 0x10
	s_mov_b32 s6, 0
                                        ; implicit-def: $vgpr1
	s_waitcnt lgkmcnt(0)
	v_cmp_gt_i32_e32 vcc_lo, s3, v4
	s_mov_b32 s3, 0
	s_and_saveexec_b32 s7, vcc_lo
	s_xor_b32 s7, exec_lo, s7
	s_cbranch_execz .LBB0_8
; %bb.7:
	v_ashrrev_i32_e32 v5, 31, v4
	s_mov_b32 s3, exec_lo
	v_lshlrev_b64 v[1:2], 2, v[4:5]
	v_add_co_u32 v1, vcc_lo, s8, v1
	v_add_co_ci_u32_e64 v2, null, s9, v2, vcc_lo
	global_load_dword v1, v[1:2], off
	s_waitcnt vmcnt(0)
	v_subrev_nc_u32_e32 v1, s18, v1
.LBB0_8:
	s_or_b32 exec_lo, exec_lo, s7
	s_and_b32 vcc_lo, exec_lo, s6
	s_cbranch_vccz .LBB0_12
.LBB0_9:
	v_cmp_gt_i32_e32 vcc_lo, s0, v4
	s_andn2_b32 s0, s3, exec_lo
	s_and_b32 s3, vcc_lo, exec_lo
	s_or_b32 s3, s0, s3
	s_and_saveexec_b32 s0, s3
	s_cbranch_execnz .LBB0_13
.LBB0_10:
	s_endpgm
.LBB0_11:
                                        ; implicit-def: $vgpr1
	s_cbranch_execnz .LBB0_9
.LBB0_12:
	v_mov_b32_e32 v4, v1
	s_and_saveexec_b32 s0, s3
	s_cbranch_execz .LBB0_10
.LBB0_13:
	s_load_dwordx8 s[8:15], s[4:5], 0x20
	v_ashrrev_i32_e32 v5, 31, v4
	v_and_b32_e32 v9, 3, v0
	s_load_dwordx2 s[6:7], s[4:5], 0x40
	v_lshlrev_b64 v[1:2], 2, v[4:5]
	s_waitcnt lgkmcnt(0)
	v_add_co_u32 v5, vcc_lo, s8, v1
	v_add_co_ci_u32_e64 v6, null, s9, v2, vcc_lo
	v_add_co_u32 v1, vcc_lo, s10, v1
	v_add_co_ci_u32_e64 v2, null, s11, v2, vcc_lo
	global_load_dword v15, v[5:6], off
	v_add_co_u32 v3, vcc_lo, v5, 4
	v_add_co_ci_u32_e64 v5, null, 0, v6, vcc_lo
	s_cmp_eq_u64 s[10:11], 0
	s_cselect_b32 vcc_lo, -1, 0
	s_cmp_eq_u32 s1, 1
	v_cndmask_b32_e32 v2, v2, v5, vcc_lo
	v_cndmask_b32_e32 v1, v1, v3, vcc_lo
	global_load_dword v5, v[1:2], off
	s_waitcnt vmcnt(1)
	v_subrev_nc_u32_e32 v0, s18, v15
	v_add_nc_u32_e32 v0, v0, v9
	v_ashrrev_i32_e32 v1, 31, v0
	s_waitcnt vmcnt(0)
	v_subrev_nc_u32_e32 v10, s18, v5
	v_lshlrev_b64 v[2:3], 6, v[0:1]
	v_cmp_lt_i32_e64 s0, v0, v10
	v_add_co_u32 v2, vcc_lo, s14, v2
	v_add_co_ci_u32_e64 v3, null, s15, v3, vcc_lo
	s_cbranch_scc1 .LBB0_25
; %bb.14:
	v_mov_b32_e32 v11, 0
	v_mov_b32_e32 v13, 0
	;; [unrolled: 1-line block ×4, first 2 shown]
	s_and_saveexec_b32 s1, s0
	s_cbranch_execz .LBB0_24
; %bb.15:
	v_add_nc_u32_e32 v1, v15, v9
	v_not_b32_e32 v5, v15
	v_mov_b32_e32 v8, v3
	v_mov_b32_e32 v12, 0
	;; [unrolled: 1-line block ×3, first 2 shown]
	v_subrev_nc_u32_e32 v1, s18, v1
	v_mov_b32_e32 v13, 0
	v_mov_b32_e32 v11, 0
	;; [unrolled: 1-line block ×3, first 2 shown]
	s_mov_b32 s3, exec_lo
	v_add_nc_u32_e32 v1, 4, v1
	v_max_i32_e32 v1, v1, v10
	v_add3_u32 v1, s18, v1, v5
	v_mov_b32_e32 v5, v0
	v_sub_nc_u32_e32 v1, v1, v9
	v_and_b32_e32 v6, 12, v1
	v_cmpx_ne_u32_e32 12, v6
	s_cbranch_execz .LBB0_19
; %bb.16:
	v_lshrrev_b32_e32 v5, 2, v1
	v_mov_b32_e32 v8, v3
	v_mov_b32_e32 v11, 0
	;; [unrolled: 1-line block ×4, first 2 shown]
	v_add_nc_u32_e32 v5, 1, v5
	v_mov_b32_e32 v14, 0
	v_mov_b32_e32 v12, 0
	s_mov_b32 s8, 0
	v_and_b32_e32 v6, 3, v5
	v_mov_b32_e32 v5, v0
	v_sub_nc_u32_e32 v16, 0, v6
.LBB0_17:                               ; =>This Inner Loop Header: Depth=1
	v_ashrrev_i32_e32 v6, 31, v5
	v_add_co_u32 v16, s9, v16, 1
	s_or_b32 s8, s9, s8
	v_lshlrev_b64 v[17:18], 2, v[5:6]
	v_add_nc_u32_e32 v5, 4, v5
	v_add_co_u32 v17, vcc_lo, s12, v17
	v_add_co_ci_u32_e64 v18, null, s13, v18, vcc_lo
	global_load_dword v6, v[17:18], off
	s_clause 0x3
	global_load_dwordx4 v[17:20], v[7:8], off offset:48
	global_load_dwordx4 v[21:24], v[7:8], off offset:32
	;; [unrolled: 1-line block ×3, first 2 shown]
	global_load_dwordx4 v[29:32], v[7:8], off
	s_waitcnt vmcnt(4)
	v_subrev_nc_u32_e32 v6, s18, v6
	v_lshlrev_b32_e32 v33, 2, v6
	v_ashrrev_i32_e32 v34, 31, v33
	v_lshlrev_b64 v[33:34], 2, v[33:34]
	v_add_co_u32 v33, vcc_lo, s6, v33
	v_add_co_ci_u32_e64 v34, null, s7, v34, vcc_lo
	v_add_co_u32 v7, vcc_lo, 0x100, v7
	v_add_co_ci_u32_e64 v8, null, 0, v8, vcc_lo
	global_load_dwordx4 v[33:36], v[33:34], off
	s_waitcnt vmcnt(0)
	v_fmac_f32_e32 v12, v29, v33
	v_fmac_f32_e32 v14, v25, v33
	;; [unrolled: 1-line block ×16, first 2 shown]
	s_andn2_b32 exec_lo, exec_lo, s8
	s_cbranch_execnz .LBB0_17
; %bb.18:
	s_or_b32 exec_lo, exec_lo, s8
.LBB0_19:
	s_or_b32 exec_lo, exec_lo, s3
	s_mov_b32 s3, exec_lo
	v_cmpx_lt_u32_e32 11, v1
	s_cbranch_execz .LBB0_23
; %bb.20:
	s_mov_b32 s8, 0
.LBB0_21:                               ; =>This Inner Loop Header: Depth=1
	v_ashrrev_i32_e32 v6, 31, v5
	s_clause 0x9
	global_load_dwordx4 v[16:19], v[7:8], off offset:48
	global_load_dwordx4 v[20:23], v[7:8], off offset:32
	;; [unrolled: 1-line block ×3, first 2 shown]
	global_load_dwordx4 v[28:31], v[7:8], off
	global_load_dwordx4 v[32:35], v[7:8], off offset:304
	global_load_dwordx4 v[36:39], v[7:8], off offset:288
	;; [unrolled: 1-line block ×6, first 2 shown]
	v_lshlrev_b64 v[56:57], 2, v[5:6]
	v_add_nc_u32_e32 v5, 16, v5
	v_add_co_u32 v56, vcc_lo, s12, v56
	v_add_co_ci_u32_e64 v57, null, s13, v57, vcc_lo
	s_clause 0x3
	global_load_dword v1, v[56:57], off
	global_load_dword v6, v[56:57], off offset:16
	global_load_dword v64, v[56:57], off offset:32
	;; [unrolled: 1-line block ×3, first 2 shown]
	s_waitcnt vmcnt(3)
	v_subrev_nc_u32_e32 v1, s18, v1
	s_waitcnt vmcnt(2)
	v_subrev_nc_u32_e32 v6, s18, v6
	v_lshlrev_b32_e32 v56, 2, v1
	v_lshlrev_b32_e32 v58, 2, v6
	s_waitcnt vmcnt(1)
	v_subrev_nc_u32_e32 v1, s18, v64
	s_waitcnt vmcnt(0)
	v_subrev_nc_u32_e32 v6, s18, v65
	v_ashrrev_i32_e32 v57, 31, v56
	v_ashrrev_i32_e32 v59, 31, v58
	v_lshlrev_b32_e32 v64, 2, v1
	v_lshlrev_b64 v[56:57], 2, v[56:57]
	v_lshlrev_b64 v[58:59], 2, v[58:59]
	v_ashrrev_i32_e32 v65, 31, v64
	v_add_co_u32 v56, vcc_lo, s6, v56
	v_add_co_ci_u32_e64 v57, null, s7, v57, vcc_lo
	v_add_co_u32 v60, vcc_lo, s6, v58
	v_add_co_ci_u32_e64 v61, null, s7, v59, vcc_lo
	s_clause 0x1
	global_load_dwordx4 v[56:59], v[56:57], off
	global_load_dwordx4 v[60:63], v[60:61], off
	s_waitcnt vmcnt(1)
	v_fmac_f32_e32 v14, v24, v56
	v_fmac_f32_e32 v12, v28, v56
	;; [unrolled: 1-line block ×14, first 2 shown]
	s_clause 0x1
	global_load_dwordx4 v[28:31], v[7:8], off offset:528
	global_load_dwordx4 v[24:27], v[7:8], off offset:512
	v_fmac_f32_e32 v13, v23, v59
	s_waitcnt vmcnt(2)
	v_fmac_f32_e32 v14, v40, v60
	v_lshlrev_b32_e32 v40, 2, v6
	global_load_dwordx4 v[20:23], v[7:8], off offset:816
	v_fmac_f32_e32 v11, v19, v59
	s_clause 0x1
	global_load_dwordx4 v[16:19], v[7:8], off offset:800
	global_load_dwordx4 v[56:59], v[7:8], off offset:784
	v_fmac_f32_e32 v14, v41, v61
	v_ashrrev_i32_e32 v41, 31, v40
	v_fmac_f32_e32 v12, v44, v60
	v_fmac_f32_e32 v13, v36, v60
	;; [unrolled: 1-line block ×4, first 2 shown]
	v_lshlrev_b64 v[40:41], 2, v[40:41]
	v_fmac_f32_e32 v12, v45, v61
	v_fmac_f32_e32 v13, v37, v61
	v_fmac_f32_e32 v11, v33, v61
	v_fmac_f32_e32 v14, v43, v63
	v_lshlrev_b64 v[42:43], 2, v[64:65]
	v_fmac_f32_e32 v12, v46, v62
	v_fmac_f32_e32 v13, v38, v62
	;; [unrolled: 1-line block ×3, first 2 shown]
	v_add_co_u32 v42, vcc_lo, s6, v42
	v_add_co_ci_u32_e64 v43, null, s7, v43, vcc_lo
	v_add_co_u32 v64, vcc_lo, s6, v40
	v_add_co_ci_u32_e64 v65, null, s7, v41, vcc_lo
	global_load_dwordx4 v[40:43], v[42:43], off
	v_fmac_f32_e32 v12, v47, v63
	global_load_dwordx4 v[44:47], v[7:8], off offset:768
	v_fmac_f32_e32 v13, v39, v63
	global_load_dwordx4 v[36:39], v[64:65], off
	v_fmac_f32_e32 v11, v35, v63
	v_add_co_u32 v7, vcc_lo, 0x400, v7
	v_add_co_ci_u32_e64 v8, null, 0, v8, vcc_lo
	v_cmp_ge_i32_e32 vcc_lo, v5, v10
	s_or_b32 s8, vcc_lo, s8
	s_waitcnt vmcnt(2)
	v_fmac_f32_e32 v12, v24, v40
	v_fmac_f32_e32 v14, v28, v40
	;; [unrolled: 1-line block ×16, first 2 shown]
	s_waitcnt vmcnt(0)
	v_fmac_f32_e32 v12, v44, v36
	v_fmac_f32_e32 v14, v56, v36
	;; [unrolled: 1-line block ×16, first 2 shown]
	s_andn2_b32 exec_lo, exec_lo, s8
	s_cbranch_execnz .LBB0_21
; %bb.22:
	s_or_b32 exec_lo, exec_lo, s8
.LBB0_23:
	s_or_b32 exec_lo, exec_lo, s3
.LBB0_24:
	s_or_b32 exec_lo, exec_lo, s1
	s_cbranch_execz .LBB0_26
	s_branch .LBB0_37
.LBB0_25:
                                        ; implicit-def: $vgpr11
                                        ; implicit-def: $vgpr13
                                        ; implicit-def: $vgpr14
                                        ; implicit-def: $vgpr12
.LBB0_26:
	v_mov_b32_e32 v11, 0
	v_mov_b32_e32 v13, 0
	;; [unrolled: 1-line block ×4, first 2 shown]
	s_and_saveexec_b32 s1, s0
	s_cbranch_execz .LBB0_36
; %bb.27:
	v_add_nc_u32_e32 v1, v15, v9
	v_not_b32_e32 v5, v15
	v_mov_b32_e32 v12, 0
	v_mov_b32_e32 v14, 0
	;; [unrolled: 1-line block ×3, first 2 shown]
	v_subrev_nc_u32_e32 v1, s18, v1
	v_mov_b32_e32 v11, 0
	s_mov_b32 s0, exec_lo
	v_add_nc_u32_e32 v1, 4, v1
	v_max_i32_e32 v1, v1, v10
	v_add3_u32 v1, s18, v1, v5
	v_sub_nc_u32_e32 v5, v1, v9
	v_and_b32_e32 v1, 12, v5
	v_cmpx_ne_u32_e32 12, v1
	s_cbranch_execz .LBB0_31
; %bb.28:
	v_lshrrev_b32_e32 v1, 2, v5
	v_mov_b32_e32 v11, 0
	v_mov_b32_e32 v13, 0
	;; [unrolled: 1-line block ×4, first 2 shown]
	v_add_nc_u32_e32 v1, 1, v1
	s_mov_b32 s3, 0
	v_and_b32_e32 v1, 3, v1
	v_sub_nc_u32_e32 v6, 0, v1
.LBB0_29:                               ; =>This Inner Loop Header: Depth=1
	v_ashrrev_i32_e32 v1, 31, v0
	v_add_co_u32 v6, s8, v6, 1
	s_or_b32 s3, s8, s3
	v_lshlrev_b64 v[7:8], 2, v[0:1]
	v_add_nc_u32_e32 v0, 4, v0
	v_add_co_u32 v7, vcc_lo, s12, v7
	v_add_co_ci_u32_e64 v8, null, s13, v8, vcc_lo
	global_load_dword v1, v[7:8], off
	s_clause 0x1
	global_load_dwordx4 v[15:18], v[2:3], off offset:16
	global_load_dwordx4 v[19:22], v[2:3], off
	s_waitcnt vmcnt(2)
	v_subrev_nc_u32_e32 v1, s18, v1
	v_lshlrev_b32_e32 v7, 2, v1
	v_ashrrev_i32_e32 v8, 31, v7
	v_lshlrev_b64 v[7:8], 2, v[7:8]
	v_add_co_u32 v7, vcc_lo, s6, v7
	v_add_co_ci_u32_e64 v8, null, s7, v8, vcc_lo
	global_load_dwordx4 v[23:26], v[7:8], off
	s_clause 0x1
	global_load_dwordx4 v[27:30], v[2:3], off offset:32
	global_load_dwordx4 v[31:34], v[2:3], off offset:48
	v_add_co_u32 v2, vcc_lo, 0x100, v2
	v_add_co_ci_u32_e64 v3, null, 0, v3, vcc_lo
	s_waitcnt vmcnt(2)
	v_fmac_f32_e32 v12, v19, v23
	v_fmac_f32_e32 v14, v20, v23
	;; [unrolled: 1-line block ×8, first 2 shown]
	s_waitcnt vmcnt(1)
	v_fmac_f32_e32 v12, v27, v25
	v_fmac_f32_e32 v14, v28, v25
	;; [unrolled: 1-line block ×4, first 2 shown]
	s_waitcnt vmcnt(0)
	v_fmac_f32_e32 v12, v31, v26
	v_fmac_f32_e32 v14, v32, v26
	;; [unrolled: 1-line block ×4, first 2 shown]
	s_andn2_b32 exec_lo, exec_lo, s3
	s_cbranch_execnz .LBB0_29
; %bb.30:
	s_or_b32 exec_lo, exec_lo, s3
.LBB0_31:
	s_or_b32 exec_lo, exec_lo, s0
	s_mov_b32 s0, exec_lo
	v_cmpx_lt_u32_e32 11, v5
	s_cbranch_execz .LBB0_35
; %bb.32:
	s_mov_b32 s3, 0
.LBB0_33:                               ; =>This Inner Loop Header: Depth=1
	v_ashrrev_i32_e32 v1, 31, v0
	s_clause 0x9
	global_load_dwordx4 v[5:8], v[2:3], off offset:48
	global_load_dwordx4 v[15:18], v[2:3], off offset:32
	;; [unrolled: 1-line block ×3, first 2 shown]
	global_load_dwordx4 v[23:26], v[2:3], off
	global_load_dwordx4 v[27:30], v[2:3], off offset:304
	global_load_dwordx4 v[31:34], v[2:3], off offset:288
	;; [unrolled: 1-line block ×6, first 2 shown]
	v_lshlrev_b64 v[51:52], 2, v[0:1]
	v_add_nc_u32_e32 v0, 16, v0
	v_add_co_u32 v51, vcc_lo, s12, v51
	v_add_co_ci_u32_e64 v52, null, s13, v52, vcc_lo
	s_clause 0x3
	global_load_dword v1, v[51:52], off
	global_load_dword v53, v[51:52], off offset:16
	global_load_dword v59, v[51:52], off offset:32
	;; [unrolled: 1-line block ×3, first 2 shown]
	s_waitcnt vmcnt(3)
	v_subrev_nc_u32_e32 v1, s18, v1
	s_waitcnt vmcnt(2)
	v_subrev_nc_u32_e32 v52, s18, v53
	v_lshlrev_b32_e32 v51, 2, v1
	v_lshlrev_b32_e32 v53, 2, v52
	s_waitcnt vmcnt(1)
	v_subrev_nc_u32_e32 v1, s18, v59
	v_ashrrev_i32_e32 v52, 31, v51
	v_ashrrev_i32_e32 v54, 31, v53
	v_lshlrev_b64 v[51:52], 2, v[51:52]
	v_lshlrev_b64 v[53:54], 2, v[53:54]
	v_add_co_u32 v51, vcc_lo, s6, v51
	v_add_co_ci_u32_e64 v52, null, s7, v52, vcc_lo
	v_add_co_u32 v55, vcc_lo, s6, v53
	v_add_co_ci_u32_e64 v56, null, s7, v54, vcc_lo
	s_clause 0x1
	global_load_dwordx4 v[51:54], v[51:52], off
	global_load_dwordx4 v[55:58], v[55:56], off
	s_waitcnt vmcnt(1)
	v_fmac_f32_e32 v12, v23, v51
	v_fmac_f32_e32 v14, v24, v51
	;; [unrolled: 1-line block ×4, first 2 shown]
	v_lshlrev_b32_e32 v51, 2, v1
	v_fmac_f32_e32 v12, v19, v52
	v_fmac_f32_e32 v14, v20, v52
	;; [unrolled: 1-line block ×4, first 2 shown]
	v_subrev_nc_u32_e32 v52, s18, v60
	v_fmac_f32_e32 v12, v15, v53
	v_fmac_f32_e32 v14, v16, v53
	;; [unrolled: 1-line block ×4, first 2 shown]
	v_lshlrev_b32_e32 v53, 2, v52
	v_ashrrev_i32_e32 v52, 31, v51
	v_fmac_f32_e32 v12, v5, v54
	v_fmac_f32_e32 v14, v6, v54
	s_clause 0x1
	global_load_dwordx4 v[23:26], v[2:3], off offset:528
	global_load_dwordx4 v[19:22], v[2:3], off offset:512
	v_lshlrev_b64 v[5:6], 2, v[51:52]
	v_fmac_f32_e32 v13, v7, v54
	v_fmac_f32_e32 v11, v8, v54
	v_ashrrev_i32_e32 v54, 31, v53
	global_load_dwordx4 v[15:18], v[2:3], off offset:784
	s_waitcnt vmcnt(3)
	v_fmac_f32_e32 v12, v39, v55
	v_add_co_u32 v5, vcc_lo, s6, v5
	v_add_co_ci_u32_e64 v6, null, s7, v6, vcc_lo
	v_lshlrev_b64 v[51:52], 2, v[53:54]
	v_fmac_f32_e32 v14, v40, v55
	v_fmac_f32_e32 v13, v41, v55
	global_load_dwordx4 v[5:8], v[5:6], off
	v_fmac_f32_e32 v11, v42, v55
	v_fmac_f32_e32 v12, v35, v56
	v_add_co_u32 v59, vcc_lo, s6, v51
	v_add_co_ci_u32_e64 v60, null, s7, v52, vcc_lo
	global_load_dwordx4 v[51:54], v[2:3], off offset:768
	v_fmac_f32_e32 v14, v36, v56
	v_fmac_f32_e32 v13, v37, v56
	global_load_dwordx4 v[39:42], v[59:60], off
	v_fmac_f32_e32 v11, v38, v56
	global_load_dwordx4 v[35:38], v[2:3], off offset:800
	v_fmac_f32_e32 v12, v31, v57
	v_fmac_f32_e32 v14, v32, v57
	;; [unrolled: 1-line block ×4, first 2 shown]
	global_load_dwordx4 v[31:34], v[2:3], off offset:816
	v_fmac_f32_e32 v12, v27, v58
	v_fmac_f32_e32 v14, v28, v58
	v_fmac_f32_e32 v13, v29, v58
	v_fmac_f32_e32 v11, v30, v58
	v_add_co_u32 v2, vcc_lo, 0x400, v2
	v_add_co_ci_u32_e64 v3, null, 0, v3, vcc_lo
	v_cmp_ge_i32_e32 vcc_lo, v0, v10
	s_or_b32 s3, vcc_lo, s3
	s_waitcnt vmcnt(4)
	v_fmac_f32_e32 v12, v19, v5
	v_fmac_f32_e32 v14, v20, v5
	;; [unrolled: 1-line block ×16, first 2 shown]
	s_waitcnt vmcnt(2)
	v_fmac_f32_e32 v12, v51, v39
	v_fmac_f32_e32 v14, v52, v39
	;; [unrolled: 1-line block ×8, first 2 shown]
	s_waitcnt vmcnt(1)
	v_fmac_f32_e32 v12, v35, v41
	v_fmac_f32_e32 v14, v36, v41
	;; [unrolled: 1-line block ×4, first 2 shown]
	s_waitcnt vmcnt(0)
	v_fmac_f32_e32 v12, v31, v42
	v_fmac_f32_e32 v14, v32, v42
	;; [unrolled: 1-line block ×4, first 2 shown]
	s_andn2_b32 exec_lo, exec_lo, s3
	s_cbranch_execnz .LBB0_33
; %bb.34:
	s_or_b32 exec_lo, exec_lo, s3
.LBB0_35:
	s_or_b32 exec_lo, exec_lo, s0
.LBB0_36:
	s_or_b32 exec_lo, exec_lo, s1
.LBB0_37:
	v_mbcnt_lo_u32_b32 v0, -1, 0
	s_mov_b32 s3, -1
	v_xor_b32_e32 v1, 2, v0
	v_cmp_gt_i32_e32 vcc_lo, 32, v1
	v_cndmask_b32_e32 v1, v0, v1, vcc_lo
	v_lshlrev_b32_e32 v1, 2, v1
	ds_bpermute_b32 v2, v1, v12
	ds_bpermute_b32 v3, v1, v14
	;; [unrolled: 1-line block ×4, first 2 shown]
	v_xor_b32_e32 v1, 1, v0
	v_cmp_gt_i32_e32 vcc_lo, 32, v1
	v_cndmask_b32_e32 v0, v0, v1, vcc_lo
	v_cmp_eq_u32_e32 vcc_lo, 3, v9
	v_lshlrev_b32_e32 v8, 2, v0
	s_waitcnt lgkmcnt(3)
	v_add_f32_e32 v0, v12, v2
	s_waitcnt lgkmcnt(2)
	v_add_f32_e32 v1, v14, v3
	;; [unrolled: 2-line block ×4, first 2 shown]
	ds_bpermute_b32 v5, v8, v0
	ds_bpermute_b32 v6, v8, v1
	;; [unrolled: 1-line block ×4, first 2 shown]
	s_and_b32 exec_lo, exec_lo, vcc_lo
	s_cbranch_execz .LBB0_10
; %bb.38:
	s_load_dwordx2 s[0:1], s[4:5], 0x50
	s_waitcnt lgkmcnt(0)
	v_add_f32_e32 v0, v0, v5
	v_add_f32_e32 v1, v1, v6
	;; [unrolled: 1-line block ×4, first 2 shown]
	v_cmp_eq_f32_e64 s4, s2, 0
	v_mul_f32_e32 v0, s16, v0
	v_mul_f32_e32 v1, s16, v1
	;; [unrolled: 1-line block ×4, first 2 shown]
	v_lshlrev_b32_e32 v4, 2, v4
	s_and_b32 vcc_lo, exec_lo, s4
	s_cbranch_vccz .LBB0_40
; %bb.39:
	v_ashrrev_i32_e32 v5, 31, v4
	s_mov_b32 s3, 0
	v_lshlrev_b64 v[5:6], 2, v[4:5]
	v_add_co_u32 v5, vcc_lo, s0, v5
	v_add_co_ci_u32_e64 v6, null, s1, v6, vcc_lo
	global_store_dwordx4 v[5:6], v[0:3], off
.LBB0_40:
	s_andn2_b32 vcc_lo, exec_lo, s3
	s_cbranch_vccnz .LBB0_10
; %bb.41:
	v_ashrrev_i32_e32 v5, 31, v4
	v_lshlrev_b64 v[4:5], 2, v[4:5]
	v_add_co_u32 v8, vcc_lo, s0, v4
	v_add_co_ci_u32_e64 v9, null, s1, v5, vcc_lo
	global_load_dwordx4 v[4:7], v[8:9], off
	s_waitcnt vmcnt(0)
	v_fmac_f32_e32 v0, s2, v4
	v_fmac_f32_e32 v1, s2, v5
	;; [unrolled: 1-line block ×4, first 2 shown]
	global_store_dwordx4 v[8:9], v[0:3], off
	s_endpgm
	.section	.rodata,"a",@progbits
	.p2align	6, 0x0
	.amdhsa_kernel _ZN9rocsparseL18bsrxmvn_4x4_kernelILj128ELj4EfiifffEEvT3_20rocsparse_direction_NS_24const_host_device_scalarIT1_EES1_PKS1_PKT2_SA_S7_PKT4_PKT5_S5_PT6_21rocsparse_index_base_b
		.amdhsa_group_segment_fixed_size 0
		.amdhsa_private_segment_fixed_size 0
		.amdhsa_kernarg_size 96
		.amdhsa_user_sgpr_count 6
		.amdhsa_user_sgpr_private_segment_buffer 1
		.amdhsa_user_sgpr_dispatch_ptr 0
		.amdhsa_user_sgpr_queue_ptr 0
		.amdhsa_user_sgpr_kernarg_segment_ptr 1
		.amdhsa_user_sgpr_dispatch_id 0
		.amdhsa_user_sgpr_flat_scratch_init 0
		.amdhsa_user_sgpr_private_segment_size 0
		.amdhsa_wavefront_size32 1
		.amdhsa_uses_dynamic_stack 0
		.amdhsa_system_sgpr_private_segment_wavefront_offset 0
		.amdhsa_system_sgpr_workgroup_id_x 1
		.amdhsa_system_sgpr_workgroup_id_y 0
		.amdhsa_system_sgpr_workgroup_id_z 0
		.amdhsa_system_sgpr_workgroup_info 0
		.amdhsa_system_vgpr_workitem_id 0
		.amdhsa_next_free_vgpr 66
		.amdhsa_next_free_sgpr 20
		.amdhsa_reserve_vcc 1
		.amdhsa_reserve_flat_scratch 0
		.amdhsa_float_round_mode_32 0
		.amdhsa_float_round_mode_16_64 0
		.amdhsa_float_denorm_mode_32 3
		.amdhsa_float_denorm_mode_16_64 3
		.amdhsa_dx10_clamp 1
		.amdhsa_ieee_mode 1
		.amdhsa_fp16_overflow 0
		.amdhsa_workgroup_processor_mode 1
		.amdhsa_memory_ordered 1
		.amdhsa_forward_progress 1
		.amdhsa_shared_vgpr_count 0
		.amdhsa_exception_fp_ieee_invalid_op 0
		.amdhsa_exception_fp_denorm_src 0
		.amdhsa_exception_fp_ieee_div_zero 0
		.amdhsa_exception_fp_ieee_overflow 0
		.amdhsa_exception_fp_ieee_underflow 0
		.amdhsa_exception_fp_ieee_inexact 0
		.amdhsa_exception_int_div_zero 0
	.end_amdhsa_kernel
	.section	.text._ZN9rocsparseL18bsrxmvn_4x4_kernelILj128ELj4EfiifffEEvT3_20rocsparse_direction_NS_24const_host_device_scalarIT1_EES1_PKS1_PKT2_SA_S7_PKT4_PKT5_S5_PT6_21rocsparse_index_base_b,"axG",@progbits,_ZN9rocsparseL18bsrxmvn_4x4_kernelILj128ELj4EfiifffEEvT3_20rocsparse_direction_NS_24const_host_device_scalarIT1_EES1_PKS1_PKT2_SA_S7_PKT4_PKT5_S5_PT6_21rocsparse_index_base_b,comdat
.Lfunc_end0:
	.size	_ZN9rocsparseL18bsrxmvn_4x4_kernelILj128ELj4EfiifffEEvT3_20rocsparse_direction_NS_24const_host_device_scalarIT1_EES1_PKS1_PKT2_SA_S7_PKT4_PKT5_S5_PT6_21rocsparse_index_base_b, .Lfunc_end0-_ZN9rocsparseL18bsrxmvn_4x4_kernelILj128ELj4EfiifffEEvT3_20rocsparse_direction_NS_24const_host_device_scalarIT1_EES1_PKS1_PKT2_SA_S7_PKT4_PKT5_S5_PT6_21rocsparse_index_base_b
                                        ; -- End function
	.set _ZN9rocsparseL18bsrxmvn_4x4_kernelILj128ELj4EfiifffEEvT3_20rocsparse_direction_NS_24const_host_device_scalarIT1_EES1_PKS1_PKT2_SA_S7_PKT4_PKT5_S5_PT6_21rocsparse_index_base_b.num_vgpr, 66
	.set _ZN9rocsparseL18bsrxmvn_4x4_kernelILj128ELj4EfiifffEEvT3_20rocsparse_direction_NS_24const_host_device_scalarIT1_EES1_PKS1_PKT2_SA_S7_PKT4_PKT5_S5_PT6_21rocsparse_index_base_b.num_agpr, 0
	.set _ZN9rocsparseL18bsrxmvn_4x4_kernelILj128ELj4EfiifffEEvT3_20rocsparse_direction_NS_24const_host_device_scalarIT1_EES1_PKS1_PKT2_SA_S7_PKT4_PKT5_S5_PT6_21rocsparse_index_base_b.numbered_sgpr, 20
	.set _ZN9rocsparseL18bsrxmvn_4x4_kernelILj128ELj4EfiifffEEvT3_20rocsparse_direction_NS_24const_host_device_scalarIT1_EES1_PKS1_PKT2_SA_S7_PKT4_PKT5_S5_PT6_21rocsparse_index_base_b.num_named_barrier, 0
	.set _ZN9rocsparseL18bsrxmvn_4x4_kernelILj128ELj4EfiifffEEvT3_20rocsparse_direction_NS_24const_host_device_scalarIT1_EES1_PKS1_PKT2_SA_S7_PKT4_PKT5_S5_PT6_21rocsparse_index_base_b.private_seg_size, 0
	.set _ZN9rocsparseL18bsrxmvn_4x4_kernelILj128ELj4EfiifffEEvT3_20rocsparse_direction_NS_24const_host_device_scalarIT1_EES1_PKS1_PKT2_SA_S7_PKT4_PKT5_S5_PT6_21rocsparse_index_base_b.uses_vcc, 1
	.set _ZN9rocsparseL18bsrxmvn_4x4_kernelILj128ELj4EfiifffEEvT3_20rocsparse_direction_NS_24const_host_device_scalarIT1_EES1_PKS1_PKT2_SA_S7_PKT4_PKT5_S5_PT6_21rocsparse_index_base_b.uses_flat_scratch, 0
	.set _ZN9rocsparseL18bsrxmvn_4x4_kernelILj128ELj4EfiifffEEvT3_20rocsparse_direction_NS_24const_host_device_scalarIT1_EES1_PKS1_PKT2_SA_S7_PKT4_PKT5_S5_PT6_21rocsparse_index_base_b.has_dyn_sized_stack, 0
	.set _ZN9rocsparseL18bsrxmvn_4x4_kernelILj128ELj4EfiifffEEvT3_20rocsparse_direction_NS_24const_host_device_scalarIT1_EES1_PKS1_PKT2_SA_S7_PKT4_PKT5_S5_PT6_21rocsparse_index_base_b.has_recursion, 0
	.set _ZN9rocsparseL18bsrxmvn_4x4_kernelILj128ELj4EfiifffEEvT3_20rocsparse_direction_NS_24const_host_device_scalarIT1_EES1_PKS1_PKT2_SA_S7_PKT4_PKT5_S5_PT6_21rocsparse_index_base_b.has_indirect_call, 0
	.section	.AMDGPU.csdata,"",@progbits
; Kernel info:
; codeLenInByte = 3060
; TotalNumSgprs: 22
; NumVgprs: 66
; ScratchSize: 0
; MemoryBound: 0
; FloatMode: 240
; IeeeMode: 1
; LDSByteSize: 0 bytes/workgroup (compile time only)
; SGPRBlocks: 0
; VGPRBlocks: 8
; NumSGPRsForWavesPerEU: 22
; NumVGPRsForWavesPerEU: 66
; Occupancy: 12
; WaveLimiterHint : 1
; COMPUTE_PGM_RSRC2:SCRATCH_EN: 0
; COMPUTE_PGM_RSRC2:USER_SGPR: 6
; COMPUTE_PGM_RSRC2:TRAP_HANDLER: 0
; COMPUTE_PGM_RSRC2:TGID_X_EN: 1
; COMPUTE_PGM_RSRC2:TGID_Y_EN: 0
; COMPUTE_PGM_RSRC2:TGID_Z_EN: 0
; COMPUTE_PGM_RSRC2:TIDIG_COMP_CNT: 0
	.section	.text._ZN9rocsparseL18bsrxmvn_4x4_kernelILj128ELj8EfiifffEEvT3_20rocsparse_direction_NS_24const_host_device_scalarIT1_EES1_PKS1_PKT2_SA_S7_PKT4_PKT5_S5_PT6_21rocsparse_index_base_b,"axG",@progbits,_ZN9rocsparseL18bsrxmvn_4x4_kernelILj128ELj8EfiifffEEvT3_20rocsparse_direction_NS_24const_host_device_scalarIT1_EES1_PKS1_PKT2_SA_S7_PKT4_PKT5_S5_PT6_21rocsparse_index_base_b,comdat
	.globl	_ZN9rocsparseL18bsrxmvn_4x4_kernelILj128ELj8EfiifffEEvT3_20rocsparse_direction_NS_24const_host_device_scalarIT1_EES1_PKS1_PKT2_SA_S7_PKT4_PKT5_S5_PT6_21rocsparse_index_base_b ; -- Begin function _ZN9rocsparseL18bsrxmvn_4x4_kernelILj128ELj8EfiifffEEvT3_20rocsparse_direction_NS_24const_host_device_scalarIT1_EES1_PKS1_PKT2_SA_S7_PKT4_PKT5_S5_PT6_21rocsparse_index_base_b
	.p2align	8
	.type	_ZN9rocsparseL18bsrxmvn_4x4_kernelILj128ELj8EfiifffEEvT3_20rocsparse_direction_NS_24const_host_device_scalarIT1_EES1_PKS1_PKT2_SA_S7_PKT4_PKT5_S5_PT6_21rocsparse_index_base_b,@function
_ZN9rocsparseL18bsrxmvn_4x4_kernelILj128ELj8EfiifffEEvT3_20rocsparse_direction_NS_24const_host_device_scalarIT1_EES1_PKS1_PKT2_SA_S7_PKT4_PKT5_S5_PT6_21rocsparse_index_base_b: ; @_ZN9rocsparseL18bsrxmvn_4x4_kernelILj128ELj8EfiifffEEvT3_20rocsparse_direction_NS_24const_host_device_scalarIT1_EES1_PKS1_PKT2_SA_S7_PKT4_PKT5_S5_PT6_21rocsparse_index_base_b
; %bb.0:
	s_clause 0x2
	s_load_dwordx2 s[18:19], s[4:5], 0x58
	s_load_dwordx2 s[16:17], s[4:5], 0x8
	;; [unrolled: 1-line block ×3, first 2 shown]
	s_waitcnt lgkmcnt(0)
	s_bitcmp1_b32 s19, 0
	s_cselect_b32 s0, -1, 0
	s_and_b32 vcc_lo, exec_lo, s0
	s_xor_b32 s0, s0, -1
	s_cbranch_vccnz .LBB1_2
; %bb.1:
	s_load_dword s16, s[16:17], 0x0
.LBB1_2:
	s_andn2_b32 vcc_lo, exec_lo, s0
	s_cbranch_vccnz .LBB1_4
; %bb.3:
	s_load_dword s2, s[2:3], 0x0
.LBB1_4:
	s_waitcnt lgkmcnt(0)
	v_cmp_neq_f32_e64 s0, s16, 0
	v_cmp_neq_f32_e64 s1, s2, 1.0
	s_mov_b32 s3, 0
	s_or_b32 s0, s0, s1
	s_andn2_b32 vcc_lo, exec_lo, s0
	s_cbranch_vccnz .LBB1_10
; %bb.5:
	s_clause 0x1
	s_load_dwordx2 s[8:9], s[4:5], 0x18
	s_load_dwordx2 s[0:1], s[4:5], 0x0
	v_lshrrev_b32_e32 v1, 3, v0
	v_lshl_or_b32 v4, s6, 4, v1
	s_waitcnt lgkmcnt(0)
	s_cmp_lg_u64 s[8:9], 0
	s_cbranch_scc0 .LBB1_11
; %bb.6:
	s_load_dword s3, s[4:5], 0x10
	s_mov_b32 s6, 0
                                        ; implicit-def: $vgpr1
	s_waitcnt lgkmcnt(0)
	v_cmp_gt_i32_e32 vcc_lo, s3, v4
	s_mov_b32 s3, 0
	s_and_saveexec_b32 s7, vcc_lo
	s_xor_b32 s7, exec_lo, s7
	s_cbranch_execz .LBB1_8
; %bb.7:
	v_ashrrev_i32_e32 v5, 31, v4
	s_mov_b32 s3, exec_lo
	v_lshlrev_b64 v[1:2], 2, v[4:5]
	v_add_co_u32 v1, vcc_lo, s8, v1
	v_add_co_ci_u32_e64 v2, null, s9, v2, vcc_lo
	global_load_dword v1, v[1:2], off
	s_waitcnt vmcnt(0)
	v_subrev_nc_u32_e32 v1, s18, v1
.LBB1_8:
	s_or_b32 exec_lo, exec_lo, s7
	s_and_b32 vcc_lo, exec_lo, s6
	s_cbranch_vccz .LBB1_12
.LBB1_9:
	v_cmp_gt_i32_e32 vcc_lo, s0, v4
	s_andn2_b32 s0, s3, exec_lo
	s_and_b32 s3, vcc_lo, exec_lo
	s_or_b32 s3, s0, s3
	s_and_saveexec_b32 s0, s3
	s_cbranch_execnz .LBB1_13
.LBB1_10:
	s_endpgm
.LBB1_11:
                                        ; implicit-def: $vgpr1
	s_cbranch_execnz .LBB1_9
.LBB1_12:
	v_mov_b32_e32 v4, v1
	s_and_saveexec_b32 s0, s3
	s_cbranch_execz .LBB1_10
.LBB1_13:
	s_load_dwordx8 s[8:15], s[4:5], 0x20
	v_ashrrev_i32_e32 v5, 31, v4
	v_and_b32_e32 v9, 7, v0
	s_load_dwordx2 s[6:7], s[4:5], 0x40
	v_lshlrev_b64 v[1:2], 2, v[4:5]
	s_waitcnt lgkmcnt(0)
	v_add_co_u32 v5, vcc_lo, s8, v1
	v_add_co_ci_u32_e64 v6, null, s9, v2, vcc_lo
	v_add_co_u32 v1, vcc_lo, s10, v1
	v_add_co_ci_u32_e64 v2, null, s11, v2, vcc_lo
	global_load_dword v15, v[5:6], off
	v_add_co_u32 v3, vcc_lo, v5, 4
	v_add_co_ci_u32_e64 v5, null, 0, v6, vcc_lo
	s_cmp_eq_u64 s[10:11], 0
	s_cselect_b32 vcc_lo, -1, 0
	s_cmp_eq_u32 s1, 1
	v_cndmask_b32_e32 v2, v2, v5, vcc_lo
	v_cndmask_b32_e32 v1, v1, v3, vcc_lo
	global_load_dword v5, v[1:2], off
	s_waitcnt vmcnt(1)
	v_subrev_nc_u32_e32 v0, s18, v15
	v_add_nc_u32_e32 v0, v0, v9
	v_ashrrev_i32_e32 v1, 31, v0
	s_waitcnt vmcnt(0)
	v_subrev_nc_u32_e32 v11, s18, v5
	v_lshlrev_b64 v[2:3], 6, v[0:1]
	v_cmp_lt_i32_e64 s0, v0, v11
	v_add_co_u32 v2, vcc_lo, s14, v2
	v_add_co_ci_u32_e64 v3, null, s15, v3, vcc_lo
	s_cbranch_scc1 .LBB1_25
; %bb.14:
	v_mov_b32_e32 v10, 0
	v_mov_b32_e32 v13, 0
	;; [unrolled: 1-line block ×4, first 2 shown]
	s_and_saveexec_b32 s1, s0
	s_cbranch_execz .LBB1_24
; %bb.15:
	v_add_nc_u32_e32 v1, v15, v9
	v_not_b32_e32 v5, v15
	v_mov_b32_e32 v8, v3
	v_mov_b32_e32 v12, 0
	;; [unrolled: 1-line block ×3, first 2 shown]
	v_subrev_nc_u32_e32 v1, s18, v1
	v_mov_b32_e32 v13, 0
	v_mov_b32_e32 v10, 0
	;; [unrolled: 1-line block ×3, first 2 shown]
	s_mov_b32 s3, exec_lo
	v_add_nc_u32_e32 v1, 8, v1
	v_max_i32_e32 v1, v1, v11
	v_add3_u32 v1, s18, v1, v5
	v_mov_b32_e32 v5, v0
	v_sub_nc_u32_e32 v1, v1, v9
	v_and_b32_e32 v6, 24, v1
	v_cmpx_ne_u32_e32 24, v6
	s_cbranch_execz .LBB1_19
; %bb.16:
	v_lshrrev_b32_e32 v5, 3, v1
	v_mov_b32_e32 v8, v3
	v_mov_b32_e32 v10, 0
	;; [unrolled: 1-line block ×4, first 2 shown]
	v_add_nc_u32_e32 v5, 1, v5
	v_mov_b32_e32 v14, 0
	v_mov_b32_e32 v12, 0
	s_mov_b32 s8, 0
	v_and_b32_e32 v6, 3, v5
	v_mov_b32_e32 v5, v0
	v_sub_nc_u32_e32 v16, 0, v6
.LBB1_17:                               ; =>This Inner Loop Header: Depth=1
	v_ashrrev_i32_e32 v6, 31, v5
	v_add_co_u32 v16, s9, v16, 1
	s_or_b32 s8, s9, s8
	v_lshlrev_b64 v[17:18], 2, v[5:6]
	v_add_nc_u32_e32 v5, 8, v5
	v_add_co_u32 v17, vcc_lo, s12, v17
	v_add_co_ci_u32_e64 v18, null, s13, v18, vcc_lo
	global_load_dword v6, v[17:18], off
	s_clause 0x3
	global_load_dwordx4 v[17:20], v[7:8], off offset:48
	global_load_dwordx4 v[21:24], v[7:8], off offset:32
	;; [unrolled: 1-line block ×3, first 2 shown]
	global_load_dwordx4 v[29:32], v[7:8], off
	s_waitcnt vmcnt(4)
	v_subrev_nc_u32_e32 v6, s18, v6
	v_lshlrev_b32_e32 v33, 2, v6
	v_ashrrev_i32_e32 v34, 31, v33
	v_lshlrev_b64 v[33:34], 2, v[33:34]
	v_add_co_u32 v33, vcc_lo, s6, v33
	v_add_co_ci_u32_e64 v34, null, s7, v34, vcc_lo
	v_add_co_u32 v7, vcc_lo, 0x200, v7
	v_add_co_ci_u32_e64 v8, null, 0, v8, vcc_lo
	global_load_dwordx4 v[33:36], v[33:34], off
	s_waitcnt vmcnt(0)
	v_fmac_f32_e32 v12, v29, v33
	v_fmac_f32_e32 v14, v25, v33
	;; [unrolled: 1-line block ×16, first 2 shown]
	s_andn2_b32 exec_lo, exec_lo, s8
	s_cbranch_execnz .LBB1_17
; %bb.18:
	s_or_b32 exec_lo, exec_lo, s8
.LBB1_19:
	s_or_b32 exec_lo, exec_lo, s3
	s_mov_b32 s3, exec_lo
	v_cmpx_lt_u32_e32 23, v1
	s_cbranch_execz .LBB1_23
; %bb.20:
	s_mov_b32 s8, 0
.LBB1_21:                               ; =>This Inner Loop Header: Depth=1
	v_ashrrev_i32_e32 v6, 31, v5
	s_clause 0x9
	global_load_dwordx4 v[16:19], v[7:8], off offset:48
	global_load_dwordx4 v[20:23], v[7:8], off offset:32
	;; [unrolled: 1-line block ×3, first 2 shown]
	global_load_dwordx4 v[28:31], v[7:8], off
	global_load_dwordx4 v[32:35], v[7:8], off offset:560
	global_load_dwordx4 v[36:39], v[7:8], off offset:544
	;; [unrolled: 1-line block ×6, first 2 shown]
	v_lshlrev_b64 v[56:57], 2, v[5:6]
	v_add_nc_u32_e32 v5, 32, v5
	v_add_co_u32 v56, vcc_lo, s12, v56
	v_add_co_ci_u32_e64 v57, null, s13, v57, vcc_lo
	s_clause 0x3
	global_load_dword v1, v[56:57], off
	global_load_dword v6, v[56:57], off offset:32
	global_load_dword v64, v[56:57], off offset:64
	;; [unrolled: 1-line block ×3, first 2 shown]
	s_waitcnt vmcnt(3)
	v_subrev_nc_u32_e32 v1, s18, v1
	s_waitcnt vmcnt(2)
	v_subrev_nc_u32_e32 v6, s18, v6
	v_lshlrev_b32_e32 v56, 2, v1
	v_lshlrev_b32_e32 v58, 2, v6
	s_waitcnt vmcnt(1)
	v_subrev_nc_u32_e32 v1, s18, v64
	s_waitcnt vmcnt(0)
	v_subrev_nc_u32_e32 v6, s18, v65
	v_ashrrev_i32_e32 v57, 31, v56
	v_ashrrev_i32_e32 v59, 31, v58
	v_lshlrev_b32_e32 v64, 2, v1
	v_lshlrev_b64 v[56:57], 2, v[56:57]
	v_lshlrev_b64 v[58:59], 2, v[58:59]
	v_ashrrev_i32_e32 v65, 31, v64
	v_add_co_u32 v56, vcc_lo, s6, v56
	v_add_co_ci_u32_e64 v57, null, s7, v57, vcc_lo
	v_add_co_u32 v60, vcc_lo, s6, v58
	v_add_co_ci_u32_e64 v61, null, s7, v59, vcc_lo
	s_clause 0x1
	global_load_dwordx4 v[56:59], v[56:57], off
	global_load_dwordx4 v[60:63], v[60:61], off
	s_waitcnt vmcnt(1)
	v_fmac_f32_e32 v14, v24, v56
	v_fmac_f32_e32 v12, v28, v56
	;; [unrolled: 1-line block ×14, first 2 shown]
	s_clause 0x1
	global_load_dwordx4 v[28:31], v[7:8], off offset:1040
	global_load_dwordx4 v[24:27], v[7:8], off offset:1024
	v_fmac_f32_e32 v13, v23, v59
	s_waitcnt vmcnt(2)
	v_fmac_f32_e32 v14, v40, v60
	v_lshlrev_b32_e32 v40, 2, v6
	global_load_dwordx4 v[20:23], v[7:8], off offset:1584
	v_fmac_f32_e32 v10, v19, v59
	s_clause 0x1
	global_load_dwordx4 v[16:19], v[7:8], off offset:1568
	global_load_dwordx4 v[56:59], v[7:8], off offset:1552
	v_fmac_f32_e32 v14, v41, v61
	v_ashrrev_i32_e32 v41, 31, v40
	v_fmac_f32_e32 v12, v44, v60
	v_fmac_f32_e32 v13, v36, v60
	;; [unrolled: 1-line block ×4, first 2 shown]
	v_lshlrev_b64 v[40:41], 2, v[40:41]
	v_fmac_f32_e32 v12, v45, v61
	v_fmac_f32_e32 v13, v37, v61
	;; [unrolled: 1-line block ×4, first 2 shown]
	v_lshlrev_b64 v[42:43], 2, v[64:65]
	v_fmac_f32_e32 v12, v46, v62
	v_fmac_f32_e32 v13, v38, v62
	;; [unrolled: 1-line block ×3, first 2 shown]
	v_add_co_u32 v42, vcc_lo, s6, v42
	v_add_co_ci_u32_e64 v43, null, s7, v43, vcc_lo
	v_add_co_u32 v64, vcc_lo, s6, v40
	v_add_co_ci_u32_e64 v65, null, s7, v41, vcc_lo
	global_load_dwordx4 v[40:43], v[42:43], off
	v_fmac_f32_e32 v12, v47, v63
	global_load_dwordx4 v[44:47], v[7:8], off offset:1536
	v_fmac_f32_e32 v13, v39, v63
	global_load_dwordx4 v[36:39], v[64:65], off
	v_fmac_f32_e32 v10, v35, v63
	v_add_co_u32 v7, vcc_lo, 0x800, v7
	v_add_co_ci_u32_e64 v8, null, 0, v8, vcc_lo
	v_cmp_ge_i32_e32 vcc_lo, v5, v11
	s_or_b32 s8, vcc_lo, s8
	s_waitcnt vmcnt(2)
	v_fmac_f32_e32 v12, v24, v40
	v_fmac_f32_e32 v14, v28, v40
	;; [unrolled: 1-line block ×16, first 2 shown]
	s_waitcnt vmcnt(0)
	v_fmac_f32_e32 v12, v44, v36
	v_fmac_f32_e32 v14, v56, v36
	v_fmac_f32_e32 v13, v16, v36
	v_fmac_f32_e32 v10, v20, v36
	v_fmac_f32_e32 v12, v45, v37
	v_fmac_f32_e32 v14, v57, v37
	v_fmac_f32_e32 v13, v17, v37
	v_fmac_f32_e32 v10, v21, v37
	v_fmac_f32_e32 v12, v46, v38
	v_fmac_f32_e32 v14, v58, v38
	v_fmac_f32_e32 v13, v18, v38
	v_fmac_f32_e32 v10, v22, v38
	v_fmac_f32_e32 v12, v47, v39
	v_fmac_f32_e32 v14, v59, v39
	v_fmac_f32_e32 v13, v19, v39
	v_fmac_f32_e32 v10, v23, v39
	s_andn2_b32 exec_lo, exec_lo, s8
	s_cbranch_execnz .LBB1_21
; %bb.22:
	s_or_b32 exec_lo, exec_lo, s8
.LBB1_23:
	s_or_b32 exec_lo, exec_lo, s3
.LBB1_24:
	s_or_b32 exec_lo, exec_lo, s1
	s_cbranch_execz .LBB1_26
	s_branch .LBB1_37
.LBB1_25:
                                        ; implicit-def: $vgpr10
                                        ; implicit-def: $vgpr13
                                        ; implicit-def: $vgpr14
                                        ; implicit-def: $vgpr12
.LBB1_26:
	v_mov_b32_e32 v10, 0
	v_mov_b32_e32 v13, 0
	;; [unrolled: 1-line block ×4, first 2 shown]
	s_and_saveexec_b32 s1, s0
	s_cbranch_execz .LBB1_36
; %bb.27:
	v_add_nc_u32_e32 v1, v15, v9
	v_not_b32_e32 v5, v15
	v_mov_b32_e32 v12, 0
	v_mov_b32_e32 v14, 0
	;; [unrolled: 1-line block ×3, first 2 shown]
	v_subrev_nc_u32_e32 v1, s18, v1
	v_mov_b32_e32 v10, 0
	s_mov_b32 s0, exec_lo
	v_add_nc_u32_e32 v1, 8, v1
	v_max_i32_e32 v1, v1, v11
	v_add3_u32 v1, s18, v1, v5
	v_sub_nc_u32_e32 v5, v1, v9
	v_and_b32_e32 v1, 24, v5
	v_cmpx_ne_u32_e32 24, v1
	s_cbranch_execz .LBB1_31
; %bb.28:
	v_lshrrev_b32_e32 v1, 3, v5
	v_mov_b32_e32 v10, 0
	v_mov_b32_e32 v13, 0
	;; [unrolled: 1-line block ×4, first 2 shown]
	v_add_nc_u32_e32 v1, 1, v1
	s_mov_b32 s3, 0
	v_and_b32_e32 v1, 3, v1
	v_sub_nc_u32_e32 v6, 0, v1
.LBB1_29:                               ; =>This Inner Loop Header: Depth=1
	v_ashrrev_i32_e32 v1, 31, v0
	v_add_co_u32 v6, s8, v6, 1
	s_or_b32 s3, s8, s3
	v_lshlrev_b64 v[7:8], 2, v[0:1]
	v_add_nc_u32_e32 v0, 8, v0
	v_add_co_u32 v7, vcc_lo, s12, v7
	v_add_co_ci_u32_e64 v8, null, s13, v8, vcc_lo
	global_load_dword v1, v[7:8], off
	s_clause 0x1
	global_load_dwordx4 v[15:18], v[2:3], off offset:16
	global_load_dwordx4 v[19:22], v[2:3], off
	s_waitcnt vmcnt(2)
	v_subrev_nc_u32_e32 v1, s18, v1
	v_lshlrev_b32_e32 v7, 2, v1
	v_ashrrev_i32_e32 v8, 31, v7
	v_lshlrev_b64 v[7:8], 2, v[7:8]
	v_add_co_u32 v7, vcc_lo, s6, v7
	v_add_co_ci_u32_e64 v8, null, s7, v8, vcc_lo
	global_load_dwordx4 v[23:26], v[7:8], off
	s_clause 0x1
	global_load_dwordx4 v[27:30], v[2:3], off offset:32
	global_load_dwordx4 v[31:34], v[2:3], off offset:48
	v_add_co_u32 v2, vcc_lo, 0x200, v2
	v_add_co_ci_u32_e64 v3, null, 0, v3, vcc_lo
	s_waitcnt vmcnt(2)
	v_fmac_f32_e32 v12, v19, v23
	v_fmac_f32_e32 v14, v20, v23
	;; [unrolled: 1-line block ×8, first 2 shown]
	s_waitcnt vmcnt(1)
	v_fmac_f32_e32 v12, v27, v25
	v_fmac_f32_e32 v14, v28, v25
	;; [unrolled: 1-line block ×4, first 2 shown]
	s_waitcnt vmcnt(0)
	v_fmac_f32_e32 v12, v31, v26
	v_fmac_f32_e32 v14, v32, v26
	;; [unrolled: 1-line block ×4, first 2 shown]
	s_andn2_b32 exec_lo, exec_lo, s3
	s_cbranch_execnz .LBB1_29
; %bb.30:
	s_or_b32 exec_lo, exec_lo, s3
.LBB1_31:
	s_or_b32 exec_lo, exec_lo, s0
	s_mov_b32 s0, exec_lo
	v_cmpx_lt_u32_e32 23, v5
	s_cbranch_execz .LBB1_35
; %bb.32:
	s_mov_b32 s3, 0
.LBB1_33:                               ; =>This Inner Loop Header: Depth=1
	v_ashrrev_i32_e32 v1, 31, v0
	s_clause 0x9
	global_load_dwordx4 v[5:8], v[2:3], off offset:48
	global_load_dwordx4 v[15:18], v[2:3], off offset:32
	;; [unrolled: 1-line block ×3, first 2 shown]
	global_load_dwordx4 v[23:26], v[2:3], off
	global_load_dwordx4 v[27:30], v[2:3], off offset:560
	global_load_dwordx4 v[31:34], v[2:3], off offset:544
	;; [unrolled: 1-line block ×6, first 2 shown]
	v_lshlrev_b64 v[51:52], 2, v[0:1]
	v_add_nc_u32_e32 v0, 32, v0
	v_add_co_u32 v51, vcc_lo, s12, v51
	v_add_co_ci_u32_e64 v52, null, s13, v52, vcc_lo
	s_clause 0x3
	global_load_dword v1, v[51:52], off
	global_load_dword v53, v[51:52], off offset:32
	global_load_dword v59, v[51:52], off offset:64
	;; [unrolled: 1-line block ×3, first 2 shown]
	s_waitcnt vmcnt(3)
	v_subrev_nc_u32_e32 v1, s18, v1
	s_waitcnt vmcnt(2)
	v_subrev_nc_u32_e32 v52, s18, v53
	v_lshlrev_b32_e32 v51, 2, v1
	v_lshlrev_b32_e32 v53, 2, v52
	s_waitcnt vmcnt(1)
	v_subrev_nc_u32_e32 v1, s18, v59
	v_ashrrev_i32_e32 v52, 31, v51
	v_ashrrev_i32_e32 v54, 31, v53
	v_lshlrev_b64 v[51:52], 2, v[51:52]
	v_lshlrev_b64 v[53:54], 2, v[53:54]
	v_add_co_u32 v51, vcc_lo, s6, v51
	v_add_co_ci_u32_e64 v52, null, s7, v52, vcc_lo
	v_add_co_u32 v55, vcc_lo, s6, v53
	v_add_co_ci_u32_e64 v56, null, s7, v54, vcc_lo
	s_clause 0x1
	global_load_dwordx4 v[51:54], v[51:52], off
	global_load_dwordx4 v[55:58], v[55:56], off
	s_waitcnt vmcnt(1)
	v_fmac_f32_e32 v12, v23, v51
	v_fmac_f32_e32 v14, v24, v51
	;; [unrolled: 1-line block ×4, first 2 shown]
	v_lshlrev_b32_e32 v51, 2, v1
	v_fmac_f32_e32 v12, v19, v52
	v_fmac_f32_e32 v14, v20, v52
	;; [unrolled: 1-line block ×4, first 2 shown]
	v_subrev_nc_u32_e32 v52, s18, v60
	v_fmac_f32_e32 v12, v15, v53
	v_fmac_f32_e32 v14, v16, v53
	v_fmac_f32_e32 v13, v17, v53
	v_fmac_f32_e32 v10, v18, v53
	v_lshlrev_b32_e32 v53, 2, v52
	v_ashrrev_i32_e32 v52, 31, v51
	v_fmac_f32_e32 v12, v5, v54
	v_fmac_f32_e32 v14, v6, v54
	s_clause 0x1
	global_load_dwordx4 v[23:26], v[2:3], off offset:1040
	global_load_dwordx4 v[19:22], v[2:3], off offset:1024
	v_lshlrev_b64 v[5:6], 2, v[51:52]
	v_fmac_f32_e32 v13, v7, v54
	v_fmac_f32_e32 v10, v8, v54
	v_ashrrev_i32_e32 v54, 31, v53
	global_load_dwordx4 v[15:18], v[2:3], off offset:1552
	s_waitcnt vmcnt(3)
	v_fmac_f32_e32 v12, v39, v55
	v_add_co_u32 v5, vcc_lo, s6, v5
	v_add_co_ci_u32_e64 v6, null, s7, v6, vcc_lo
	v_lshlrev_b64 v[51:52], 2, v[53:54]
	v_fmac_f32_e32 v14, v40, v55
	v_fmac_f32_e32 v13, v41, v55
	global_load_dwordx4 v[5:8], v[5:6], off
	v_fmac_f32_e32 v10, v42, v55
	v_fmac_f32_e32 v12, v35, v56
	v_add_co_u32 v59, vcc_lo, s6, v51
	v_add_co_ci_u32_e64 v60, null, s7, v52, vcc_lo
	global_load_dwordx4 v[51:54], v[2:3], off offset:1536
	v_fmac_f32_e32 v14, v36, v56
	v_fmac_f32_e32 v13, v37, v56
	global_load_dwordx4 v[39:42], v[59:60], off
	v_fmac_f32_e32 v10, v38, v56
	global_load_dwordx4 v[35:38], v[2:3], off offset:1568
	v_fmac_f32_e32 v12, v31, v57
	v_fmac_f32_e32 v14, v32, v57
	;; [unrolled: 1-line block ×4, first 2 shown]
	global_load_dwordx4 v[31:34], v[2:3], off offset:1584
	v_fmac_f32_e32 v12, v27, v58
	v_fmac_f32_e32 v14, v28, v58
	v_fmac_f32_e32 v13, v29, v58
	v_fmac_f32_e32 v10, v30, v58
	v_add_co_u32 v2, vcc_lo, 0x800, v2
	v_add_co_ci_u32_e64 v3, null, 0, v3, vcc_lo
	v_cmp_ge_i32_e32 vcc_lo, v0, v11
	s_or_b32 s3, vcc_lo, s3
	s_waitcnt vmcnt(4)
	v_fmac_f32_e32 v12, v19, v5
	v_fmac_f32_e32 v14, v20, v5
	;; [unrolled: 1-line block ×16, first 2 shown]
	s_waitcnt vmcnt(2)
	v_fmac_f32_e32 v12, v51, v39
	v_fmac_f32_e32 v14, v52, v39
	v_fmac_f32_e32 v13, v53, v39
	v_fmac_f32_e32 v10, v54, v39
	v_fmac_f32_e32 v12, v15, v40
	v_fmac_f32_e32 v14, v16, v40
	v_fmac_f32_e32 v13, v17, v40
	v_fmac_f32_e32 v10, v18, v40
	s_waitcnt vmcnt(1)
	v_fmac_f32_e32 v12, v35, v41
	v_fmac_f32_e32 v14, v36, v41
	;; [unrolled: 1-line block ×4, first 2 shown]
	s_waitcnt vmcnt(0)
	v_fmac_f32_e32 v12, v31, v42
	v_fmac_f32_e32 v14, v32, v42
	;; [unrolled: 1-line block ×4, first 2 shown]
	s_andn2_b32 exec_lo, exec_lo, s3
	s_cbranch_execnz .LBB1_33
; %bb.34:
	s_or_b32 exec_lo, exec_lo, s3
.LBB1_35:
	s_or_b32 exec_lo, exec_lo, s0
.LBB1_36:
	s_or_b32 exec_lo, exec_lo, s1
.LBB1_37:
	v_mbcnt_lo_u32_b32 v0, -1, 0
	s_mov_b32 s3, -1
	v_xor_b32_e32 v1, 4, v0
	v_xor_b32_e32 v6, 2, v0
	;; [unrolled: 1-line block ×3, first 2 shown]
	v_cmp_gt_i32_e32 vcc_lo, 32, v1
	v_cndmask_b32_e32 v1, v0, v1, vcc_lo
	v_cmp_gt_i32_e32 vcc_lo, 32, v6
	v_lshlrev_b32_e32 v1, 2, v1
	v_cndmask_b32_e32 v6, v0, v6, vcc_lo
	v_cmp_gt_i32_e32 vcc_lo, 32, v11
	ds_bpermute_b32 v2, v1, v12
	ds_bpermute_b32 v3, v1, v14
	;; [unrolled: 1-line block ×4, first 2 shown]
	v_lshlrev_b32_e32 v6, 2, v6
	v_cndmask_b32_e32 v0, v0, v11, vcc_lo
	v_cmp_eq_u32_e32 vcc_lo, 7, v9
	v_lshlrev_b32_e32 v11, 2, v0
	s_waitcnt lgkmcnt(3)
	v_add_f32_e32 v2, v12, v2
	s_waitcnt lgkmcnt(2)
	v_add_f32_e32 v3, v14, v3
	;; [unrolled: 2-line block ×4, first 2 shown]
	ds_bpermute_b32 v1, v6, v2
	ds_bpermute_b32 v8, v6, v3
	;; [unrolled: 1-line block ×4, first 2 shown]
	s_waitcnt lgkmcnt(3)
	v_add_f32_e32 v0, v2, v1
	s_waitcnt lgkmcnt(2)
	v_add_f32_e32 v1, v3, v8
	;; [unrolled: 2-line block ×4, first 2 shown]
	ds_bpermute_b32 v5, v11, v0
	ds_bpermute_b32 v6, v11, v1
	;; [unrolled: 1-line block ×4, first 2 shown]
	s_and_b32 exec_lo, exec_lo, vcc_lo
	s_cbranch_execz .LBB1_10
; %bb.38:
	s_load_dwordx2 s[0:1], s[4:5], 0x50
	s_waitcnt lgkmcnt(0)
	v_add_f32_e32 v0, v0, v5
	v_add_f32_e32 v1, v1, v6
	;; [unrolled: 1-line block ×4, first 2 shown]
	v_cmp_eq_f32_e64 s4, s2, 0
	v_mul_f32_e32 v0, s16, v0
	v_mul_f32_e32 v1, s16, v1
	v_mul_f32_e32 v2, s16, v2
	v_mul_f32_e32 v3, s16, v3
	v_lshlrev_b32_e32 v4, 2, v4
	s_and_b32 vcc_lo, exec_lo, s4
	s_cbranch_vccz .LBB1_40
; %bb.39:
	v_ashrrev_i32_e32 v5, 31, v4
	s_mov_b32 s3, 0
	v_lshlrev_b64 v[5:6], 2, v[4:5]
	v_add_co_u32 v5, vcc_lo, s0, v5
	v_add_co_ci_u32_e64 v6, null, s1, v6, vcc_lo
	global_store_dwordx4 v[5:6], v[0:3], off
.LBB1_40:
	s_andn2_b32 vcc_lo, exec_lo, s3
	s_cbranch_vccnz .LBB1_10
; %bb.41:
	v_ashrrev_i32_e32 v5, 31, v4
	v_lshlrev_b64 v[4:5], 2, v[4:5]
	v_add_co_u32 v8, vcc_lo, s0, v4
	v_add_co_ci_u32_e64 v9, null, s1, v5, vcc_lo
	global_load_dwordx4 v[4:7], v[8:9], off
	s_waitcnt vmcnt(0)
	v_fmac_f32_e32 v0, s2, v4
	v_fmac_f32_e32 v1, s2, v5
	;; [unrolled: 1-line block ×4, first 2 shown]
	global_store_dwordx4 v[8:9], v[0:3], off
	s_endpgm
	.section	.rodata,"a",@progbits
	.p2align	6, 0x0
	.amdhsa_kernel _ZN9rocsparseL18bsrxmvn_4x4_kernelILj128ELj8EfiifffEEvT3_20rocsparse_direction_NS_24const_host_device_scalarIT1_EES1_PKS1_PKT2_SA_S7_PKT4_PKT5_S5_PT6_21rocsparse_index_base_b
		.amdhsa_group_segment_fixed_size 0
		.amdhsa_private_segment_fixed_size 0
		.amdhsa_kernarg_size 96
		.amdhsa_user_sgpr_count 6
		.amdhsa_user_sgpr_private_segment_buffer 1
		.amdhsa_user_sgpr_dispatch_ptr 0
		.amdhsa_user_sgpr_queue_ptr 0
		.amdhsa_user_sgpr_kernarg_segment_ptr 1
		.amdhsa_user_sgpr_dispatch_id 0
		.amdhsa_user_sgpr_flat_scratch_init 0
		.amdhsa_user_sgpr_private_segment_size 0
		.amdhsa_wavefront_size32 1
		.amdhsa_uses_dynamic_stack 0
		.amdhsa_system_sgpr_private_segment_wavefront_offset 0
		.amdhsa_system_sgpr_workgroup_id_x 1
		.amdhsa_system_sgpr_workgroup_id_y 0
		.amdhsa_system_sgpr_workgroup_id_z 0
		.amdhsa_system_sgpr_workgroup_info 0
		.amdhsa_system_vgpr_workitem_id 0
		.amdhsa_next_free_vgpr 66
		.amdhsa_next_free_sgpr 20
		.amdhsa_reserve_vcc 1
		.amdhsa_reserve_flat_scratch 0
		.amdhsa_float_round_mode_32 0
		.amdhsa_float_round_mode_16_64 0
		.amdhsa_float_denorm_mode_32 3
		.amdhsa_float_denorm_mode_16_64 3
		.amdhsa_dx10_clamp 1
		.amdhsa_ieee_mode 1
		.amdhsa_fp16_overflow 0
		.amdhsa_workgroup_processor_mode 1
		.amdhsa_memory_ordered 1
		.amdhsa_forward_progress 1
		.amdhsa_shared_vgpr_count 0
		.amdhsa_exception_fp_ieee_invalid_op 0
		.amdhsa_exception_fp_denorm_src 0
		.amdhsa_exception_fp_ieee_div_zero 0
		.amdhsa_exception_fp_ieee_overflow 0
		.amdhsa_exception_fp_ieee_underflow 0
		.amdhsa_exception_fp_ieee_inexact 0
		.amdhsa_exception_int_div_zero 0
	.end_amdhsa_kernel
	.section	.text._ZN9rocsparseL18bsrxmvn_4x4_kernelILj128ELj8EfiifffEEvT3_20rocsparse_direction_NS_24const_host_device_scalarIT1_EES1_PKS1_PKT2_SA_S7_PKT4_PKT5_S5_PT6_21rocsparse_index_base_b,"axG",@progbits,_ZN9rocsparseL18bsrxmvn_4x4_kernelILj128ELj8EfiifffEEvT3_20rocsparse_direction_NS_24const_host_device_scalarIT1_EES1_PKS1_PKT2_SA_S7_PKT4_PKT5_S5_PT6_21rocsparse_index_base_b,comdat
.Lfunc_end1:
	.size	_ZN9rocsparseL18bsrxmvn_4x4_kernelILj128ELj8EfiifffEEvT3_20rocsparse_direction_NS_24const_host_device_scalarIT1_EES1_PKS1_PKT2_SA_S7_PKT4_PKT5_S5_PT6_21rocsparse_index_base_b, .Lfunc_end1-_ZN9rocsparseL18bsrxmvn_4x4_kernelILj128ELj8EfiifffEEvT3_20rocsparse_direction_NS_24const_host_device_scalarIT1_EES1_PKS1_PKT2_SA_S7_PKT4_PKT5_S5_PT6_21rocsparse_index_base_b
                                        ; -- End function
	.set _ZN9rocsparseL18bsrxmvn_4x4_kernelILj128ELj8EfiifffEEvT3_20rocsparse_direction_NS_24const_host_device_scalarIT1_EES1_PKS1_PKT2_SA_S7_PKT4_PKT5_S5_PT6_21rocsparse_index_base_b.num_vgpr, 66
	.set _ZN9rocsparseL18bsrxmvn_4x4_kernelILj128ELj8EfiifffEEvT3_20rocsparse_direction_NS_24const_host_device_scalarIT1_EES1_PKS1_PKT2_SA_S7_PKT4_PKT5_S5_PT6_21rocsparse_index_base_b.num_agpr, 0
	.set _ZN9rocsparseL18bsrxmvn_4x4_kernelILj128ELj8EfiifffEEvT3_20rocsparse_direction_NS_24const_host_device_scalarIT1_EES1_PKS1_PKT2_SA_S7_PKT4_PKT5_S5_PT6_21rocsparse_index_base_b.numbered_sgpr, 20
	.set _ZN9rocsparseL18bsrxmvn_4x4_kernelILj128ELj8EfiifffEEvT3_20rocsparse_direction_NS_24const_host_device_scalarIT1_EES1_PKS1_PKT2_SA_S7_PKT4_PKT5_S5_PT6_21rocsparse_index_base_b.num_named_barrier, 0
	.set _ZN9rocsparseL18bsrxmvn_4x4_kernelILj128ELj8EfiifffEEvT3_20rocsparse_direction_NS_24const_host_device_scalarIT1_EES1_PKS1_PKT2_SA_S7_PKT4_PKT5_S5_PT6_21rocsparse_index_base_b.private_seg_size, 0
	.set _ZN9rocsparseL18bsrxmvn_4x4_kernelILj128ELj8EfiifffEEvT3_20rocsparse_direction_NS_24const_host_device_scalarIT1_EES1_PKS1_PKT2_SA_S7_PKT4_PKT5_S5_PT6_21rocsparse_index_base_b.uses_vcc, 1
	.set _ZN9rocsparseL18bsrxmvn_4x4_kernelILj128ELj8EfiifffEEvT3_20rocsparse_direction_NS_24const_host_device_scalarIT1_EES1_PKS1_PKT2_SA_S7_PKT4_PKT5_S5_PT6_21rocsparse_index_base_b.uses_flat_scratch, 0
	.set _ZN9rocsparseL18bsrxmvn_4x4_kernelILj128ELj8EfiifffEEvT3_20rocsparse_direction_NS_24const_host_device_scalarIT1_EES1_PKS1_PKT2_SA_S7_PKT4_PKT5_S5_PT6_21rocsparse_index_base_b.has_dyn_sized_stack, 0
	.set _ZN9rocsparseL18bsrxmvn_4x4_kernelILj128ELj8EfiifffEEvT3_20rocsparse_direction_NS_24const_host_device_scalarIT1_EES1_PKS1_PKT2_SA_S7_PKT4_PKT5_S5_PT6_21rocsparse_index_base_b.has_recursion, 0
	.set _ZN9rocsparseL18bsrxmvn_4x4_kernelILj128ELj8EfiifffEEvT3_20rocsparse_direction_NS_24const_host_device_scalarIT1_EES1_PKS1_PKT2_SA_S7_PKT4_PKT5_S5_PT6_21rocsparse_index_base_b.has_indirect_call, 0
	.section	.AMDGPU.csdata,"",@progbits
; Kernel info:
; codeLenInByte = 3140
; TotalNumSgprs: 22
; NumVgprs: 66
; ScratchSize: 0
; MemoryBound: 0
; FloatMode: 240
; IeeeMode: 1
; LDSByteSize: 0 bytes/workgroup (compile time only)
; SGPRBlocks: 0
; VGPRBlocks: 8
; NumSGPRsForWavesPerEU: 22
; NumVGPRsForWavesPerEU: 66
; Occupancy: 12
; WaveLimiterHint : 1
; COMPUTE_PGM_RSRC2:SCRATCH_EN: 0
; COMPUTE_PGM_RSRC2:USER_SGPR: 6
; COMPUTE_PGM_RSRC2:TRAP_HANDLER: 0
; COMPUTE_PGM_RSRC2:TGID_X_EN: 1
; COMPUTE_PGM_RSRC2:TGID_Y_EN: 0
; COMPUTE_PGM_RSRC2:TGID_Z_EN: 0
; COMPUTE_PGM_RSRC2:TIDIG_COMP_CNT: 0
	.section	.text._ZN9rocsparseL18bsrxmvn_4x4_kernelILj128ELj16EfiifffEEvT3_20rocsparse_direction_NS_24const_host_device_scalarIT1_EES1_PKS1_PKT2_SA_S7_PKT4_PKT5_S5_PT6_21rocsparse_index_base_b,"axG",@progbits,_ZN9rocsparseL18bsrxmvn_4x4_kernelILj128ELj16EfiifffEEvT3_20rocsparse_direction_NS_24const_host_device_scalarIT1_EES1_PKS1_PKT2_SA_S7_PKT4_PKT5_S5_PT6_21rocsparse_index_base_b,comdat
	.globl	_ZN9rocsparseL18bsrxmvn_4x4_kernelILj128ELj16EfiifffEEvT3_20rocsparse_direction_NS_24const_host_device_scalarIT1_EES1_PKS1_PKT2_SA_S7_PKT4_PKT5_S5_PT6_21rocsparse_index_base_b ; -- Begin function _ZN9rocsparseL18bsrxmvn_4x4_kernelILj128ELj16EfiifffEEvT3_20rocsparse_direction_NS_24const_host_device_scalarIT1_EES1_PKS1_PKT2_SA_S7_PKT4_PKT5_S5_PT6_21rocsparse_index_base_b
	.p2align	8
	.type	_ZN9rocsparseL18bsrxmvn_4x4_kernelILj128ELj16EfiifffEEvT3_20rocsparse_direction_NS_24const_host_device_scalarIT1_EES1_PKS1_PKT2_SA_S7_PKT4_PKT5_S5_PT6_21rocsparse_index_base_b,@function
_ZN9rocsparseL18bsrxmvn_4x4_kernelILj128ELj16EfiifffEEvT3_20rocsparse_direction_NS_24const_host_device_scalarIT1_EES1_PKS1_PKT2_SA_S7_PKT4_PKT5_S5_PT6_21rocsparse_index_base_b: ; @_ZN9rocsparseL18bsrxmvn_4x4_kernelILj128ELj16EfiifffEEvT3_20rocsparse_direction_NS_24const_host_device_scalarIT1_EES1_PKS1_PKT2_SA_S7_PKT4_PKT5_S5_PT6_21rocsparse_index_base_b
; %bb.0:
	s_clause 0x2
	s_load_dwordx2 s[18:19], s[4:5], 0x58
	s_load_dwordx2 s[16:17], s[4:5], 0x8
	;; [unrolled: 1-line block ×3, first 2 shown]
	s_waitcnt lgkmcnt(0)
	s_bitcmp1_b32 s19, 0
	s_cselect_b32 s0, -1, 0
	s_and_b32 vcc_lo, exec_lo, s0
	s_xor_b32 s0, s0, -1
	s_cbranch_vccnz .LBB2_2
; %bb.1:
	s_load_dword s16, s[16:17], 0x0
.LBB2_2:
	s_andn2_b32 vcc_lo, exec_lo, s0
	s_cbranch_vccnz .LBB2_4
; %bb.3:
	s_load_dword s2, s[2:3], 0x0
.LBB2_4:
	s_waitcnt lgkmcnt(0)
	v_cmp_neq_f32_e64 s0, s16, 0
	v_cmp_neq_f32_e64 s1, s2, 1.0
	s_mov_b32 s3, 0
	s_or_b32 s0, s0, s1
	s_andn2_b32 vcc_lo, exec_lo, s0
	s_cbranch_vccnz .LBB2_10
; %bb.5:
	s_clause 0x1
	s_load_dwordx2 s[8:9], s[4:5], 0x18
	s_load_dwordx2 s[0:1], s[4:5], 0x0
	v_lshrrev_b32_e32 v1, 4, v0
	v_lshl_or_b32 v4, s6, 3, v1
	s_waitcnt lgkmcnt(0)
	s_cmp_lg_u64 s[8:9], 0
	s_cbranch_scc0 .LBB2_11
; %bb.6:
	s_load_dword s3, s[4:5], 0x10
	s_mov_b32 s6, 0
                                        ; implicit-def: $vgpr1
	s_waitcnt lgkmcnt(0)
	v_cmp_gt_i32_e32 vcc_lo, s3, v4
	s_mov_b32 s3, 0
	s_and_saveexec_b32 s7, vcc_lo
	s_xor_b32 s7, exec_lo, s7
	s_cbranch_execz .LBB2_8
; %bb.7:
	v_ashrrev_i32_e32 v5, 31, v4
	s_mov_b32 s3, exec_lo
	v_lshlrev_b64 v[1:2], 2, v[4:5]
	v_add_co_u32 v1, vcc_lo, s8, v1
	v_add_co_ci_u32_e64 v2, null, s9, v2, vcc_lo
	global_load_dword v1, v[1:2], off
	s_waitcnt vmcnt(0)
	v_subrev_nc_u32_e32 v1, s18, v1
.LBB2_8:
	s_or_b32 exec_lo, exec_lo, s7
	s_and_b32 vcc_lo, exec_lo, s6
	s_cbranch_vccz .LBB2_12
.LBB2_9:
	v_cmp_gt_i32_e32 vcc_lo, s0, v4
	s_andn2_b32 s0, s3, exec_lo
	s_and_b32 s3, vcc_lo, exec_lo
	s_or_b32 s3, s0, s3
	s_and_saveexec_b32 s0, s3
	s_cbranch_execnz .LBB2_13
.LBB2_10:
	s_endpgm
.LBB2_11:
                                        ; implicit-def: $vgpr1
	s_cbranch_execnz .LBB2_9
.LBB2_12:
	v_mov_b32_e32 v4, v1
	s_and_saveexec_b32 s0, s3
	s_cbranch_execz .LBB2_10
.LBB2_13:
	s_load_dwordx8 s[8:15], s[4:5], 0x20
	v_ashrrev_i32_e32 v5, 31, v4
	v_and_b32_e32 v9, 15, v0
	s_load_dwordx2 s[6:7], s[4:5], 0x40
	v_lshlrev_b64 v[1:2], 2, v[4:5]
	s_waitcnt lgkmcnt(0)
	v_add_co_u32 v5, vcc_lo, s8, v1
	v_add_co_ci_u32_e64 v6, null, s9, v2, vcc_lo
	v_add_co_u32 v1, vcc_lo, s10, v1
	v_add_co_ci_u32_e64 v2, null, s11, v2, vcc_lo
	global_load_dword v15, v[5:6], off
	v_add_co_u32 v3, vcc_lo, v5, 4
	v_add_co_ci_u32_e64 v5, null, 0, v6, vcc_lo
	s_cmp_eq_u64 s[10:11], 0
	s_cselect_b32 vcc_lo, -1, 0
	s_cmp_eq_u32 s1, 1
	v_cndmask_b32_e32 v2, v2, v5, vcc_lo
	v_cndmask_b32_e32 v1, v1, v3, vcc_lo
	global_load_dword v5, v[1:2], off
	s_waitcnt vmcnt(1)
	v_subrev_nc_u32_e32 v0, s18, v15
	v_add_nc_u32_e32 v0, v0, v9
	v_ashrrev_i32_e32 v1, 31, v0
	s_waitcnt vmcnt(0)
	v_subrev_nc_u32_e32 v12, s18, v5
	v_lshlrev_b64 v[2:3], 6, v[0:1]
	v_cmp_lt_i32_e64 s0, v0, v12
	v_add_co_u32 v2, vcc_lo, s14, v2
	v_add_co_ci_u32_e64 v3, null, s15, v3, vcc_lo
	s_cbranch_scc1 .LBB2_25
; %bb.14:
	v_mov_b32_e32 v10, 0
	v_mov_b32_e32 v13, 0
	;; [unrolled: 1-line block ×4, first 2 shown]
	s_and_saveexec_b32 s1, s0
	s_cbranch_execz .LBB2_24
; %bb.15:
	v_add_nc_u32_e32 v1, v15, v9
	v_not_b32_e32 v5, v15
	v_mov_b32_e32 v8, v3
	v_mov_b32_e32 v11, 0
	;; [unrolled: 1-line block ×3, first 2 shown]
	v_subrev_nc_u32_e32 v1, s18, v1
	v_mov_b32_e32 v13, 0
	v_mov_b32_e32 v10, 0
	;; [unrolled: 1-line block ×3, first 2 shown]
	s_mov_b32 s3, exec_lo
	v_add_nc_u32_e32 v1, 16, v1
	v_max_i32_e32 v1, v1, v12
	v_add3_u32 v1, s18, v1, v5
	v_mov_b32_e32 v5, v0
	v_sub_nc_u32_e32 v1, v1, v9
	v_and_b32_e32 v6, 48, v1
	v_cmpx_ne_u32_e32 48, v6
	s_cbranch_execz .LBB2_19
; %bb.16:
	v_lshrrev_b32_e32 v5, 4, v1
	v_mov_b32_e32 v8, v3
	v_mov_b32_e32 v10, 0
	;; [unrolled: 1-line block ×4, first 2 shown]
	v_add_nc_u32_e32 v5, 1, v5
	v_mov_b32_e32 v14, 0
	v_mov_b32_e32 v11, 0
	s_mov_b32 s8, 0
	v_and_b32_e32 v6, 3, v5
	v_mov_b32_e32 v5, v0
	v_sub_nc_u32_e32 v16, 0, v6
.LBB2_17:                               ; =>This Inner Loop Header: Depth=1
	v_ashrrev_i32_e32 v6, 31, v5
	v_add_co_u32 v16, s9, v16, 1
	s_or_b32 s8, s9, s8
	v_lshlrev_b64 v[17:18], 2, v[5:6]
	v_add_nc_u32_e32 v5, 16, v5
	v_add_co_u32 v17, vcc_lo, s12, v17
	v_add_co_ci_u32_e64 v18, null, s13, v18, vcc_lo
	global_load_dword v6, v[17:18], off
	s_clause 0x3
	global_load_dwordx4 v[17:20], v[7:8], off offset:48
	global_load_dwordx4 v[21:24], v[7:8], off offset:32
	;; [unrolled: 1-line block ×3, first 2 shown]
	global_load_dwordx4 v[29:32], v[7:8], off
	s_waitcnt vmcnt(4)
	v_subrev_nc_u32_e32 v6, s18, v6
	v_lshlrev_b32_e32 v33, 2, v6
	v_ashrrev_i32_e32 v34, 31, v33
	v_lshlrev_b64 v[33:34], 2, v[33:34]
	v_add_co_u32 v33, vcc_lo, s6, v33
	v_add_co_ci_u32_e64 v34, null, s7, v34, vcc_lo
	v_add_co_u32 v7, vcc_lo, 0x400, v7
	v_add_co_ci_u32_e64 v8, null, 0, v8, vcc_lo
	global_load_dwordx4 v[33:36], v[33:34], off
	s_waitcnt vmcnt(0)
	v_fmac_f32_e32 v11, v29, v33
	v_fmac_f32_e32 v14, v25, v33
	;; [unrolled: 1-line block ×16, first 2 shown]
	s_andn2_b32 exec_lo, exec_lo, s8
	s_cbranch_execnz .LBB2_17
; %bb.18:
	s_or_b32 exec_lo, exec_lo, s8
.LBB2_19:
	s_or_b32 exec_lo, exec_lo, s3
	s_mov_b32 s3, exec_lo
	v_cmpx_lt_u32_e32 47, v1
	s_cbranch_execz .LBB2_23
; %bb.20:
	s_mov_b32 s8, 0
.LBB2_21:                               ; =>This Inner Loop Header: Depth=1
	v_ashrrev_i32_e32 v6, 31, v5
	v_add_co_u32 v60, vcc_lo, 0x800, v7
	v_add_co_ci_u32_e64 v61, null, 0, v8, vcc_lo
	v_lshlrev_b64 v[52:53], 2, v[5:6]
	s_clause 0x7
	global_load_dwordx4 v[16:19], v[7:8], off offset:48
	global_load_dwordx4 v[20:23], v[7:8], off offset:32
	global_load_dwordx4 v[24:27], v[7:8], off offset:16
	global_load_dwordx4 v[28:31], v[7:8], off
	global_load_dwordx4 v[32:35], v[7:8], off offset:1072
	global_load_dwordx4 v[36:39], v[7:8], off offset:1056
	;; [unrolled: 1-line block ×4, first 2 shown]
	v_add_nc_u32_e32 v5, 64, v5
	global_load_dwordx4 v[48:51], v[60:61], off
	v_add_co_u32 v52, vcc_lo, s12, v52
	v_add_co_ci_u32_e64 v53, null, s13, v53, vcc_lo
	s_clause 0x3
	global_load_dword v1, v[52:53], off
	global_load_dword v6, v[52:53], off offset:64
	global_load_dword v64, v[52:53], off offset:128
	;; [unrolled: 1-line block ×3, first 2 shown]
	s_waitcnt vmcnt(3)
	v_subrev_nc_u32_e32 v1, s18, v1
	s_waitcnt vmcnt(2)
	v_subrev_nc_u32_e32 v6, s18, v6
	v_lshlrev_b32_e32 v52, 2, v1
	v_lshlrev_b32_e32 v54, 2, v6
	s_waitcnt vmcnt(1)
	v_subrev_nc_u32_e32 v1, s18, v64
	s_waitcnt vmcnt(0)
	v_subrev_nc_u32_e32 v6, s18, v65
	v_ashrrev_i32_e32 v53, 31, v52
	v_ashrrev_i32_e32 v55, 31, v54
	v_lshlrev_b32_e32 v64, 2, v1
	v_lshlrev_b64 v[52:53], 2, v[52:53]
	v_lshlrev_b64 v[54:55], 2, v[54:55]
	v_ashrrev_i32_e32 v65, 31, v64
	v_add_co_u32 v52, vcc_lo, s6, v52
	v_add_co_ci_u32_e64 v53, null, s7, v53, vcc_lo
	v_add_co_u32 v56, vcc_lo, s6, v54
	v_add_co_ci_u32_e64 v57, null, s7, v55, vcc_lo
	s_clause 0x1
	global_load_dwordx4 v[52:55], v[52:53], off
	global_load_dwordx4 v[56:59], v[56:57], off
	s_waitcnt vmcnt(1)
	v_fmac_f32_e32 v14, v24, v52
	v_fmac_f32_e32 v11, v28, v52
	;; [unrolled: 1-line block ×14, first 2 shown]
	s_clause 0x1
	global_load_dwordx4 v[28:31], v[60:61], off offset:48
	global_load_dwordx4 v[24:27], v[60:61], off offset:32
	v_fmac_f32_e32 v13, v23, v55
	s_waitcnt vmcnt(2)
	v_fmac_f32_e32 v14, v40, v56
	v_lshlrev_b32_e32 v40, 2, v6
	v_fmac_f32_e32 v11, v44, v56
	global_load_dwordx4 v[20:23], v[60:61], off offset:16
	v_fmac_f32_e32 v10, v19, v55
	v_fmac_f32_e32 v14, v41, v57
	v_ashrrev_i32_e32 v41, 31, v40
	v_fmac_f32_e32 v11, v45, v57
	s_clause 0x1
	global_load_dwordx4 v[16:19], v[60:61], off offset:1072
	global_load_dwordx4 v[52:55], v[60:61], off offset:1056
	v_fmac_f32_e32 v13, v36, v56
	v_fmac_f32_e32 v14, v42, v58
	v_lshlrev_b64 v[40:41], 2, v[40:41]
	v_fmac_f32_e32 v11, v46, v58
	v_fmac_f32_e32 v10, v32, v56
	;; [unrolled: 1-line block ×4, first 2 shown]
	v_lshlrev_b64 v[42:43], 2, v[64:65]
	v_fmac_f32_e32 v11, v47, v59
	s_clause 0x1
	global_load_dwordx4 v[44:47], v[60:61], off offset:1040
	global_load_dwordx4 v[60:63], v[60:61], off offset:1024
	v_fmac_f32_e32 v13, v38, v58
	v_fmac_f32_e32 v10, v33, v57
	v_add_co_u32 v42, vcc_lo, s6, v42
	v_add_co_ci_u32_e64 v43, null, s7, v43, vcc_lo
	v_add_co_u32 v64, vcc_lo, s6, v40
	v_add_co_ci_u32_e64 v65, null, s7, v41, vcc_lo
	global_load_dwordx4 v[40:43], v[42:43], off
	v_fmac_f32_e32 v13, v39, v59
	v_fmac_f32_e32 v10, v34, v58
	global_load_dwordx4 v[36:39], v[64:65], off
	v_add_co_u32 v7, vcc_lo, 0x1000, v7
	v_add_co_ci_u32_e64 v8, null, 0, v8, vcc_lo
	v_fmac_f32_e32 v10, v35, v59
	v_cmp_ge_i32_e32 vcc_lo, v5, v12
	s_or_b32 s8, vcc_lo, s8
	s_waitcnt vmcnt(1)
	v_fmac_f32_e32 v11, v48, v40
	v_fmac_f32_e32 v14, v20, v40
	;; [unrolled: 1-line block ×16, first 2 shown]
	s_waitcnt vmcnt(0)
	v_fmac_f32_e32 v11, v60, v36
	v_fmac_f32_e32 v14, v44, v36
	v_fmac_f32_e32 v13, v52, v36
	v_fmac_f32_e32 v10, v16, v36
	v_fmac_f32_e32 v11, v61, v37
	v_fmac_f32_e32 v14, v45, v37
	v_fmac_f32_e32 v13, v53, v37
	v_fmac_f32_e32 v10, v17, v37
	v_fmac_f32_e32 v11, v62, v38
	v_fmac_f32_e32 v14, v46, v38
	v_fmac_f32_e32 v13, v54, v38
	v_fmac_f32_e32 v10, v18, v38
	v_fmac_f32_e32 v11, v63, v39
	v_fmac_f32_e32 v14, v47, v39
	v_fmac_f32_e32 v13, v55, v39
	v_fmac_f32_e32 v10, v19, v39
	s_andn2_b32 exec_lo, exec_lo, s8
	s_cbranch_execnz .LBB2_21
; %bb.22:
	s_or_b32 exec_lo, exec_lo, s8
.LBB2_23:
	s_or_b32 exec_lo, exec_lo, s3
.LBB2_24:
	s_or_b32 exec_lo, exec_lo, s1
	s_cbranch_execz .LBB2_26
	s_branch .LBB2_37
.LBB2_25:
                                        ; implicit-def: $vgpr10
                                        ; implicit-def: $vgpr13
                                        ; implicit-def: $vgpr14
                                        ; implicit-def: $vgpr11
.LBB2_26:
	v_mov_b32_e32 v10, 0
	v_mov_b32_e32 v13, 0
	;; [unrolled: 1-line block ×4, first 2 shown]
	s_and_saveexec_b32 s1, s0
	s_cbranch_execz .LBB2_36
; %bb.27:
	v_add_nc_u32_e32 v1, v15, v9
	v_not_b32_e32 v5, v15
	v_mov_b32_e32 v11, 0
	v_mov_b32_e32 v14, 0
	;; [unrolled: 1-line block ×3, first 2 shown]
	v_subrev_nc_u32_e32 v1, s18, v1
	v_mov_b32_e32 v10, 0
	s_mov_b32 s0, exec_lo
	v_add_nc_u32_e32 v1, 16, v1
	v_max_i32_e32 v1, v1, v12
	v_add3_u32 v1, s18, v1, v5
	v_sub_nc_u32_e32 v5, v1, v9
	v_and_b32_e32 v1, 48, v5
	v_cmpx_ne_u32_e32 48, v1
	s_cbranch_execz .LBB2_31
; %bb.28:
	v_lshrrev_b32_e32 v1, 4, v5
	v_mov_b32_e32 v10, 0
	v_mov_b32_e32 v13, 0
	v_mov_b32_e32 v14, 0
	v_mov_b32_e32 v11, 0
	v_add_nc_u32_e32 v1, 1, v1
	s_mov_b32 s3, 0
	v_and_b32_e32 v1, 3, v1
	v_sub_nc_u32_e32 v6, 0, v1
.LBB2_29:                               ; =>This Inner Loop Header: Depth=1
	v_ashrrev_i32_e32 v1, 31, v0
	v_add_co_u32 v6, s8, v6, 1
	s_or_b32 s3, s8, s3
	v_lshlrev_b64 v[7:8], 2, v[0:1]
	v_add_nc_u32_e32 v0, 16, v0
	v_add_co_u32 v7, vcc_lo, s12, v7
	v_add_co_ci_u32_e64 v8, null, s13, v8, vcc_lo
	global_load_dword v1, v[7:8], off
	s_clause 0x1
	global_load_dwordx4 v[15:18], v[2:3], off offset:16
	global_load_dwordx4 v[19:22], v[2:3], off
	s_waitcnt vmcnt(2)
	v_subrev_nc_u32_e32 v1, s18, v1
	v_lshlrev_b32_e32 v7, 2, v1
	v_ashrrev_i32_e32 v8, 31, v7
	v_lshlrev_b64 v[7:8], 2, v[7:8]
	v_add_co_u32 v7, vcc_lo, s6, v7
	v_add_co_ci_u32_e64 v8, null, s7, v8, vcc_lo
	global_load_dwordx4 v[23:26], v[7:8], off
	s_clause 0x1
	global_load_dwordx4 v[27:30], v[2:3], off offset:32
	global_load_dwordx4 v[31:34], v[2:3], off offset:48
	v_add_co_u32 v2, vcc_lo, 0x400, v2
	v_add_co_ci_u32_e64 v3, null, 0, v3, vcc_lo
	s_waitcnt vmcnt(2)
	v_fmac_f32_e32 v11, v19, v23
	v_fmac_f32_e32 v14, v20, v23
	;; [unrolled: 1-line block ×8, first 2 shown]
	s_waitcnt vmcnt(1)
	v_fmac_f32_e32 v11, v27, v25
	v_fmac_f32_e32 v14, v28, v25
	;; [unrolled: 1-line block ×4, first 2 shown]
	s_waitcnt vmcnt(0)
	v_fmac_f32_e32 v11, v31, v26
	v_fmac_f32_e32 v14, v32, v26
	;; [unrolled: 1-line block ×4, first 2 shown]
	s_andn2_b32 exec_lo, exec_lo, s3
	s_cbranch_execnz .LBB2_29
; %bb.30:
	s_or_b32 exec_lo, exec_lo, s3
.LBB2_31:
	s_or_b32 exec_lo, exec_lo, s0
	s_mov_b32 s0, exec_lo
	v_cmpx_lt_u32_e32 47, v5
	s_cbranch_execz .LBB2_35
; %bb.32:
	s_mov_b32 s3, 0
.LBB2_33:                               ; =>This Inner Loop Header: Depth=1
	v_ashrrev_i32_e32 v1, 31, v0
	v_add_co_u32 v59, vcc_lo, 0x800, v2
	v_add_co_ci_u32_e64 v60, null, 0, v3, vcc_lo
	v_lshlrev_b64 v[47:48], 2, v[0:1]
	s_clause 0x7
	global_load_dwordx4 v[5:8], v[2:3], off offset:48
	global_load_dwordx4 v[15:18], v[2:3], off offset:32
	;; [unrolled: 1-line block ×3, first 2 shown]
	global_load_dwordx4 v[23:26], v[2:3], off
	global_load_dwordx4 v[27:30], v[2:3], off offset:1072
	global_load_dwordx4 v[31:34], v[2:3], off offset:1056
	;; [unrolled: 1-line block ×4, first 2 shown]
	v_add_nc_u32_e32 v0, 64, v0
	global_load_dwordx4 v[43:46], v[59:60], off
	v_add_co_u32 v47, vcc_lo, s12, v47
	v_add_co_ci_u32_e64 v48, null, s13, v48, vcc_lo
	s_clause 0x3
	global_load_dword v1, v[47:48], off
	global_load_dword v49, v[47:48], off offset:64
	global_load_dword v55, v[47:48], off offset:128
	;; [unrolled: 1-line block ×3, first 2 shown]
	s_waitcnt vmcnt(3)
	v_subrev_nc_u32_e32 v1, s18, v1
	s_waitcnt vmcnt(2)
	v_subrev_nc_u32_e32 v48, s18, v49
	;; [unrolled: 2-line block ×3, first 2 shown]
	v_lshlrev_b32_e32 v47, 2, v1
	v_lshlrev_b32_e32 v49, 2, v48
	v_subrev_nc_u32_e32 v1, s18, v55
	v_lshlrev_b32_e32 v57, 2, v57
	v_ashrrev_i32_e32 v48, 31, v47
	v_ashrrev_i32_e32 v50, 31, v49
	v_lshlrev_b32_e32 v55, 2, v1
	v_ashrrev_i32_e32 v58, 31, v57
	v_lshlrev_b64 v[47:48], 2, v[47:48]
	v_lshlrev_b64 v[49:50], 2, v[49:50]
	v_ashrrev_i32_e32 v56, 31, v55
	v_add_co_u32 v47, vcc_lo, s6, v47
	v_add_co_ci_u32_e64 v48, null, s7, v48, vcc_lo
	v_add_co_u32 v51, vcc_lo, s6, v49
	v_add_co_ci_u32_e64 v52, null, s7, v50, vcc_lo
	s_clause 0x1
	global_load_dwordx4 v[47:50], v[47:48], off
	global_load_dwordx4 v[51:54], v[51:52], off
	v_lshlrev_b64 v[55:56], 2, v[55:56]
	v_add_co_u32 v55, vcc_lo, s6, v55
	v_add_co_ci_u32_e64 v56, null, s7, v56, vcc_lo
	s_waitcnt vmcnt(1)
	v_fmac_f32_e32 v11, v23, v47
	v_fmac_f32_e32 v14, v24, v47
	v_fmac_f32_e32 v13, v25, v47
	v_fmac_f32_e32 v10, v26, v47
	global_load_dwordx4 v[23:26], v[59:60], off offset:48
	v_fmac_f32_e32 v11, v19, v48
	v_fmac_f32_e32 v14, v20, v48
	v_fmac_f32_e32 v13, v21, v48
	v_fmac_f32_e32 v10, v22, v48
	global_load_dwordx4 v[19:22], v[59:60], off offset:32
	;; [unrolled: 5-line block ×3, first 2 shown]
	v_fmac_f32_e32 v11, v5, v50
	v_fmac_f32_e32 v14, v6, v50
	;; [unrolled: 1-line block ×4, first 2 shown]
	s_clause 0x1
	global_load_dwordx4 v[5:8], v[59:60], off offset:1040
	global_load_dwordx4 v[47:50], v[59:60], off offset:1024
	s_waitcnt vmcnt(5)
	v_fmac_f32_e32 v11, v39, v51
	v_fmac_f32_e32 v14, v40, v51
	;; [unrolled: 1-line block ×4, first 2 shown]
	global_load_dwordx4 v[39:42], v[55:56], off
	v_lshlrev_b64 v[55:56], 2, v[57:58]
	v_fmac_f32_e32 v11, v35, v52
	v_fmac_f32_e32 v14, v36, v52
	v_fmac_f32_e32 v13, v37, v52
	v_fmac_f32_e32 v10, v38, v52
	global_load_dwordx4 v[35:38], v[59:60], off offset:1056
	v_add_co_u32 v55, vcc_lo, s6, v55
	v_add_co_ci_u32_e64 v56, null, s7, v56, vcc_lo
	v_fmac_f32_e32 v11, v31, v53
	v_fmac_f32_e32 v14, v32, v53
	v_fmac_f32_e32 v13, v33, v53
	global_load_dwordx4 v[55:58], v[55:56], off
	v_fmac_f32_e32 v10, v34, v53
	global_load_dwordx4 v[31:34], v[59:60], off offset:1072
	v_fmac_f32_e32 v11, v27, v54
	v_fmac_f32_e32 v14, v28, v54
	;; [unrolled: 1-line block ×4, first 2 shown]
	v_add_co_u32 v2, vcc_lo, 0x1000, v2
	v_add_co_ci_u32_e64 v3, null, 0, v3, vcc_lo
	v_cmp_ge_i32_e32 vcc_lo, v0, v12
	s_or_b32 s3, vcc_lo, s3
	s_waitcnt vmcnt(3)
	v_fmac_f32_e32 v11, v43, v39
	v_fmac_f32_e32 v14, v44, v39
	;; [unrolled: 1-line block ×16, first 2 shown]
	s_waitcnt vmcnt(1)
	v_fmac_f32_e32 v11, v47, v55
	v_fmac_f32_e32 v14, v48, v55
	;; [unrolled: 1-line block ×12, first 2 shown]
	s_waitcnt vmcnt(0)
	v_fmac_f32_e32 v11, v31, v58
	v_fmac_f32_e32 v14, v32, v58
	;; [unrolled: 1-line block ×4, first 2 shown]
	s_andn2_b32 exec_lo, exec_lo, s3
	s_cbranch_execnz .LBB2_33
; %bb.34:
	s_or_b32 exec_lo, exec_lo, s3
.LBB2_35:
	s_or_b32 exec_lo, exec_lo, s0
.LBB2_36:
	s_or_b32 exec_lo, exec_lo, s1
.LBB2_37:
	v_mbcnt_lo_u32_b32 v0, -1, 0
	s_mov_b32 s3, -1
	v_xor_b32_e32 v1, 8, v0
	v_xor_b32_e32 v6, 4, v0
	v_cmp_gt_i32_e32 vcc_lo, 32, v1
	v_cndmask_b32_e32 v1, v0, v1, vcc_lo
	v_cmp_gt_i32_e32 vcc_lo, 32, v6
	v_lshlrev_b32_e32 v1, 2, v1
	v_cndmask_b32_e32 v6, v0, v6, vcc_lo
	ds_bpermute_b32 v2, v1, v11
	ds_bpermute_b32 v3, v1, v14
	;; [unrolled: 1-line block ×4, first 2 shown]
	v_lshlrev_b32_e32 v6, 2, v6
	s_waitcnt lgkmcnt(3)
	v_add_f32_e32 v2, v11, v2
	s_waitcnt lgkmcnt(2)
	v_add_f32_e32 v3, v14, v3
	;; [unrolled: 2-line block ×4, first 2 shown]
	v_xor_b32_e32 v11, 2, v0
	ds_bpermute_b32 v7, v6, v2
	ds_bpermute_b32 v8, v6, v3
	;; [unrolled: 1-line block ×4, first 2 shown]
	v_cmp_gt_i32_e32 vcc_lo, 32, v11
	v_cndmask_b32_e32 v11, v0, v11, vcc_lo
	v_lshlrev_b32_e32 v11, 2, v11
	s_waitcnt lgkmcnt(3)
	v_add_f32_e32 v2, v2, v7
	s_waitcnt lgkmcnt(2)
	v_add_f32_e32 v3, v3, v8
	;; [unrolled: 2-line block ×4, first 2 shown]
	ds_bpermute_b32 v1, v11, v2
	ds_bpermute_b32 v7, v11, v3
	;; [unrolled: 1-line block ×4, first 2 shown]
	v_xor_b32_e32 v11, 1, v0
	v_cmp_gt_i32_e32 vcc_lo, 32, v11
	v_cndmask_b32_e32 v0, v0, v11, vcc_lo
	v_cmp_eq_u32_e32 vcc_lo, 15, v9
	v_lshlrev_b32_e32 v11, 2, v0
	s_waitcnt lgkmcnt(3)
	v_add_f32_e32 v0, v2, v1
	s_waitcnt lgkmcnt(2)
	v_add_f32_e32 v1, v3, v7
	;; [unrolled: 2-line block ×4, first 2 shown]
	ds_bpermute_b32 v5, v11, v0
	ds_bpermute_b32 v6, v11, v1
	;; [unrolled: 1-line block ×4, first 2 shown]
	s_and_b32 exec_lo, exec_lo, vcc_lo
	s_cbranch_execz .LBB2_10
; %bb.38:
	s_load_dwordx2 s[0:1], s[4:5], 0x50
	s_waitcnt lgkmcnt(0)
	v_add_f32_e32 v0, v0, v5
	v_add_f32_e32 v1, v1, v6
	v_add_f32_e32 v2, v2, v7
	v_add_f32_e32 v3, v3, v8
	v_cmp_eq_f32_e64 s4, s2, 0
	v_mul_f32_e32 v0, s16, v0
	v_mul_f32_e32 v1, s16, v1
	;; [unrolled: 1-line block ×4, first 2 shown]
	v_lshlrev_b32_e32 v4, 2, v4
	s_and_b32 vcc_lo, exec_lo, s4
	s_cbranch_vccz .LBB2_40
; %bb.39:
	v_ashrrev_i32_e32 v5, 31, v4
	s_mov_b32 s3, 0
	v_lshlrev_b64 v[5:6], 2, v[4:5]
	v_add_co_u32 v5, vcc_lo, s0, v5
	v_add_co_ci_u32_e64 v6, null, s1, v6, vcc_lo
	global_store_dwordx4 v[5:6], v[0:3], off
.LBB2_40:
	s_andn2_b32 vcc_lo, exec_lo, s3
	s_cbranch_vccnz .LBB2_10
; %bb.41:
	v_ashrrev_i32_e32 v5, 31, v4
	v_lshlrev_b64 v[4:5], 2, v[4:5]
	v_add_co_u32 v8, vcc_lo, s0, v4
	v_add_co_ci_u32_e64 v9, null, s1, v5, vcc_lo
	global_load_dwordx4 v[4:7], v[8:9], off
	s_waitcnt vmcnt(0)
	v_fmac_f32_e32 v0, s2, v4
	v_fmac_f32_e32 v1, s2, v5
	;; [unrolled: 1-line block ×4, first 2 shown]
	global_store_dwordx4 v[8:9], v[0:3], off
	s_endpgm
	.section	.rodata,"a",@progbits
	.p2align	6, 0x0
	.amdhsa_kernel _ZN9rocsparseL18bsrxmvn_4x4_kernelILj128ELj16EfiifffEEvT3_20rocsparse_direction_NS_24const_host_device_scalarIT1_EES1_PKS1_PKT2_SA_S7_PKT4_PKT5_S5_PT6_21rocsparse_index_base_b
		.amdhsa_group_segment_fixed_size 0
		.amdhsa_private_segment_fixed_size 0
		.amdhsa_kernarg_size 96
		.amdhsa_user_sgpr_count 6
		.amdhsa_user_sgpr_private_segment_buffer 1
		.amdhsa_user_sgpr_dispatch_ptr 0
		.amdhsa_user_sgpr_queue_ptr 0
		.amdhsa_user_sgpr_kernarg_segment_ptr 1
		.amdhsa_user_sgpr_dispatch_id 0
		.amdhsa_user_sgpr_flat_scratch_init 0
		.amdhsa_user_sgpr_private_segment_size 0
		.amdhsa_wavefront_size32 1
		.amdhsa_uses_dynamic_stack 0
		.amdhsa_system_sgpr_private_segment_wavefront_offset 0
		.amdhsa_system_sgpr_workgroup_id_x 1
		.amdhsa_system_sgpr_workgroup_id_y 0
		.amdhsa_system_sgpr_workgroup_id_z 0
		.amdhsa_system_sgpr_workgroup_info 0
		.amdhsa_system_vgpr_workitem_id 0
		.amdhsa_next_free_vgpr 66
		.amdhsa_next_free_sgpr 20
		.amdhsa_reserve_vcc 1
		.amdhsa_reserve_flat_scratch 0
		.amdhsa_float_round_mode_32 0
		.amdhsa_float_round_mode_16_64 0
		.amdhsa_float_denorm_mode_32 3
		.amdhsa_float_denorm_mode_16_64 3
		.amdhsa_dx10_clamp 1
		.amdhsa_ieee_mode 1
		.amdhsa_fp16_overflow 0
		.amdhsa_workgroup_processor_mode 1
		.amdhsa_memory_ordered 1
		.amdhsa_forward_progress 1
		.amdhsa_shared_vgpr_count 0
		.amdhsa_exception_fp_ieee_invalid_op 0
		.amdhsa_exception_fp_denorm_src 0
		.amdhsa_exception_fp_ieee_div_zero 0
		.amdhsa_exception_fp_ieee_overflow 0
		.amdhsa_exception_fp_ieee_underflow 0
		.amdhsa_exception_fp_ieee_inexact 0
		.amdhsa_exception_int_div_zero 0
	.end_amdhsa_kernel
	.section	.text._ZN9rocsparseL18bsrxmvn_4x4_kernelILj128ELj16EfiifffEEvT3_20rocsparse_direction_NS_24const_host_device_scalarIT1_EES1_PKS1_PKT2_SA_S7_PKT4_PKT5_S5_PT6_21rocsparse_index_base_b,"axG",@progbits,_ZN9rocsparseL18bsrxmvn_4x4_kernelILj128ELj16EfiifffEEvT3_20rocsparse_direction_NS_24const_host_device_scalarIT1_EES1_PKS1_PKT2_SA_S7_PKT4_PKT5_S5_PT6_21rocsparse_index_base_b,comdat
.Lfunc_end2:
	.size	_ZN9rocsparseL18bsrxmvn_4x4_kernelILj128ELj16EfiifffEEvT3_20rocsparse_direction_NS_24const_host_device_scalarIT1_EES1_PKS1_PKT2_SA_S7_PKT4_PKT5_S5_PT6_21rocsparse_index_base_b, .Lfunc_end2-_ZN9rocsparseL18bsrxmvn_4x4_kernelILj128ELj16EfiifffEEvT3_20rocsparse_direction_NS_24const_host_device_scalarIT1_EES1_PKS1_PKT2_SA_S7_PKT4_PKT5_S5_PT6_21rocsparse_index_base_b
                                        ; -- End function
	.set _ZN9rocsparseL18bsrxmvn_4x4_kernelILj128ELj16EfiifffEEvT3_20rocsparse_direction_NS_24const_host_device_scalarIT1_EES1_PKS1_PKT2_SA_S7_PKT4_PKT5_S5_PT6_21rocsparse_index_base_b.num_vgpr, 66
	.set _ZN9rocsparseL18bsrxmvn_4x4_kernelILj128ELj16EfiifffEEvT3_20rocsparse_direction_NS_24const_host_device_scalarIT1_EES1_PKS1_PKT2_SA_S7_PKT4_PKT5_S5_PT6_21rocsparse_index_base_b.num_agpr, 0
	.set _ZN9rocsparseL18bsrxmvn_4x4_kernelILj128ELj16EfiifffEEvT3_20rocsparse_direction_NS_24const_host_device_scalarIT1_EES1_PKS1_PKT2_SA_S7_PKT4_PKT5_S5_PT6_21rocsparse_index_base_b.numbered_sgpr, 20
	.set _ZN9rocsparseL18bsrxmvn_4x4_kernelILj128ELj16EfiifffEEvT3_20rocsparse_direction_NS_24const_host_device_scalarIT1_EES1_PKS1_PKT2_SA_S7_PKT4_PKT5_S5_PT6_21rocsparse_index_base_b.num_named_barrier, 0
	.set _ZN9rocsparseL18bsrxmvn_4x4_kernelILj128ELj16EfiifffEEvT3_20rocsparse_direction_NS_24const_host_device_scalarIT1_EES1_PKS1_PKT2_SA_S7_PKT4_PKT5_S5_PT6_21rocsparse_index_base_b.private_seg_size, 0
	.set _ZN9rocsparseL18bsrxmvn_4x4_kernelILj128ELj16EfiifffEEvT3_20rocsparse_direction_NS_24const_host_device_scalarIT1_EES1_PKS1_PKT2_SA_S7_PKT4_PKT5_S5_PT6_21rocsparse_index_base_b.uses_vcc, 1
	.set _ZN9rocsparseL18bsrxmvn_4x4_kernelILj128ELj16EfiifffEEvT3_20rocsparse_direction_NS_24const_host_device_scalarIT1_EES1_PKS1_PKT2_SA_S7_PKT4_PKT5_S5_PT6_21rocsparse_index_base_b.uses_flat_scratch, 0
	.set _ZN9rocsparseL18bsrxmvn_4x4_kernelILj128ELj16EfiifffEEvT3_20rocsparse_direction_NS_24const_host_device_scalarIT1_EES1_PKS1_PKT2_SA_S7_PKT4_PKT5_S5_PT6_21rocsparse_index_base_b.has_dyn_sized_stack, 0
	.set _ZN9rocsparseL18bsrxmvn_4x4_kernelILj128ELj16EfiifffEEvT3_20rocsparse_direction_NS_24const_host_device_scalarIT1_EES1_PKS1_PKT2_SA_S7_PKT4_PKT5_S5_PT6_21rocsparse_index_base_b.has_recursion, 0
	.set _ZN9rocsparseL18bsrxmvn_4x4_kernelILj128ELj16EfiifffEEvT3_20rocsparse_direction_NS_24const_host_device_scalarIT1_EES1_PKS1_PKT2_SA_S7_PKT4_PKT5_S5_PT6_21rocsparse_index_base_b.has_indirect_call, 0
	.section	.AMDGPU.csdata,"",@progbits
; Kernel info:
; codeLenInByte = 3260
; TotalNumSgprs: 22
; NumVgprs: 66
; ScratchSize: 0
; MemoryBound: 0
; FloatMode: 240
; IeeeMode: 1
; LDSByteSize: 0 bytes/workgroup (compile time only)
; SGPRBlocks: 0
; VGPRBlocks: 8
; NumSGPRsForWavesPerEU: 22
; NumVGPRsForWavesPerEU: 66
; Occupancy: 12
; WaveLimiterHint : 1
; COMPUTE_PGM_RSRC2:SCRATCH_EN: 0
; COMPUTE_PGM_RSRC2:USER_SGPR: 6
; COMPUTE_PGM_RSRC2:TRAP_HANDLER: 0
; COMPUTE_PGM_RSRC2:TGID_X_EN: 1
; COMPUTE_PGM_RSRC2:TGID_Y_EN: 0
; COMPUTE_PGM_RSRC2:TGID_Z_EN: 0
; COMPUTE_PGM_RSRC2:TIDIG_COMP_CNT: 0
	.section	.text._ZN9rocsparseL18bsrxmvn_4x4_kernelILj128ELj32EfiifffEEvT3_20rocsparse_direction_NS_24const_host_device_scalarIT1_EES1_PKS1_PKT2_SA_S7_PKT4_PKT5_S5_PT6_21rocsparse_index_base_b,"axG",@progbits,_ZN9rocsparseL18bsrxmvn_4x4_kernelILj128ELj32EfiifffEEvT3_20rocsparse_direction_NS_24const_host_device_scalarIT1_EES1_PKS1_PKT2_SA_S7_PKT4_PKT5_S5_PT6_21rocsparse_index_base_b,comdat
	.globl	_ZN9rocsparseL18bsrxmvn_4x4_kernelILj128ELj32EfiifffEEvT3_20rocsparse_direction_NS_24const_host_device_scalarIT1_EES1_PKS1_PKT2_SA_S7_PKT4_PKT5_S5_PT6_21rocsparse_index_base_b ; -- Begin function _ZN9rocsparseL18bsrxmvn_4x4_kernelILj128ELj32EfiifffEEvT3_20rocsparse_direction_NS_24const_host_device_scalarIT1_EES1_PKS1_PKT2_SA_S7_PKT4_PKT5_S5_PT6_21rocsparse_index_base_b
	.p2align	8
	.type	_ZN9rocsparseL18bsrxmvn_4x4_kernelILj128ELj32EfiifffEEvT3_20rocsparse_direction_NS_24const_host_device_scalarIT1_EES1_PKS1_PKT2_SA_S7_PKT4_PKT5_S5_PT6_21rocsparse_index_base_b,@function
_ZN9rocsparseL18bsrxmvn_4x4_kernelILj128ELj32EfiifffEEvT3_20rocsparse_direction_NS_24const_host_device_scalarIT1_EES1_PKS1_PKT2_SA_S7_PKT4_PKT5_S5_PT6_21rocsparse_index_base_b: ; @_ZN9rocsparseL18bsrxmvn_4x4_kernelILj128ELj32EfiifffEEvT3_20rocsparse_direction_NS_24const_host_device_scalarIT1_EES1_PKS1_PKT2_SA_S7_PKT4_PKT5_S5_PT6_21rocsparse_index_base_b
; %bb.0:
	s_clause 0x2
	s_load_dwordx2 s[18:19], s[4:5], 0x58
	s_load_dwordx2 s[16:17], s[4:5], 0x8
	;; [unrolled: 1-line block ×3, first 2 shown]
	s_waitcnt lgkmcnt(0)
	s_bitcmp1_b32 s19, 0
	s_cselect_b32 s0, -1, 0
	s_and_b32 vcc_lo, exec_lo, s0
	s_xor_b32 s0, s0, -1
	s_cbranch_vccnz .LBB3_2
; %bb.1:
	s_load_dword s16, s[16:17], 0x0
.LBB3_2:
	s_andn2_b32 vcc_lo, exec_lo, s0
	s_cbranch_vccnz .LBB3_4
; %bb.3:
	s_load_dword s2, s[2:3], 0x0
.LBB3_4:
	s_waitcnt lgkmcnt(0)
	v_cmp_neq_f32_e64 s0, s16, 0
	v_cmp_neq_f32_e64 s1, s2, 1.0
	s_mov_b32 s3, 0
	s_or_b32 s0, s0, s1
	s_andn2_b32 vcc_lo, exec_lo, s0
	s_cbranch_vccnz .LBB3_10
; %bb.5:
	s_clause 0x1
	s_load_dwordx2 s[8:9], s[4:5], 0x18
	s_load_dwordx2 s[0:1], s[4:5], 0x0
	v_lshrrev_b32_e32 v1, 5, v0
	v_lshl_or_b32 v4, s6, 2, v1
	s_waitcnt lgkmcnt(0)
	s_cmp_lg_u64 s[8:9], 0
	s_cbranch_scc0 .LBB3_11
; %bb.6:
	s_load_dword s3, s[4:5], 0x10
	s_mov_b32 s6, 0
                                        ; implicit-def: $vgpr1
	s_waitcnt lgkmcnt(0)
	v_cmp_gt_i32_e32 vcc_lo, s3, v4
	s_mov_b32 s3, 0
	s_and_saveexec_b32 s7, vcc_lo
	s_xor_b32 s7, exec_lo, s7
	s_cbranch_execz .LBB3_8
; %bb.7:
	v_ashrrev_i32_e32 v5, 31, v4
	s_mov_b32 s3, exec_lo
	v_lshlrev_b64 v[1:2], 2, v[4:5]
	v_add_co_u32 v1, vcc_lo, s8, v1
	v_add_co_ci_u32_e64 v2, null, s9, v2, vcc_lo
	global_load_dword v1, v[1:2], off
	s_waitcnt vmcnt(0)
	v_subrev_nc_u32_e32 v1, s18, v1
.LBB3_8:
	s_or_b32 exec_lo, exec_lo, s7
	s_and_b32 vcc_lo, exec_lo, s6
	s_cbranch_vccz .LBB3_12
.LBB3_9:
	v_cmp_gt_i32_e32 vcc_lo, s0, v4
	s_andn2_b32 s0, s3, exec_lo
	s_and_b32 s3, vcc_lo, exec_lo
	s_or_b32 s3, s0, s3
	s_and_saveexec_b32 s0, s3
	s_cbranch_execnz .LBB3_13
.LBB3_10:
	s_endpgm
.LBB3_11:
                                        ; implicit-def: $vgpr1
	s_cbranch_execnz .LBB3_9
.LBB3_12:
	v_mov_b32_e32 v4, v1
	s_and_saveexec_b32 s0, s3
	s_cbranch_execz .LBB3_10
.LBB3_13:
	s_load_dwordx8 s[8:15], s[4:5], 0x20
	v_ashrrev_i32_e32 v5, 31, v4
	v_and_b32_e32 v9, 31, v0
	s_load_dwordx2 s[6:7], s[4:5], 0x40
	v_lshlrev_b64 v[1:2], 2, v[4:5]
	s_waitcnt lgkmcnt(0)
	v_add_co_u32 v5, vcc_lo, s8, v1
	v_add_co_ci_u32_e64 v6, null, s9, v2, vcc_lo
	v_add_co_u32 v1, vcc_lo, s10, v1
	v_add_co_ci_u32_e64 v2, null, s11, v2, vcc_lo
	global_load_dword v15, v[5:6], off
	v_add_co_u32 v3, vcc_lo, v5, 4
	v_add_co_ci_u32_e64 v5, null, 0, v6, vcc_lo
	s_cmp_eq_u64 s[10:11], 0
	s_cselect_b32 vcc_lo, -1, 0
	s_cmp_eq_u32 s1, 1
	v_cndmask_b32_e32 v2, v2, v5, vcc_lo
	v_cndmask_b32_e32 v1, v1, v3, vcc_lo
	global_load_dword v5, v[1:2], off
	s_waitcnt vmcnt(1)
	v_subrev_nc_u32_e32 v0, s18, v15
	v_add_nc_u32_e32 v0, v0, v9
	v_ashrrev_i32_e32 v1, 31, v0
	s_waitcnt vmcnt(0)
	v_subrev_nc_u32_e32 v14, s18, v5
	v_lshlrev_b64 v[2:3], 6, v[0:1]
	v_cmp_lt_i32_e64 s0, v0, v14
	v_add_co_u32 v2, vcc_lo, s14, v2
	v_add_co_ci_u32_e64 v3, null, s15, v3, vcc_lo
	s_cbranch_scc1 .LBB3_25
; %bb.14:
	v_mov_b32_e32 v10, 0
	v_mov_b32_e32 v12, 0
	;; [unrolled: 1-line block ×4, first 2 shown]
	s_and_saveexec_b32 s1, s0
	s_cbranch_execz .LBB3_24
; %bb.15:
	v_add_nc_u32_e32 v1, v15, v9
	v_not_b32_e32 v5, v15
	v_mov_b32_e32 v8, v3
	v_mov_b32_e32 v11, 0
	;; [unrolled: 1-line block ×3, first 2 shown]
	v_subrev_nc_u32_e32 v1, s18, v1
	v_mov_b32_e32 v12, 0
	v_mov_b32_e32 v10, 0
	;; [unrolled: 1-line block ×3, first 2 shown]
	s_mov_b32 s3, exec_lo
	v_add_nc_u32_e32 v1, 32, v1
	v_max_i32_e32 v1, v1, v14
	v_add3_u32 v1, s18, v1, v5
	v_mov_b32_e32 v5, v0
	v_sub_nc_u32_e32 v1, v1, v9
	v_and_b32_e32 v6, 0x60, v1
	v_cmpx_ne_u32_e32 0x60, v6
	s_cbranch_execz .LBB3_19
; %bb.16:
	v_lshrrev_b32_e32 v5, 5, v1
	v_mov_b32_e32 v8, v3
	v_mov_b32_e32 v10, 0
	;; [unrolled: 1-line block ×4, first 2 shown]
	v_add_nc_u32_e32 v5, 1, v5
	v_mov_b32_e32 v13, 0
	v_mov_b32_e32 v11, 0
	s_mov_b32 s8, 0
	v_and_b32_e32 v6, 3, v5
	v_mov_b32_e32 v5, v0
	v_sub_nc_u32_e32 v16, 0, v6
.LBB3_17:                               ; =>This Inner Loop Header: Depth=1
	v_ashrrev_i32_e32 v6, 31, v5
	v_add_co_u32 v16, s9, v16, 1
	s_or_b32 s8, s9, s8
	v_lshlrev_b64 v[17:18], 2, v[5:6]
	v_add_nc_u32_e32 v5, 32, v5
	v_add_co_u32 v17, vcc_lo, s12, v17
	v_add_co_ci_u32_e64 v18, null, s13, v18, vcc_lo
	global_load_dword v6, v[17:18], off
	s_clause 0x3
	global_load_dwordx4 v[17:20], v[7:8], off offset:48
	global_load_dwordx4 v[21:24], v[7:8], off offset:32
	;; [unrolled: 1-line block ×3, first 2 shown]
	global_load_dwordx4 v[29:32], v[7:8], off
	s_waitcnt vmcnt(4)
	v_subrev_nc_u32_e32 v6, s18, v6
	v_lshlrev_b32_e32 v33, 2, v6
	v_ashrrev_i32_e32 v34, 31, v33
	v_lshlrev_b64 v[33:34], 2, v[33:34]
	v_add_co_u32 v33, vcc_lo, s6, v33
	v_add_co_ci_u32_e64 v34, null, s7, v34, vcc_lo
	v_add_co_u32 v7, vcc_lo, 0x800, v7
	v_add_co_ci_u32_e64 v8, null, 0, v8, vcc_lo
	global_load_dwordx4 v[33:36], v[33:34], off
	s_waitcnt vmcnt(0)
	v_fmac_f32_e32 v11, v29, v33
	v_fmac_f32_e32 v13, v25, v33
	;; [unrolled: 1-line block ×16, first 2 shown]
	s_andn2_b32 exec_lo, exec_lo, s8
	s_cbranch_execnz .LBB3_17
; %bb.18:
	s_or_b32 exec_lo, exec_lo, s8
.LBB3_19:
	s_or_b32 exec_lo, exec_lo, s3
	s_mov_b32 s3, exec_lo
	v_cmpx_lt_u32_e32 0x5f, v1
	s_cbranch_execz .LBB3_23
; %bb.20:
	s_mov_b32 s8, 0
.LBB3_21:                               ; =>This Inner Loop Header: Depth=1
	v_ashrrev_i32_e32 v6, 31, v5
	v_add_co_u32 v40, vcc_lo, 0x800, v7
	v_add_co_ci_u32_e64 v41, null, 0, v8, vcc_lo
	v_add_co_u32 v48, vcc_lo, v7, 0x1000
	v_lshlrev_b64 v[56:57], 2, v[5:6]
	v_add_co_ci_u32_e64 v49, null, 0, v8, vcc_lo
	v_add_co_u32 v60, vcc_lo, 0x1000, v7
	v_add_co_ci_u32_e64 v61, null, 0, v8, vcc_lo
	v_add_co_u32 v62, vcc_lo, 0x1800, v7
	;; [unrolled: 2-line block ×3, first 2 shown]
	v_add_co_ci_u32_e64 v57, null, s13, v57, vcc_lo
	s_clause 0x9
	global_load_dwordx4 v[16:19], v[7:8], off offset:48
	global_load_dwordx4 v[20:23], v[7:8], off offset:32
	;; [unrolled: 1-line block ×3, first 2 shown]
	global_load_dwordx4 v[28:31], v[7:8], off
	global_load_dwordx4 v[32:35], v[40:41], off offset:48
	global_load_dwordx4 v[36:39], v[40:41], off offset:32
	global_load_dwordx4 v[40:43], v[40:41], off offset:16
	global_load_dwordx4 v[44:47], v[48:49], off offset:-2048
	global_load_dwordx4 v[48:51], v[48:49], off
	global_load_dwordx4 v[52:55], v[60:61], off offset:48
	s_clause 0x3
	global_load_dword v1, v[56:57], off
	global_load_dword v6, v[56:57], off offset:128
	global_load_dword v64, v[56:57], off offset:256
	;; [unrolled: 1-line block ×3, first 2 shown]
	v_add_nc_u32_e32 v5, 0x80, v5
	s_waitcnt vmcnt(3)
	v_subrev_nc_u32_e32 v1, s18, v1
	v_lshlrev_b32_e32 v56, 2, v1
	s_waitcnt vmcnt(2)
	v_subrev_nc_u32_e32 v1, s18, v6
	s_waitcnt vmcnt(0)
	v_subrev_nc_u32_e32 v6, s18, v65
	v_ashrrev_i32_e32 v57, 31, v56
	v_lshlrev_b64 v[56:57], 2, v[56:57]
	v_add_co_u32 v56, vcc_lo, s6, v56
	v_add_co_ci_u32_e64 v57, null, s7, v57, vcc_lo
	global_load_dwordx4 v[56:59], v[56:57], off
	s_waitcnt vmcnt(0)
	v_fmac_f32_e32 v11, v28, v56
	v_fmac_f32_e32 v13, v24, v56
	;; [unrolled: 1-line block ×4, first 2 shown]
	v_lshlrev_b32_e32 v56, 2, v1
	v_fmac_f32_e32 v11, v29, v57
	v_fmac_f32_e32 v13, v25, v57
	;; [unrolled: 1-line block ×4, first 2 shown]
	v_ashrrev_i32_e32 v57, 31, v56
	v_fmac_f32_e32 v11, v30, v58
	v_fmac_f32_e32 v13, v26, v58
	;; [unrolled: 1-line block ×4, first 2 shown]
	v_lshlrev_b64 v[56:57], 2, v[56:57]
	v_fmac_f32_e32 v11, v31, v59
	v_fmac_f32_e32 v13, v27, v59
	;; [unrolled: 1-line block ×4, first 2 shown]
	v_subrev_nc_u32_e32 v1, s18, v64
	v_add_co_u32 v56, vcc_lo, s6, v56
	v_add_co_ci_u32_e64 v57, null, s7, v57, vcc_lo
	v_lshlrev_b32_e32 v64, 2, v1
	s_clause 0x1
	global_load_dwordx4 v[28:31], v[60:61], off offset:32
	global_load_dwordx4 v[24:27], v[60:61], off offset:16
	global_load_dwordx4 v[56:59], v[56:57], off
	s_clause 0x1
	global_load_dwordx4 v[20:23], v[62:63], off offset:48
	global_load_dwordx4 v[16:19], v[62:63], off offset:32
	v_ashrrev_i32_e32 v65, 31, v64
	s_waitcnt vmcnt(2)
	v_fmac_f32_e32 v13, v40, v56
	v_lshlrev_b32_e32 v40, 2, v6
	v_fmac_f32_e32 v11, v44, v56
	v_fmac_f32_e32 v12, v36, v56
	;; [unrolled: 1-line block ×4, first 2 shown]
	v_ashrrev_i32_e32 v41, 31, v40
	v_fmac_f32_e32 v11, v45, v57
	v_fmac_f32_e32 v12, v37, v57
	;; [unrolled: 1-line block ×4, first 2 shown]
	v_lshlrev_b64 v[40:41], 2, v[40:41]
	v_fmac_f32_e32 v11, v46, v58
	v_fmac_f32_e32 v12, v38, v58
	;; [unrolled: 1-line block ×4, first 2 shown]
	v_lshlrev_b64 v[42:43], 2, v[64:65]
	v_fmac_f32_e32 v11, v47, v59
	s_clause 0x1
	global_load_dwordx4 v[44:47], v[62:63], off
	global_load_dwordx4 v[60:63], v[62:63], off offset:16
	v_fmac_f32_e32 v12, v39, v59
	v_fmac_f32_e32 v10, v35, v59
	v_add_co_u32 v42, vcc_lo, s6, v42
	v_add_co_ci_u32_e64 v43, null, s7, v43, vcc_lo
	v_add_co_u32 v64, vcc_lo, s6, v40
	v_add_co_ci_u32_e64 v65, null, s7, v41, vcc_lo
	global_load_dwordx4 v[40:43], v[42:43], off
	v_add_co_u32 v7, vcc_lo, 0x2000, v7
	global_load_dwordx4 v[36:39], v[64:65], off
	v_add_co_ci_u32_e64 v8, null, 0, v8, vcc_lo
	v_cmp_ge_i32_e32 vcc_lo, v5, v14
	s_or_b32 s8, vcc_lo, s8
	s_waitcnt vmcnt(1)
	v_fmac_f32_e32 v11, v48, v40
	v_fmac_f32_e32 v13, v24, v40
	;; [unrolled: 1-line block ×16, first 2 shown]
	s_waitcnt vmcnt(0)
	v_fmac_f32_e32 v11, v44, v36
	v_fmac_f32_e32 v13, v60, v36
	;; [unrolled: 1-line block ×16, first 2 shown]
	s_andn2_b32 exec_lo, exec_lo, s8
	s_cbranch_execnz .LBB3_21
; %bb.22:
	s_or_b32 exec_lo, exec_lo, s8
.LBB3_23:
	s_or_b32 exec_lo, exec_lo, s3
.LBB3_24:
	s_or_b32 exec_lo, exec_lo, s1
	s_cbranch_execz .LBB3_26
	s_branch .LBB3_37
.LBB3_25:
                                        ; implicit-def: $vgpr10
                                        ; implicit-def: $vgpr12
                                        ; implicit-def: $vgpr13
                                        ; implicit-def: $vgpr11
.LBB3_26:
	v_mov_b32_e32 v10, 0
	v_mov_b32_e32 v12, 0
	;; [unrolled: 1-line block ×4, first 2 shown]
	s_and_saveexec_b32 s1, s0
	s_cbranch_execz .LBB3_36
; %bb.27:
	v_add_nc_u32_e32 v1, v15, v9
	v_not_b32_e32 v5, v15
	v_mov_b32_e32 v11, 0
	v_mov_b32_e32 v13, 0
	;; [unrolled: 1-line block ×3, first 2 shown]
	v_subrev_nc_u32_e32 v1, s18, v1
	v_mov_b32_e32 v10, 0
	s_mov_b32 s0, exec_lo
	v_add_nc_u32_e32 v1, 32, v1
	v_max_i32_e32 v1, v1, v14
	v_add3_u32 v1, s18, v1, v5
	v_sub_nc_u32_e32 v5, v1, v9
	v_and_b32_e32 v1, 0x60, v5
	v_cmpx_ne_u32_e32 0x60, v1
	s_cbranch_execz .LBB3_31
; %bb.28:
	v_lshrrev_b32_e32 v1, 5, v5
	v_mov_b32_e32 v10, 0
	v_mov_b32_e32 v12, 0
	;; [unrolled: 1-line block ×4, first 2 shown]
	v_add_nc_u32_e32 v1, 1, v1
	s_mov_b32 s3, 0
	v_and_b32_e32 v1, 3, v1
	v_sub_nc_u32_e32 v6, 0, v1
.LBB3_29:                               ; =>This Inner Loop Header: Depth=1
	v_ashrrev_i32_e32 v1, 31, v0
	v_add_co_u32 v6, s8, v6, 1
	s_or_b32 s3, s8, s3
	v_lshlrev_b64 v[7:8], 2, v[0:1]
	v_add_nc_u32_e32 v0, 32, v0
	v_add_co_u32 v7, vcc_lo, s12, v7
	v_add_co_ci_u32_e64 v8, null, s13, v8, vcc_lo
	global_load_dword v1, v[7:8], off
	s_clause 0x1
	global_load_dwordx4 v[15:18], v[2:3], off offset:16
	global_load_dwordx4 v[19:22], v[2:3], off
	s_waitcnt vmcnt(2)
	v_subrev_nc_u32_e32 v1, s18, v1
	v_lshlrev_b32_e32 v7, 2, v1
	v_ashrrev_i32_e32 v8, 31, v7
	v_lshlrev_b64 v[7:8], 2, v[7:8]
	v_add_co_u32 v7, vcc_lo, s6, v7
	v_add_co_ci_u32_e64 v8, null, s7, v8, vcc_lo
	global_load_dwordx4 v[23:26], v[7:8], off
	s_clause 0x1
	global_load_dwordx4 v[27:30], v[2:3], off offset:32
	global_load_dwordx4 v[31:34], v[2:3], off offset:48
	v_add_co_u32 v2, vcc_lo, 0x800, v2
	v_add_co_ci_u32_e64 v3, null, 0, v3, vcc_lo
	s_waitcnt vmcnt(2)
	v_fmac_f32_e32 v11, v19, v23
	v_fmac_f32_e32 v13, v20, v23
	;; [unrolled: 1-line block ×8, first 2 shown]
	s_waitcnt vmcnt(1)
	v_fmac_f32_e32 v11, v27, v25
	v_fmac_f32_e32 v13, v28, v25
	;; [unrolled: 1-line block ×4, first 2 shown]
	s_waitcnt vmcnt(0)
	v_fmac_f32_e32 v11, v31, v26
	v_fmac_f32_e32 v13, v32, v26
	;; [unrolled: 1-line block ×4, first 2 shown]
	s_andn2_b32 exec_lo, exec_lo, s3
	s_cbranch_execnz .LBB3_29
; %bb.30:
	s_or_b32 exec_lo, exec_lo, s3
.LBB3_31:
	s_or_b32 exec_lo, exec_lo, s0
	s_mov_b32 s0, exec_lo
	v_cmpx_lt_u32_e32 0x5f, v5
	s_cbranch_execz .LBB3_35
; %bb.32:
	s_mov_b32 s3, 0
.LBB3_33:                               ; =>This Inner Loop Header: Depth=1
	v_ashrrev_i32_e32 v1, 31, v0
	v_add_co_u32 v35, vcc_lo, 0x800, v2
	v_add_co_ci_u32_e64 v36, null, 0, v3, vcc_lo
	v_add_co_u32 v43, vcc_lo, v2, 0x1000
	v_lshlrev_b64 v[51:52], 2, v[0:1]
	v_add_co_ci_u32_e64 v44, null, 0, v3, vcc_lo
	v_add_co_u32 v55, vcc_lo, 0x1000, v2
	v_add_co_ci_u32_e64 v56, null, 0, v3, vcc_lo
	v_add_co_u32 v59, vcc_lo, 0x1800, v2
	;; [unrolled: 2-line block ×3, first 2 shown]
	v_add_co_ci_u32_e64 v52, null, s13, v52, vcc_lo
	s_clause 0x9
	global_load_dwordx4 v[5:8], v[2:3], off offset:48
	global_load_dwordx4 v[15:18], v[2:3], off offset:32
	;; [unrolled: 1-line block ×3, first 2 shown]
	global_load_dwordx4 v[23:26], v[2:3], off
	global_load_dwordx4 v[27:30], v[35:36], off offset:48
	global_load_dwordx4 v[31:34], v[35:36], off offset:32
	;; [unrolled: 1-line block ×3, first 2 shown]
	global_load_dwordx4 v[39:42], v[43:44], off offset:-2048
	global_load_dwordx4 v[43:46], v[43:44], off
	global_load_dwordx4 v[47:50], v[55:56], off offset:48
	s_clause 0x3
	global_load_dword v1, v[51:52], off
	global_load_dword v57, v[51:52], off offset:128
	global_load_dword v58, v[51:52], off offset:256
	;; [unrolled: 1-line block ×3, first 2 shown]
	v_add_nc_u32_e32 v0, 0x80, v0
	s_waitcnt vmcnt(3)
	v_subrev_nc_u32_e32 v1, s18, v1
	v_lshlrev_b32_e32 v51, 2, v1
	s_waitcnt vmcnt(2)
	v_subrev_nc_u32_e32 v1, s18, v57
	v_ashrrev_i32_e32 v52, 31, v51
	v_lshlrev_b64 v[51:52], 2, v[51:52]
	v_add_co_u32 v51, vcc_lo, s6, v51
	v_add_co_ci_u32_e64 v52, null, s7, v52, vcc_lo
	global_load_dwordx4 v[51:54], v[51:52], off
	s_waitcnt vmcnt(0)
	v_fmac_f32_e32 v11, v23, v51
	v_fmac_f32_e32 v13, v24, v51
	;; [unrolled: 1-line block ×4, first 2 shown]
	v_lshlrev_b32_e32 v51, 2, v1
	v_fmac_f32_e32 v11, v19, v52
	v_fmac_f32_e32 v13, v20, v52
	;; [unrolled: 1-line block ×4, first 2 shown]
	v_subrev_nc_u32_e32 v52, s18, v58
	v_fmac_f32_e32 v11, v15, v53
	v_fmac_f32_e32 v13, v16, v53
	;; [unrolled: 1-line block ×4, first 2 shown]
	v_lshlrev_b32_e32 v53, 2, v52
	v_ashrrev_i32_e32 v52, 31, v51
	v_fmac_f32_e32 v11, v5, v54
	v_fmac_f32_e32 v13, v6, v54
	;; [unrolled: 1-line block ×4, first 2 shown]
	v_lshlrev_b64 v[5:6], 2, v[51:52]
	v_ashrrev_i32_e32 v54, 31, v53
	s_clause 0x1
	global_load_dwordx4 v[23:26], v[55:56], off offset:32
	global_load_dwordx4 v[19:22], v[55:56], off offset:16
	v_subrev_nc_u32_e32 v55, s18, v61
	global_load_dwordx4 v[15:18], v[59:60], off
	v_add_co_u32 v5, vcc_lo, s6, v5
	v_add_co_ci_u32_e64 v6, null, s7, v6, vcc_lo
	v_lshlrev_b64 v[51:52], 2, v[53:54]
	v_lshlrev_b32_e32 v55, 2, v55
	global_load_dwordx4 v[5:8], v[5:6], off
	v_add_co_u32 v51, vcc_lo, s6, v51
	v_add_co_ci_u32_e64 v52, null, s7, v52, vcc_lo
	v_ashrrev_i32_e32 v56, 31, v55
	global_load_dwordx4 v[51:54], v[51:52], off
	v_lshlrev_b64 v[55:56], 2, v[55:56]
	v_add_co_u32 v55, vcc_lo, s6, v55
	v_add_co_ci_u32_e64 v56, null, s7, v56, vcc_lo
	v_add_co_u32 v2, vcc_lo, 0x2000, v2
	v_add_co_ci_u32_e64 v3, null, 0, v3, vcc_lo
	global_load_dwordx4 v[55:58], v[55:56], off
	v_cmp_ge_i32_e32 vcc_lo, v0, v14
	s_or_b32 s3, vcc_lo, s3
	s_waitcnt vmcnt(2)
	v_fmac_f32_e32 v11, v39, v5
	v_fmac_f32_e32 v13, v40, v5
	v_fmac_f32_e32 v12, v41, v5
	v_fmac_f32_e32 v10, v42, v5
	global_load_dwordx4 v[39:42], v[59:60], off offset:16
	v_fmac_f32_e32 v11, v35, v6
	v_fmac_f32_e32 v13, v36, v6
	v_fmac_f32_e32 v12, v37, v6
	v_fmac_f32_e32 v10, v38, v6
	global_load_dwordx4 v[35:38], v[59:60], off offset:32
	;; [unrolled: 5-line block ×3, first 2 shown]
	v_fmac_f32_e32 v11, v27, v8
	v_fmac_f32_e32 v13, v28, v8
	;; [unrolled: 1-line block ×4, first 2 shown]
	s_waitcnt vmcnt(4)
	v_fmac_f32_e32 v11, v43, v51
	v_fmac_f32_e32 v13, v44, v51
	v_fmac_f32_e32 v12, v45, v51
	v_fmac_f32_e32 v10, v46, v51
	v_fmac_f32_e32 v11, v19, v52
	v_fmac_f32_e32 v13, v20, v52
	v_fmac_f32_e32 v12, v21, v52
	v_fmac_f32_e32 v10, v22, v52
	v_fmac_f32_e32 v11, v23, v53
	v_fmac_f32_e32 v13, v24, v53
	v_fmac_f32_e32 v12, v25, v53
	v_fmac_f32_e32 v10, v26, v53
	v_fmac_f32_e32 v11, v47, v54
	v_fmac_f32_e32 v13, v48, v54
	v_fmac_f32_e32 v12, v49, v54
	v_fmac_f32_e32 v10, v50, v54
	s_waitcnt vmcnt(3)
	v_fmac_f32_e32 v11, v15, v55
	v_fmac_f32_e32 v13, v16, v55
	v_fmac_f32_e32 v12, v17, v55
	v_fmac_f32_e32 v10, v18, v55
	s_waitcnt vmcnt(2)
	v_fmac_f32_e32 v11, v39, v56
	v_fmac_f32_e32 v13, v40, v56
	v_fmac_f32_e32 v12, v41, v56
	v_fmac_f32_e32 v10, v42, v56
	;; [unrolled: 5-line block ×4, first 2 shown]
	s_andn2_b32 exec_lo, exec_lo, s3
	s_cbranch_execnz .LBB3_33
; %bb.34:
	s_or_b32 exec_lo, exec_lo, s3
.LBB3_35:
	s_or_b32 exec_lo, exec_lo, s0
.LBB3_36:
	s_or_b32 exec_lo, exec_lo, s1
.LBB3_37:
	v_mbcnt_lo_u32_b32 v0, -1, 0
	s_mov_b32 s3, -1
	v_xor_b32_e32 v1, 16, v0
	v_xor_b32_e32 v6, 8, v0
	v_cmp_gt_i32_e32 vcc_lo, 32, v1
	v_cndmask_b32_e32 v1, v0, v1, vcc_lo
	v_cmp_gt_i32_e32 vcc_lo, 32, v6
	v_lshlrev_b32_e32 v1, 2, v1
	v_cndmask_b32_e32 v6, v0, v6, vcc_lo
	ds_bpermute_b32 v2, v1, v11
	ds_bpermute_b32 v3, v1, v13
	;; [unrolled: 1-line block ×4, first 2 shown]
	v_lshlrev_b32_e32 v6, 2, v6
	s_waitcnt lgkmcnt(3)
	v_add_f32_e32 v2, v11, v2
	s_waitcnt lgkmcnt(2)
	v_add_f32_e32 v3, v13, v3
	;; [unrolled: 2-line block ×4, first 2 shown]
	v_xor_b32_e32 v11, 4, v0
	ds_bpermute_b32 v7, v6, v2
	ds_bpermute_b32 v8, v6, v3
	;; [unrolled: 1-line block ×4, first 2 shown]
	v_cmp_gt_i32_e32 vcc_lo, 32, v11
	v_cndmask_b32_e32 v11, v0, v11, vcc_lo
	v_lshlrev_b32_e32 v11, 2, v11
	s_waitcnt lgkmcnt(3)
	v_add_f32_e32 v2, v2, v7
	s_waitcnt lgkmcnt(2)
	v_add_f32_e32 v3, v3, v8
	;; [unrolled: 2-line block ×4, first 2 shown]
	ds_bpermute_b32 v6, v11, v2
	ds_bpermute_b32 v7, v11, v3
	ds_bpermute_b32 v8, v11, v5
	ds_bpermute_b32 v10, v11, v1
	v_xor_b32_e32 v11, 2, v0
	v_cmp_gt_i32_e32 vcc_lo, 32, v11
	v_cndmask_b32_e32 v11, v0, v11, vcc_lo
	v_lshlrev_b32_e32 v11, 2, v11
	s_waitcnt lgkmcnt(3)
	v_add_f32_e32 v2, v2, v6
	s_waitcnt lgkmcnt(2)
	v_add_f32_e32 v3, v3, v7
	;; [unrolled: 2-line block ×4, first 2 shown]
	ds_bpermute_b32 v1, v11, v2
	ds_bpermute_b32 v7, v11, v3
	;; [unrolled: 1-line block ×4, first 2 shown]
	v_xor_b32_e32 v11, 1, v0
	v_cmp_gt_i32_e32 vcc_lo, 32, v11
	v_cndmask_b32_e32 v0, v0, v11, vcc_lo
	v_cmp_eq_u32_e32 vcc_lo, 31, v9
	v_lshlrev_b32_e32 v11, 2, v0
	s_waitcnt lgkmcnt(3)
	v_add_f32_e32 v0, v2, v1
	s_waitcnt lgkmcnt(2)
	v_add_f32_e32 v1, v3, v7
	;; [unrolled: 2-line block ×4, first 2 shown]
	ds_bpermute_b32 v5, v11, v0
	ds_bpermute_b32 v6, v11, v1
	;; [unrolled: 1-line block ×4, first 2 shown]
	s_and_b32 exec_lo, exec_lo, vcc_lo
	s_cbranch_execz .LBB3_10
; %bb.38:
	s_load_dwordx2 s[0:1], s[4:5], 0x50
	s_waitcnt lgkmcnt(0)
	v_add_f32_e32 v0, v0, v5
	v_add_f32_e32 v1, v1, v6
	;; [unrolled: 1-line block ×4, first 2 shown]
	v_cmp_eq_f32_e64 s4, s2, 0
	v_mul_f32_e32 v0, s16, v0
	v_mul_f32_e32 v1, s16, v1
	;; [unrolled: 1-line block ×4, first 2 shown]
	v_lshlrev_b32_e32 v4, 2, v4
	s_and_b32 vcc_lo, exec_lo, s4
	s_cbranch_vccz .LBB3_40
; %bb.39:
	v_ashrrev_i32_e32 v5, 31, v4
	s_mov_b32 s3, 0
	v_lshlrev_b64 v[5:6], 2, v[4:5]
	v_add_co_u32 v5, vcc_lo, s0, v5
	v_add_co_ci_u32_e64 v6, null, s1, v6, vcc_lo
	global_store_dwordx4 v[5:6], v[0:3], off
.LBB3_40:
	s_andn2_b32 vcc_lo, exec_lo, s3
	s_cbranch_vccnz .LBB3_10
; %bb.41:
	v_ashrrev_i32_e32 v5, 31, v4
	v_lshlrev_b64 v[4:5], 2, v[4:5]
	v_add_co_u32 v8, vcc_lo, s0, v4
	v_add_co_ci_u32_e64 v9, null, s1, v5, vcc_lo
	global_load_dwordx4 v[4:7], v[8:9], off
	s_waitcnt vmcnt(0)
	v_fmac_f32_e32 v0, s2, v4
	v_fmac_f32_e32 v1, s2, v5
	;; [unrolled: 1-line block ×4, first 2 shown]
	global_store_dwordx4 v[8:9], v[0:3], off
	s_endpgm
	.section	.rodata,"a",@progbits
	.p2align	6, 0x0
	.amdhsa_kernel _ZN9rocsparseL18bsrxmvn_4x4_kernelILj128ELj32EfiifffEEvT3_20rocsparse_direction_NS_24const_host_device_scalarIT1_EES1_PKS1_PKT2_SA_S7_PKT4_PKT5_S5_PT6_21rocsparse_index_base_b
		.amdhsa_group_segment_fixed_size 0
		.amdhsa_private_segment_fixed_size 0
		.amdhsa_kernarg_size 96
		.amdhsa_user_sgpr_count 6
		.amdhsa_user_sgpr_private_segment_buffer 1
		.amdhsa_user_sgpr_dispatch_ptr 0
		.amdhsa_user_sgpr_queue_ptr 0
		.amdhsa_user_sgpr_kernarg_segment_ptr 1
		.amdhsa_user_sgpr_dispatch_id 0
		.amdhsa_user_sgpr_flat_scratch_init 0
		.amdhsa_user_sgpr_private_segment_size 0
		.amdhsa_wavefront_size32 1
		.amdhsa_uses_dynamic_stack 0
		.amdhsa_system_sgpr_private_segment_wavefront_offset 0
		.amdhsa_system_sgpr_workgroup_id_x 1
		.amdhsa_system_sgpr_workgroup_id_y 0
		.amdhsa_system_sgpr_workgroup_id_z 0
		.amdhsa_system_sgpr_workgroup_info 0
		.amdhsa_system_vgpr_workitem_id 0
		.amdhsa_next_free_vgpr 66
		.amdhsa_next_free_sgpr 20
		.amdhsa_reserve_vcc 1
		.amdhsa_reserve_flat_scratch 0
		.amdhsa_float_round_mode_32 0
		.amdhsa_float_round_mode_16_64 0
		.amdhsa_float_denorm_mode_32 3
		.amdhsa_float_denorm_mode_16_64 3
		.amdhsa_dx10_clamp 1
		.amdhsa_ieee_mode 1
		.amdhsa_fp16_overflow 0
		.amdhsa_workgroup_processor_mode 1
		.amdhsa_memory_ordered 1
		.amdhsa_forward_progress 1
		.amdhsa_shared_vgpr_count 0
		.amdhsa_exception_fp_ieee_invalid_op 0
		.amdhsa_exception_fp_denorm_src 0
		.amdhsa_exception_fp_ieee_div_zero 0
		.amdhsa_exception_fp_ieee_overflow 0
		.amdhsa_exception_fp_ieee_underflow 0
		.amdhsa_exception_fp_ieee_inexact 0
		.amdhsa_exception_int_div_zero 0
	.end_amdhsa_kernel
	.section	.text._ZN9rocsparseL18bsrxmvn_4x4_kernelILj128ELj32EfiifffEEvT3_20rocsparse_direction_NS_24const_host_device_scalarIT1_EES1_PKS1_PKT2_SA_S7_PKT4_PKT5_S5_PT6_21rocsparse_index_base_b,"axG",@progbits,_ZN9rocsparseL18bsrxmvn_4x4_kernelILj128ELj32EfiifffEEvT3_20rocsparse_direction_NS_24const_host_device_scalarIT1_EES1_PKS1_PKT2_SA_S7_PKT4_PKT5_S5_PT6_21rocsparse_index_base_b,comdat
.Lfunc_end3:
	.size	_ZN9rocsparseL18bsrxmvn_4x4_kernelILj128ELj32EfiifffEEvT3_20rocsparse_direction_NS_24const_host_device_scalarIT1_EES1_PKS1_PKT2_SA_S7_PKT4_PKT5_S5_PT6_21rocsparse_index_base_b, .Lfunc_end3-_ZN9rocsparseL18bsrxmvn_4x4_kernelILj128ELj32EfiifffEEvT3_20rocsparse_direction_NS_24const_host_device_scalarIT1_EES1_PKS1_PKT2_SA_S7_PKT4_PKT5_S5_PT6_21rocsparse_index_base_b
                                        ; -- End function
	.set _ZN9rocsparseL18bsrxmvn_4x4_kernelILj128ELj32EfiifffEEvT3_20rocsparse_direction_NS_24const_host_device_scalarIT1_EES1_PKS1_PKT2_SA_S7_PKT4_PKT5_S5_PT6_21rocsparse_index_base_b.num_vgpr, 66
	.set _ZN9rocsparseL18bsrxmvn_4x4_kernelILj128ELj32EfiifffEEvT3_20rocsparse_direction_NS_24const_host_device_scalarIT1_EES1_PKS1_PKT2_SA_S7_PKT4_PKT5_S5_PT6_21rocsparse_index_base_b.num_agpr, 0
	.set _ZN9rocsparseL18bsrxmvn_4x4_kernelILj128ELj32EfiifffEEvT3_20rocsparse_direction_NS_24const_host_device_scalarIT1_EES1_PKS1_PKT2_SA_S7_PKT4_PKT5_S5_PT6_21rocsparse_index_base_b.numbered_sgpr, 20
	.set _ZN9rocsparseL18bsrxmvn_4x4_kernelILj128ELj32EfiifffEEvT3_20rocsparse_direction_NS_24const_host_device_scalarIT1_EES1_PKS1_PKT2_SA_S7_PKT4_PKT5_S5_PT6_21rocsparse_index_base_b.num_named_barrier, 0
	.set _ZN9rocsparseL18bsrxmvn_4x4_kernelILj128ELj32EfiifffEEvT3_20rocsparse_direction_NS_24const_host_device_scalarIT1_EES1_PKS1_PKT2_SA_S7_PKT4_PKT5_S5_PT6_21rocsparse_index_base_b.private_seg_size, 0
	.set _ZN9rocsparseL18bsrxmvn_4x4_kernelILj128ELj32EfiifffEEvT3_20rocsparse_direction_NS_24const_host_device_scalarIT1_EES1_PKS1_PKT2_SA_S7_PKT4_PKT5_S5_PT6_21rocsparse_index_base_b.uses_vcc, 1
	.set _ZN9rocsparseL18bsrxmvn_4x4_kernelILj128ELj32EfiifffEEvT3_20rocsparse_direction_NS_24const_host_device_scalarIT1_EES1_PKS1_PKT2_SA_S7_PKT4_PKT5_S5_PT6_21rocsparse_index_base_b.uses_flat_scratch, 0
	.set _ZN9rocsparseL18bsrxmvn_4x4_kernelILj128ELj32EfiifffEEvT3_20rocsparse_direction_NS_24const_host_device_scalarIT1_EES1_PKS1_PKT2_SA_S7_PKT4_PKT5_S5_PT6_21rocsparse_index_base_b.has_dyn_sized_stack, 0
	.set _ZN9rocsparseL18bsrxmvn_4x4_kernelILj128ELj32EfiifffEEvT3_20rocsparse_direction_NS_24const_host_device_scalarIT1_EES1_PKS1_PKT2_SA_S7_PKT4_PKT5_S5_PT6_21rocsparse_index_base_b.has_recursion, 0
	.set _ZN9rocsparseL18bsrxmvn_4x4_kernelILj128ELj32EfiifffEEvT3_20rocsparse_direction_NS_24const_host_device_scalarIT1_EES1_PKS1_PKT2_SA_S7_PKT4_PKT5_S5_PT6_21rocsparse_index_base_b.has_indirect_call, 0
	.section	.AMDGPU.csdata,"",@progbits
; Kernel info:
; codeLenInByte = 3484
; TotalNumSgprs: 22
; NumVgprs: 66
; ScratchSize: 0
; MemoryBound: 0
; FloatMode: 240
; IeeeMode: 1
; LDSByteSize: 0 bytes/workgroup (compile time only)
; SGPRBlocks: 0
; VGPRBlocks: 8
; NumSGPRsForWavesPerEU: 22
; NumVGPRsForWavesPerEU: 66
; Occupancy: 12
; WaveLimiterHint : 1
; COMPUTE_PGM_RSRC2:SCRATCH_EN: 0
; COMPUTE_PGM_RSRC2:USER_SGPR: 6
; COMPUTE_PGM_RSRC2:TRAP_HANDLER: 0
; COMPUTE_PGM_RSRC2:TGID_X_EN: 1
; COMPUTE_PGM_RSRC2:TGID_Y_EN: 0
; COMPUTE_PGM_RSRC2:TGID_Z_EN: 0
; COMPUTE_PGM_RSRC2:TIDIG_COMP_CNT: 0
	.section	.text._ZN9rocsparseL18bsrxmvn_4x4_kernelILj128ELj64EfiifffEEvT3_20rocsparse_direction_NS_24const_host_device_scalarIT1_EES1_PKS1_PKT2_SA_S7_PKT4_PKT5_S5_PT6_21rocsparse_index_base_b,"axG",@progbits,_ZN9rocsparseL18bsrxmvn_4x4_kernelILj128ELj64EfiifffEEvT3_20rocsparse_direction_NS_24const_host_device_scalarIT1_EES1_PKS1_PKT2_SA_S7_PKT4_PKT5_S5_PT6_21rocsparse_index_base_b,comdat
	.globl	_ZN9rocsparseL18bsrxmvn_4x4_kernelILj128ELj64EfiifffEEvT3_20rocsparse_direction_NS_24const_host_device_scalarIT1_EES1_PKS1_PKT2_SA_S7_PKT4_PKT5_S5_PT6_21rocsparse_index_base_b ; -- Begin function _ZN9rocsparseL18bsrxmvn_4x4_kernelILj128ELj64EfiifffEEvT3_20rocsparse_direction_NS_24const_host_device_scalarIT1_EES1_PKS1_PKT2_SA_S7_PKT4_PKT5_S5_PT6_21rocsparse_index_base_b
	.p2align	8
	.type	_ZN9rocsparseL18bsrxmvn_4x4_kernelILj128ELj64EfiifffEEvT3_20rocsparse_direction_NS_24const_host_device_scalarIT1_EES1_PKS1_PKT2_SA_S7_PKT4_PKT5_S5_PT6_21rocsparse_index_base_b,@function
_ZN9rocsparseL18bsrxmvn_4x4_kernelILj128ELj64EfiifffEEvT3_20rocsparse_direction_NS_24const_host_device_scalarIT1_EES1_PKS1_PKT2_SA_S7_PKT4_PKT5_S5_PT6_21rocsparse_index_base_b: ; @_ZN9rocsparseL18bsrxmvn_4x4_kernelILj128ELj64EfiifffEEvT3_20rocsparse_direction_NS_24const_host_device_scalarIT1_EES1_PKS1_PKT2_SA_S7_PKT4_PKT5_S5_PT6_21rocsparse_index_base_b
; %bb.0:
	s_clause 0x2
	s_load_dwordx2 s[18:19], s[4:5], 0x58
	s_load_dwordx2 s[16:17], s[4:5], 0x8
	;; [unrolled: 1-line block ×3, first 2 shown]
	s_waitcnt lgkmcnt(0)
	s_bitcmp1_b32 s19, 0
	s_cselect_b32 s0, -1, 0
	s_and_b32 vcc_lo, exec_lo, s0
	s_xor_b32 s0, s0, -1
	s_cbranch_vccnz .LBB4_2
; %bb.1:
	s_load_dword s16, s[16:17], 0x0
.LBB4_2:
	s_andn2_b32 vcc_lo, exec_lo, s0
	s_cbranch_vccnz .LBB4_4
; %bb.3:
	s_load_dword s2, s[2:3], 0x0
.LBB4_4:
	s_waitcnt lgkmcnt(0)
	v_cmp_neq_f32_e64 s0, s16, 0
	v_cmp_neq_f32_e64 s1, s2, 1.0
	s_mov_b32 s3, 0
	s_or_b32 s0, s0, s1
	s_andn2_b32 vcc_lo, exec_lo, s0
	s_cbranch_vccnz .LBB4_10
; %bb.5:
	s_clause 0x1
	s_load_dwordx2 s[8:9], s[4:5], 0x18
	s_load_dwordx2 s[0:1], s[4:5], 0x0
	v_lshrrev_b32_e32 v1, 6, v0
	v_lshl_or_b32 v4, s6, 1, v1
	s_waitcnt lgkmcnt(0)
	s_cmp_lg_u64 s[8:9], 0
	s_cbranch_scc0 .LBB4_11
; %bb.6:
	s_load_dword s3, s[4:5], 0x10
	s_mov_b32 s6, 0
                                        ; implicit-def: $vgpr1
	s_waitcnt lgkmcnt(0)
	v_cmp_gt_i32_e32 vcc_lo, s3, v4
	s_mov_b32 s3, 0
	s_and_saveexec_b32 s7, vcc_lo
	s_xor_b32 s7, exec_lo, s7
	s_cbranch_execz .LBB4_8
; %bb.7:
	v_ashrrev_i32_e32 v5, 31, v4
	s_mov_b32 s3, exec_lo
	v_lshlrev_b64 v[1:2], 2, v[4:5]
	v_add_co_u32 v1, vcc_lo, s8, v1
	v_add_co_ci_u32_e64 v2, null, s9, v2, vcc_lo
	global_load_dword v1, v[1:2], off
	s_waitcnt vmcnt(0)
	v_subrev_nc_u32_e32 v1, s18, v1
.LBB4_8:
	s_or_b32 exec_lo, exec_lo, s7
	s_and_b32 vcc_lo, exec_lo, s6
	s_cbranch_vccz .LBB4_12
.LBB4_9:
	v_cmp_gt_i32_e32 vcc_lo, s0, v4
	s_andn2_b32 s0, s3, exec_lo
	s_and_b32 s3, vcc_lo, exec_lo
	s_or_b32 s3, s0, s3
	s_and_saveexec_b32 s0, s3
	s_cbranch_execnz .LBB4_13
.LBB4_10:
	s_endpgm
.LBB4_11:
                                        ; implicit-def: $vgpr1
	s_cbranch_execnz .LBB4_9
.LBB4_12:
	v_mov_b32_e32 v4, v1
	s_and_saveexec_b32 s0, s3
	s_cbranch_execz .LBB4_10
.LBB4_13:
	s_load_dwordx8 s[8:15], s[4:5], 0x20
	v_ashrrev_i32_e32 v5, 31, v4
	v_and_b32_e32 v9, 63, v0
	s_load_dwordx2 s[6:7], s[4:5], 0x40
	v_lshlrev_b64 v[1:2], 2, v[4:5]
	s_waitcnt lgkmcnt(0)
	v_add_co_u32 v5, vcc_lo, s8, v1
	v_add_co_ci_u32_e64 v6, null, s9, v2, vcc_lo
	v_add_co_u32 v1, vcc_lo, s10, v1
	v_add_co_ci_u32_e64 v2, null, s11, v2, vcc_lo
	global_load_dword v15, v[5:6], off
	v_add_co_u32 v3, vcc_lo, v5, 4
	v_add_co_ci_u32_e64 v5, null, 0, v6, vcc_lo
	s_cmp_eq_u64 s[10:11], 0
	s_cselect_b32 vcc_lo, -1, 0
	s_cmp_eq_u32 s1, 1
	v_cndmask_b32_e32 v2, v2, v5, vcc_lo
	v_cndmask_b32_e32 v1, v1, v3, vcc_lo
	global_load_dword v5, v[1:2], off
	s_waitcnt vmcnt(1)
	v_subrev_nc_u32_e32 v0, s18, v15
	v_add_nc_u32_e32 v0, v0, v9
	v_ashrrev_i32_e32 v1, 31, v0
	s_waitcnt vmcnt(0)
	v_subrev_nc_u32_e32 v14, s18, v5
	v_lshlrev_b64 v[2:3], 6, v[0:1]
	v_cmp_lt_i32_e64 s0, v0, v14
	v_add_co_u32 v2, vcc_lo, s14, v2
	v_add_co_ci_u32_e64 v3, null, s15, v3, vcc_lo
	s_cbranch_scc1 .LBB4_25
; %bb.14:
	v_mov_b32_e32 v10, 0
	v_mov_b32_e32 v12, 0
	;; [unrolled: 1-line block ×4, first 2 shown]
	s_and_saveexec_b32 s1, s0
	s_cbranch_execz .LBB4_24
; %bb.15:
	v_add_nc_u32_e32 v1, v15, v9
	v_not_b32_e32 v5, v15
	v_mov_b32_e32 v8, v3
	v_mov_b32_e32 v11, 0
	;; [unrolled: 1-line block ×3, first 2 shown]
	v_subrev_nc_u32_e32 v1, s18, v1
	v_mov_b32_e32 v12, 0
	v_mov_b32_e32 v10, 0
	;; [unrolled: 1-line block ×3, first 2 shown]
	s_mov_b32 s3, exec_lo
	v_add_nc_u32_e32 v1, 64, v1
	v_max_i32_e32 v1, v1, v14
	v_add3_u32 v1, s18, v1, v5
	v_mov_b32_e32 v5, v0
	v_sub_nc_u32_e32 v1, v1, v9
	v_and_b32_e32 v6, 0xc0, v1
	v_cmpx_ne_u32_e32 0xc0, v6
	s_cbranch_execz .LBB4_19
; %bb.16:
	v_lshrrev_b32_e32 v5, 6, v1
	v_mov_b32_e32 v8, v3
	v_mov_b32_e32 v10, 0
	;; [unrolled: 1-line block ×4, first 2 shown]
	v_add_nc_u32_e32 v5, 1, v5
	v_mov_b32_e32 v13, 0
	v_mov_b32_e32 v11, 0
	s_mov_b32 s8, 0
	v_and_b32_e32 v6, 3, v5
	v_mov_b32_e32 v5, v0
	v_sub_nc_u32_e32 v16, 0, v6
.LBB4_17:                               ; =>This Inner Loop Header: Depth=1
	v_ashrrev_i32_e32 v6, 31, v5
	v_add_co_u32 v16, s9, v16, 1
	s_or_b32 s8, s9, s8
	v_lshlrev_b64 v[17:18], 2, v[5:6]
	v_add_nc_u32_e32 v5, 64, v5
	v_add_co_u32 v17, vcc_lo, s12, v17
	v_add_co_ci_u32_e64 v18, null, s13, v18, vcc_lo
	global_load_dword v6, v[17:18], off
	s_clause 0x3
	global_load_dwordx4 v[17:20], v[7:8], off offset:48
	global_load_dwordx4 v[21:24], v[7:8], off offset:32
	global_load_dwordx4 v[25:28], v[7:8], off offset:16
	global_load_dwordx4 v[29:32], v[7:8], off
	s_waitcnt vmcnt(4)
	v_subrev_nc_u32_e32 v6, s18, v6
	v_lshlrev_b32_e32 v33, 2, v6
	v_ashrrev_i32_e32 v34, 31, v33
	v_lshlrev_b64 v[33:34], 2, v[33:34]
	v_add_co_u32 v33, vcc_lo, s6, v33
	v_add_co_ci_u32_e64 v34, null, s7, v34, vcc_lo
	v_add_co_u32 v7, vcc_lo, 0x1000, v7
	v_add_co_ci_u32_e64 v8, null, 0, v8, vcc_lo
	global_load_dwordx4 v[33:36], v[33:34], off
	s_waitcnt vmcnt(0)
	v_fmac_f32_e32 v11, v29, v33
	v_fmac_f32_e32 v13, v25, v33
	;; [unrolled: 1-line block ×16, first 2 shown]
	s_andn2_b32 exec_lo, exec_lo, s8
	s_cbranch_execnz .LBB4_17
; %bb.18:
	s_or_b32 exec_lo, exec_lo, s8
.LBB4_19:
	s_or_b32 exec_lo, exec_lo, s3
	s_mov_b32 s3, exec_lo
	v_cmpx_lt_u32_e32 0xbf, v1
	s_cbranch_execz .LBB4_23
; %bb.20:
	s_mov_b32 s8, 0
.LBB4_21:                               ; =>This Inner Loop Header: Depth=1
	v_ashrrev_i32_e32 v6, 31, v5
	v_add_co_u32 v44, vcc_lo, 0x1000, v7
	v_add_co_ci_u32_e64 v45, null, 0, v8, vcc_lo
	v_lshlrev_b64 v[56:57], 2, v[5:6]
	v_add_co_u32 v60, vcc_lo, 0x2000, v7
	v_add_co_ci_u32_e64 v61, null, 0, v8, vcc_lo
	v_add_co_u32 v62, vcc_lo, 0x3000, v7
	v_add_co_ci_u32_e64 v63, null, 0, v8, vcc_lo
	;; [unrolled: 2-line block ×3, first 2 shown]
	s_clause 0x9
	global_load_dwordx4 v[16:19], v[7:8], off offset:48
	global_load_dwordx4 v[20:23], v[7:8], off offset:32
	;; [unrolled: 1-line block ×3, first 2 shown]
	global_load_dwordx4 v[28:31], v[7:8], off
	global_load_dwordx4 v[32:35], v[44:45], off offset:48
	global_load_dwordx4 v[36:39], v[44:45], off offset:32
	global_load_dwordx4 v[40:43], v[44:45], off
	global_load_dwordx4 v[44:47], v[44:45], off offset:16
	global_load_dwordx4 v[48:51], v[60:61], off
	global_load_dwordx4 v[52:55], v[60:61], off offset:48
	s_clause 0x3
	global_load_dword v1, v[56:57], off
	global_load_dword v6, v[56:57], off offset:256
	global_load_dword v64, v[56:57], off offset:512
	;; [unrolled: 1-line block ×3, first 2 shown]
	v_add_nc_u32_e32 v5, 0x100, v5
	s_waitcnt vmcnt(3)
	v_subrev_nc_u32_e32 v1, s18, v1
	v_lshlrev_b32_e32 v56, 2, v1
	s_waitcnt vmcnt(2)
	v_subrev_nc_u32_e32 v1, s18, v6
	s_waitcnt vmcnt(0)
	v_subrev_nc_u32_e32 v6, s18, v65
	v_ashrrev_i32_e32 v57, 31, v56
	v_lshlrev_b64 v[56:57], 2, v[56:57]
	v_add_co_u32 v56, vcc_lo, s6, v56
	v_add_co_ci_u32_e64 v57, null, s7, v57, vcc_lo
	global_load_dwordx4 v[56:59], v[56:57], off
	s_waitcnt vmcnt(0)
	v_fmac_f32_e32 v11, v28, v56
	v_fmac_f32_e32 v13, v24, v56
	;; [unrolled: 1-line block ×4, first 2 shown]
	v_lshlrev_b32_e32 v56, 2, v1
	v_fmac_f32_e32 v11, v29, v57
	v_fmac_f32_e32 v13, v25, v57
	;; [unrolled: 1-line block ×4, first 2 shown]
	v_ashrrev_i32_e32 v57, 31, v56
	v_fmac_f32_e32 v11, v30, v58
	v_fmac_f32_e32 v13, v26, v58
	;; [unrolled: 1-line block ×4, first 2 shown]
	v_lshlrev_b64 v[56:57], 2, v[56:57]
	v_fmac_f32_e32 v11, v31, v59
	v_fmac_f32_e32 v13, v27, v59
	;; [unrolled: 1-line block ×4, first 2 shown]
	v_subrev_nc_u32_e32 v1, s18, v64
	v_add_co_u32 v56, vcc_lo, s6, v56
	v_add_co_ci_u32_e64 v57, null, s7, v57, vcc_lo
	v_lshlrev_b32_e32 v64, 2, v1
	s_clause 0x1
	global_load_dwordx4 v[28:31], v[60:61], off offset:32
	global_load_dwordx4 v[24:27], v[60:61], off offset:16
	global_load_dwordx4 v[56:59], v[56:57], off
	s_clause 0x1
	global_load_dwordx4 v[20:23], v[62:63], off offset:48
	global_load_dwordx4 v[16:19], v[62:63], off offset:32
	v_ashrrev_i32_e32 v65, 31, v64
	s_waitcnt vmcnt(2)
	v_fmac_f32_e32 v13, v44, v56
	v_lshlrev_b32_e32 v44, 2, v6
	v_fmac_f32_e32 v11, v40, v56
	v_fmac_f32_e32 v12, v36, v56
	;; [unrolled: 1-line block ×4, first 2 shown]
	v_ashrrev_i32_e32 v45, 31, v44
	v_fmac_f32_e32 v11, v41, v57
	v_fmac_f32_e32 v12, v37, v57
	;; [unrolled: 1-line block ×4, first 2 shown]
	v_lshlrev_b64 v[44:45], 2, v[44:45]
	v_fmac_f32_e32 v11, v42, v58
	v_fmac_f32_e32 v12, v38, v58
	v_fmac_f32_e32 v10, v34, v58
	v_fmac_f32_e32 v13, v47, v59
	v_lshlrev_b64 v[46:47], 2, v[64:65]
	v_fmac_f32_e32 v11, v43, v59
	s_clause 0x1
	global_load_dwordx4 v[40:43], v[62:63], off
	global_load_dwordx4 v[60:63], v[62:63], off offset:16
	v_fmac_f32_e32 v12, v39, v59
	v_fmac_f32_e32 v10, v35, v59
	v_add_co_u32 v46, vcc_lo, s6, v46
	v_add_co_ci_u32_e64 v47, null, s7, v47, vcc_lo
	v_add_co_u32 v64, vcc_lo, s6, v44
	v_add_co_ci_u32_e64 v65, null, s7, v45, vcc_lo
	global_load_dwordx4 v[44:47], v[46:47], off
	v_add_co_u32 v7, vcc_lo, 0x4000, v7
	global_load_dwordx4 v[36:39], v[64:65], off
	v_add_co_ci_u32_e64 v8, null, 0, v8, vcc_lo
	v_cmp_ge_i32_e32 vcc_lo, v5, v14
	s_or_b32 s8, vcc_lo, s8
	s_waitcnt vmcnt(1)
	v_fmac_f32_e32 v11, v48, v44
	v_fmac_f32_e32 v13, v24, v44
	;; [unrolled: 1-line block ×16, first 2 shown]
	s_waitcnt vmcnt(0)
	v_fmac_f32_e32 v11, v40, v36
	v_fmac_f32_e32 v13, v60, v36
	;; [unrolled: 1-line block ×16, first 2 shown]
	s_andn2_b32 exec_lo, exec_lo, s8
	s_cbranch_execnz .LBB4_21
; %bb.22:
	s_or_b32 exec_lo, exec_lo, s8
.LBB4_23:
	s_or_b32 exec_lo, exec_lo, s3
.LBB4_24:
	s_or_b32 exec_lo, exec_lo, s1
	s_cbranch_execz .LBB4_26
	s_branch .LBB4_37
.LBB4_25:
                                        ; implicit-def: $vgpr10
                                        ; implicit-def: $vgpr12
                                        ; implicit-def: $vgpr13
                                        ; implicit-def: $vgpr11
.LBB4_26:
	v_mov_b32_e32 v10, 0
	v_mov_b32_e32 v12, 0
	;; [unrolled: 1-line block ×4, first 2 shown]
	s_and_saveexec_b32 s1, s0
	s_cbranch_execz .LBB4_36
; %bb.27:
	v_add_nc_u32_e32 v1, v15, v9
	v_not_b32_e32 v5, v15
	v_mov_b32_e32 v11, 0
	v_mov_b32_e32 v13, 0
	;; [unrolled: 1-line block ×3, first 2 shown]
	v_subrev_nc_u32_e32 v1, s18, v1
	v_mov_b32_e32 v10, 0
	s_mov_b32 s0, exec_lo
	v_add_nc_u32_e32 v1, 64, v1
	v_max_i32_e32 v1, v1, v14
	v_add3_u32 v1, s18, v1, v5
	v_sub_nc_u32_e32 v5, v1, v9
	v_and_b32_e32 v1, 0xc0, v5
	v_cmpx_ne_u32_e32 0xc0, v1
	s_cbranch_execz .LBB4_31
; %bb.28:
	v_lshrrev_b32_e32 v1, 6, v5
	v_mov_b32_e32 v10, 0
	v_mov_b32_e32 v12, 0
	;; [unrolled: 1-line block ×4, first 2 shown]
	v_add_nc_u32_e32 v1, 1, v1
	s_mov_b32 s3, 0
	v_and_b32_e32 v1, 3, v1
	v_sub_nc_u32_e32 v6, 0, v1
.LBB4_29:                               ; =>This Inner Loop Header: Depth=1
	v_ashrrev_i32_e32 v1, 31, v0
	v_add_co_u32 v6, s8, v6, 1
	s_or_b32 s3, s8, s3
	v_lshlrev_b64 v[7:8], 2, v[0:1]
	v_add_nc_u32_e32 v0, 64, v0
	v_add_co_u32 v7, vcc_lo, s12, v7
	v_add_co_ci_u32_e64 v8, null, s13, v8, vcc_lo
	global_load_dword v1, v[7:8], off
	s_clause 0x1
	global_load_dwordx4 v[15:18], v[2:3], off offset:16
	global_load_dwordx4 v[19:22], v[2:3], off
	s_waitcnt vmcnt(2)
	v_subrev_nc_u32_e32 v1, s18, v1
	v_lshlrev_b32_e32 v7, 2, v1
	v_ashrrev_i32_e32 v8, 31, v7
	v_lshlrev_b64 v[7:8], 2, v[7:8]
	v_add_co_u32 v7, vcc_lo, s6, v7
	v_add_co_ci_u32_e64 v8, null, s7, v8, vcc_lo
	global_load_dwordx4 v[23:26], v[7:8], off
	s_clause 0x1
	global_load_dwordx4 v[27:30], v[2:3], off offset:32
	global_load_dwordx4 v[31:34], v[2:3], off offset:48
	v_add_co_u32 v2, vcc_lo, 0x1000, v2
	v_add_co_ci_u32_e64 v3, null, 0, v3, vcc_lo
	s_waitcnt vmcnt(2)
	v_fmac_f32_e32 v11, v19, v23
	v_fmac_f32_e32 v13, v20, v23
	;; [unrolled: 1-line block ×8, first 2 shown]
	s_waitcnt vmcnt(1)
	v_fmac_f32_e32 v11, v27, v25
	v_fmac_f32_e32 v13, v28, v25
	;; [unrolled: 1-line block ×4, first 2 shown]
	s_waitcnt vmcnt(0)
	v_fmac_f32_e32 v11, v31, v26
	v_fmac_f32_e32 v13, v32, v26
	;; [unrolled: 1-line block ×4, first 2 shown]
	s_andn2_b32 exec_lo, exec_lo, s3
	s_cbranch_execnz .LBB4_29
; %bb.30:
	s_or_b32 exec_lo, exec_lo, s3
.LBB4_31:
	s_or_b32 exec_lo, exec_lo, s0
	s_mov_b32 s0, exec_lo
	v_cmpx_lt_u32_e32 0xbf, v5
	s_cbranch_execz .LBB4_35
; %bb.32:
	s_mov_b32 s3, 0
.LBB4_33:                               ; =>This Inner Loop Header: Depth=1
	v_ashrrev_i32_e32 v1, 31, v0
	v_add_co_u32 v39, vcc_lo, 0x1000, v2
	v_add_co_ci_u32_e64 v40, null, 0, v3, vcc_lo
	v_lshlrev_b64 v[51:52], 2, v[0:1]
	v_add_co_u32 v55, vcc_lo, 0x2000, v2
	v_add_co_ci_u32_e64 v56, null, 0, v3, vcc_lo
	v_add_co_u32 v59, vcc_lo, 0x3000, v2
	v_add_co_ci_u32_e64 v60, null, 0, v3, vcc_lo
	;; [unrolled: 2-line block ×3, first 2 shown]
	s_clause 0x9
	global_load_dwordx4 v[5:8], v[2:3], off offset:48
	global_load_dwordx4 v[15:18], v[2:3], off offset:32
	;; [unrolled: 1-line block ×3, first 2 shown]
	global_load_dwordx4 v[23:26], v[2:3], off
	global_load_dwordx4 v[27:30], v[39:40], off offset:48
	global_load_dwordx4 v[31:34], v[39:40], off offset:32
	global_load_dwordx4 v[35:38], v[39:40], off
	global_load_dwordx4 v[39:42], v[39:40], off offset:16
	global_load_dwordx4 v[43:46], v[55:56], off
	global_load_dwordx4 v[47:50], v[55:56], off offset:48
	s_clause 0x3
	global_load_dword v1, v[51:52], off
	global_load_dword v57, v[51:52], off offset:256
	global_load_dword v58, v[51:52], off offset:512
	;; [unrolled: 1-line block ×3, first 2 shown]
	v_add_nc_u32_e32 v0, 0x100, v0
	s_waitcnt vmcnt(3)
	v_subrev_nc_u32_e32 v1, s18, v1
	v_lshlrev_b32_e32 v51, 2, v1
	s_waitcnt vmcnt(2)
	v_subrev_nc_u32_e32 v1, s18, v57
	v_ashrrev_i32_e32 v52, 31, v51
	v_lshlrev_b64 v[51:52], 2, v[51:52]
	v_add_co_u32 v51, vcc_lo, s6, v51
	v_add_co_ci_u32_e64 v52, null, s7, v52, vcc_lo
	global_load_dwordx4 v[51:54], v[51:52], off
	s_waitcnt vmcnt(0)
	v_fmac_f32_e32 v11, v23, v51
	v_fmac_f32_e32 v13, v24, v51
	;; [unrolled: 1-line block ×4, first 2 shown]
	v_lshlrev_b32_e32 v51, 2, v1
	v_fmac_f32_e32 v11, v19, v52
	v_fmac_f32_e32 v13, v20, v52
	;; [unrolled: 1-line block ×4, first 2 shown]
	v_subrev_nc_u32_e32 v52, s18, v58
	v_fmac_f32_e32 v11, v15, v53
	v_fmac_f32_e32 v13, v16, v53
	;; [unrolled: 1-line block ×4, first 2 shown]
	v_lshlrev_b32_e32 v53, 2, v52
	v_ashrrev_i32_e32 v52, 31, v51
	v_fmac_f32_e32 v11, v5, v54
	v_fmac_f32_e32 v13, v6, v54
	;; [unrolled: 1-line block ×4, first 2 shown]
	v_lshlrev_b64 v[5:6], 2, v[51:52]
	v_ashrrev_i32_e32 v54, 31, v53
	s_clause 0x1
	global_load_dwordx4 v[23:26], v[55:56], off offset:32
	global_load_dwordx4 v[19:22], v[55:56], off offset:16
	v_subrev_nc_u32_e32 v55, s18, v61
	global_load_dwordx4 v[15:18], v[59:60], off
	v_add_co_u32 v5, vcc_lo, s6, v5
	v_add_co_ci_u32_e64 v6, null, s7, v6, vcc_lo
	v_lshlrev_b64 v[51:52], 2, v[53:54]
	v_lshlrev_b32_e32 v55, 2, v55
	global_load_dwordx4 v[5:8], v[5:6], off
	v_add_co_u32 v51, vcc_lo, s6, v51
	v_add_co_ci_u32_e64 v52, null, s7, v52, vcc_lo
	v_ashrrev_i32_e32 v56, 31, v55
	global_load_dwordx4 v[51:54], v[51:52], off
	v_lshlrev_b64 v[55:56], 2, v[55:56]
	v_add_co_u32 v55, vcc_lo, s6, v55
	v_add_co_ci_u32_e64 v56, null, s7, v56, vcc_lo
	v_add_co_u32 v2, vcc_lo, 0x4000, v2
	v_add_co_ci_u32_e64 v3, null, 0, v3, vcc_lo
	global_load_dwordx4 v[55:58], v[55:56], off
	v_cmp_ge_i32_e32 vcc_lo, v0, v14
	s_or_b32 s3, vcc_lo, s3
	s_waitcnt vmcnt(2)
	v_fmac_f32_e32 v11, v35, v5
	v_fmac_f32_e32 v13, v36, v5
	v_fmac_f32_e32 v12, v37, v5
	v_fmac_f32_e32 v10, v38, v5
	global_load_dwordx4 v[35:38], v[59:60], off offset:16
	v_fmac_f32_e32 v11, v39, v6
	v_fmac_f32_e32 v13, v40, v6
	v_fmac_f32_e32 v12, v41, v6
	v_fmac_f32_e32 v10, v42, v6
	global_load_dwordx4 v[39:42], v[59:60], off offset:32
	;; [unrolled: 5-line block ×3, first 2 shown]
	v_fmac_f32_e32 v11, v27, v8
	v_fmac_f32_e32 v13, v28, v8
	;; [unrolled: 1-line block ×4, first 2 shown]
	s_waitcnt vmcnt(4)
	v_fmac_f32_e32 v11, v43, v51
	v_fmac_f32_e32 v13, v44, v51
	;; [unrolled: 1-line block ×16, first 2 shown]
	s_waitcnt vmcnt(3)
	v_fmac_f32_e32 v11, v15, v55
	v_fmac_f32_e32 v13, v16, v55
	v_fmac_f32_e32 v12, v17, v55
	v_fmac_f32_e32 v10, v18, v55
	s_waitcnt vmcnt(2)
	v_fmac_f32_e32 v11, v35, v56
	v_fmac_f32_e32 v13, v36, v56
	v_fmac_f32_e32 v12, v37, v56
	v_fmac_f32_e32 v10, v38, v56
	;; [unrolled: 5-line block ×4, first 2 shown]
	s_andn2_b32 exec_lo, exec_lo, s3
	s_cbranch_execnz .LBB4_33
; %bb.34:
	s_or_b32 exec_lo, exec_lo, s3
.LBB4_35:
	s_or_b32 exec_lo, exec_lo, s0
.LBB4_36:
	s_or_b32 exec_lo, exec_lo, s1
.LBB4_37:
	v_mbcnt_lo_u32_b32 v0, -1, 0
	s_mov_b32 s3, -1
	v_or_b32_e32 v1, 32, v0
	v_xor_b32_e32 v6, 16, v0
	v_cmp_gt_i32_e32 vcc_lo, 32, v1
	v_cndmask_b32_e32 v1, v0, v1, vcc_lo
	v_cmp_gt_i32_e32 vcc_lo, 32, v6
	v_lshlrev_b32_e32 v1, 2, v1
	v_cndmask_b32_e32 v6, v0, v6, vcc_lo
	ds_bpermute_b32 v2, v1, v11
	ds_bpermute_b32 v3, v1, v13
	;; [unrolled: 1-line block ×4, first 2 shown]
	v_lshlrev_b32_e32 v6, 2, v6
	s_waitcnt lgkmcnt(3)
	v_add_f32_e32 v2, v11, v2
	s_waitcnt lgkmcnt(2)
	v_add_f32_e32 v3, v13, v3
	;; [unrolled: 2-line block ×4, first 2 shown]
	v_xor_b32_e32 v11, 8, v0
	ds_bpermute_b32 v7, v6, v2
	ds_bpermute_b32 v8, v6, v3
	;; [unrolled: 1-line block ×4, first 2 shown]
	v_cmp_gt_i32_e32 vcc_lo, 32, v11
	v_cndmask_b32_e32 v11, v0, v11, vcc_lo
	v_lshlrev_b32_e32 v11, 2, v11
	s_waitcnt lgkmcnt(3)
	v_add_f32_e32 v2, v2, v7
	s_waitcnt lgkmcnt(2)
	v_add_f32_e32 v3, v3, v8
	s_waitcnt lgkmcnt(1)
	v_add_f32_e32 v5, v5, v10
	s_waitcnt lgkmcnt(0)
	v_add_f32_e32 v1, v1, v6
	ds_bpermute_b32 v6, v11, v2
	ds_bpermute_b32 v7, v11, v3
	ds_bpermute_b32 v8, v11, v5
	ds_bpermute_b32 v10, v11, v1
	v_xor_b32_e32 v11, 4, v0
	v_cmp_gt_i32_e32 vcc_lo, 32, v11
	v_cndmask_b32_e32 v11, v0, v11, vcc_lo
	v_lshlrev_b32_e32 v11, 2, v11
	s_waitcnt lgkmcnt(3)
	v_add_f32_e32 v2, v2, v6
	s_waitcnt lgkmcnt(2)
	v_add_f32_e32 v3, v3, v7
	s_waitcnt lgkmcnt(1)
	v_add_f32_e32 v5, v5, v8
	s_waitcnt lgkmcnt(0)
	v_add_f32_e32 v1, v1, v10
	ds_bpermute_b32 v6, v11, v2
	ds_bpermute_b32 v7, v11, v3
	ds_bpermute_b32 v8, v11, v5
	ds_bpermute_b32 v10, v11, v1
	v_xor_b32_e32 v11, 2, v0
	;; [unrolled: 16-line block ×3, first 2 shown]
	v_cmp_gt_i32_e32 vcc_lo, 32, v11
	v_cndmask_b32_e32 v0, v0, v11, vcc_lo
	v_cmp_eq_u32_e32 vcc_lo, 63, v9
	v_lshlrev_b32_e32 v11, 2, v0
	s_waitcnt lgkmcnt(3)
	v_add_f32_e32 v0, v2, v1
	s_waitcnt lgkmcnt(2)
	v_add_f32_e32 v1, v3, v7
	;; [unrolled: 2-line block ×4, first 2 shown]
	ds_bpermute_b32 v5, v11, v0
	ds_bpermute_b32 v6, v11, v1
	;; [unrolled: 1-line block ×4, first 2 shown]
	s_and_b32 exec_lo, exec_lo, vcc_lo
	s_cbranch_execz .LBB4_10
; %bb.38:
	s_load_dwordx2 s[0:1], s[4:5], 0x50
	s_waitcnt lgkmcnt(0)
	v_add_f32_e32 v0, v0, v5
	v_add_f32_e32 v1, v1, v6
	;; [unrolled: 1-line block ×4, first 2 shown]
	v_cmp_eq_f32_e64 s4, s2, 0
	v_mul_f32_e32 v0, s16, v0
	v_mul_f32_e32 v1, s16, v1
	;; [unrolled: 1-line block ×4, first 2 shown]
	v_lshlrev_b32_e32 v4, 2, v4
	s_and_b32 vcc_lo, exec_lo, s4
	s_cbranch_vccz .LBB4_40
; %bb.39:
	v_ashrrev_i32_e32 v5, 31, v4
	s_mov_b32 s3, 0
	v_lshlrev_b64 v[5:6], 2, v[4:5]
	v_add_co_u32 v5, vcc_lo, s0, v5
	v_add_co_ci_u32_e64 v6, null, s1, v6, vcc_lo
	global_store_dwordx4 v[5:6], v[0:3], off
.LBB4_40:
	s_andn2_b32 vcc_lo, exec_lo, s3
	s_cbranch_vccnz .LBB4_10
; %bb.41:
	v_ashrrev_i32_e32 v5, 31, v4
	v_lshlrev_b64 v[4:5], 2, v[4:5]
	v_add_co_u32 v8, vcc_lo, s0, v4
	v_add_co_ci_u32_e64 v9, null, s1, v5, vcc_lo
	global_load_dwordx4 v[4:7], v[8:9], off
	s_waitcnt vmcnt(0)
	v_fmac_f32_e32 v0, s2, v4
	v_fmac_f32_e32 v1, s2, v5
	;; [unrolled: 1-line block ×4, first 2 shown]
	global_store_dwordx4 v[8:9], v[0:3], off
	s_endpgm
	.section	.rodata,"a",@progbits
	.p2align	6, 0x0
	.amdhsa_kernel _ZN9rocsparseL18bsrxmvn_4x4_kernelILj128ELj64EfiifffEEvT3_20rocsparse_direction_NS_24const_host_device_scalarIT1_EES1_PKS1_PKT2_SA_S7_PKT4_PKT5_S5_PT6_21rocsparse_index_base_b
		.amdhsa_group_segment_fixed_size 0
		.amdhsa_private_segment_fixed_size 0
		.amdhsa_kernarg_size 96
		.amdhsa_user_sgpr_count 6
		.amdhsa_user_sgpr_private_segment_buffer 1
		.amdhsa_user_sgpr_dispatch_ptr 0
		.amdhsa_user_sgpr_queue_ptr 0
		.amdhsa_user_sgpr_kernarg_segment_ptr 1
		.amdhsa_user_sgpr_dispatch_id 0
		.amdhsa_user_sgpr_flat_scratch_init 0
		.amdhsa_user_sgpr_private_segment_size 0
		.amdhsa_wavefront_size32 1
		.amdhsa_uses_dynamic_stack 0
		.amdhsa_system_sgpr_private_segment_wavefront_offset 0
		.amdhsa_system_sgpr_workgroup_id_x 1
		.amdhsa_system_sgpr_workgroup_id_y 0
		.amdhsa_system_sgpr_workgroup_id_z 0
		.amdhsa_system_sgpr_workgroup_info 0
		.amdhsa_system_vgpr_workitem_id 0
		.amdhsa_next_free_vgpr 66
		.amdhsa_next_free_sgpr 20
		.amdhsa_reserve_vcc 1
		.amdhsa_reserve_flat_scratch 0
		.amdhsa_float_round_mode_32 0
		.amdhsa_float_round_mode_16_64 0
		.amdhsa_float_denorm_mode_32 3
		.amdhsa_float_denorm_mode_16_64 3
		.amdhsa_dx10_clamp 1
		.amdhsa_ieee_mode 1
		.amdhsa_fp16_overflow 0
		.amdhsa_workgroup_processor_mode 1
		.amdhsa_memory_ordered 1
		.amdhsa_forward_progress 1
		.amdhsa_shared_vgpr_count 0
		.amdhsa_exception_fp_ieee_invalid_op 0
		.amdhsa_exception_fp_denorm_src 0
		.amdhsa_exception_fp_ieee_div_zero 0
		.amdhsa_exception_fp_ieee_overflow 0
		.amdhsa_exception_fp_ieee_underflow 0
		.amdhsa_exception_fp_ieee_inexact 0
		.amdhsa_exception_int_div_zero 0
	.end_amdhsa_kernel
	.section	.text._ZN9rocsparseL18bsrxmvn_4x4_kernelILj128ELj64EfiifffEEvT3_20rocsparse_direction_NS_24const_host_device_scalarIT1_EES1_PKS1_PKT2_SA_S7_PKT4_PKT5_S5_PT6_21rocsparse_index_base_b,"axG",@progbits,_ZN9rocsparseL18bsrxmvn_4x4_kernelILj128ELj64EfiifffEEvT3_20rocsparse_direction_NS_24const_host_device_scalarIT1_EES1_PKS1_PKT2_SA_S7_PKT4_PKT5_S5_PT6_21rocsparse_index_base_b,comdat
.Lfunc_end4:
	.size	_ZN9rocsparseL18bsrxmvn_4x4_kernelILj128ELj64EfiifffEEvT3_20rocsparse_direction_NS_24const_host_device_scalarIT1_EES1_PKS1_PKT2_SA_S7_PKT4_PKT5_S5_PT6_21rocsparse_index_base_b, .Lfunc_end4-_ZN9rocsparseL18bsrxmvn_4x4_kernelILj128ELj64EfiifffEEvT3_20rocsparse_direction_NS_24const_host_device_scalarIT1_EES1_PKS1_PKT2_SA_S7_PKT4_PKT5_S5_PT6_21rocsparse_index_base_b
                                        ; -- End function
	.set _ZN9rocsparseL18bsrxmvn_4x4_kernelILj128ELj64EfiifffEEvT3_20rocsparse_direction_NS_24const_host_device_scalarIT1_EES1_PKS1_PKT2_SA_S7_PKT4_PKT5_S5_PT6_21rocsparse_index_base_b.num_vgpr, 66
	.set _ZN9rocsparseL18bsrxmvn_4x4_kernelILj128ELj64EfiifffEEvT3_20rocsparse_direction_NS_24const_host_device_scalarIT1_EES1_PKS1_PKT2_SA_S7_PKT4_PKT5_S5_PT6_21rocsparse_index_base_b.num_agpr, 0
	.set _ZN9rocsparseL18bsrxmvn_4x4_kernelILj128ELj64EfiifffEEvT3_20rocsparse_direction_NS_24const_host_device_scalarIT1_EES1_PKS1_PKT2_SA_S7_PKT4_PKT5_S5_PT6_21rocsparse_index_base_b.numbered_sgpr, 20
	.set _ZN9rocsparseL18bsrxmvn_4x4_kernelILj128ELj64EfiifffEEvT3_20rocsparse_direction_NS_24const_host_device_scalarIT1_EES1_PKS1_PKT2_SA_S7_PKT4_PKT5_S5_PT6_21rocsparse_index_base_b.num_named_barrier, 0
	.set _ZN9rocsparseL18bsrxmvn_4x4_kernelILj128ELj64EfiifffEEvT3_20rocsparse_direction_NS_24const_host_device_scalarIT1_EES1_PKS1_PKT2_SA_S7_PKT4_PKT5_S5_PT6_21rocsparse_index_base_b.private_seg_size, 0
	.set _ZN9rocsparseL18bsrxmvn_4x4_kernelILj128ELj64EfiifffEEvT3_20rocsparse_direction_NS_24const_host_device_scalarIT1_EES1_PKS1_PKT2_SA_S7_PKT4_PKT5_S5_PT6_21rocsparse_index_base_b.uses_vcc, 1
	.set _ZN9rocsparseL18bsrxmvn_4x4_kernelILj128ELj64EfiifffEEvT3_20rocsparse_direction_NS_24const_host_device_scalarIT1_EES1_PKS1_PKT2_SA_S7_PKT4_PKT5_S5_PT6_21rocsparse_index_base_b.uses_flat_scratch, 0
	.set _ZN9rocsparseL18bsrxmvn_4x4_kernelILj128ELj64EfiifffEEvT3_20rocsparse_direction_NS_24const_host_device_scalarIT1_EES1_PKS1_PKT2_SA_S7_PKT4_PKT5_S5_PT6_21rocsparse_index_base_b.has_dyn_sized_stack, 0
	.set _ZN9rocsparseL18bsrxmvn_4x4_kernelILj128ELj64EfiifffEEvT3_20rocsparse_direction_NS_24const_host_device_scalarIT1_EES1_PKS1_PKT2_SA_S7_PKT4_PKT5_S5_PT6_21rocsparse_index_base_b.has_recursion, 0
	.set _ZN9rocsparseL18bsrxmvn_4x4_kernelILj128ELj64EfiifffEEvT3_20rocsparse_direction_NS_24const_host_device_scalarIT1_EES1_PKS1_PKT2_SA_S7_PKT4_PKT5_S5_PT6_21rocsparse_index_base_b.has_indirect_call, 0
	.section	.AMDGPU.csdata,"",@progbits
; Kernel info:
; codeLenInByte = 3524
; TotalNumSgprs: 22
; NumVgprs: 66
; ScratchSize: 0
; MemoryBound: 0
; FloatMode: 240
; IeeeMode: 1
; LDSByteSize: 0 bytes/workgroup (compile time only)
; SGPRBlocks: 0
; VGPRBlocks: 8
; NumSGPRsForWavesPerEU: 22
; NumVGPRsForWavesPerEU: 66
; Occupancy: 12
; WaveLimiterHint : 1
; COMPUTE_PGM_RSRC2:SCRATCH_EN: 0
; COMPUTE_PGM_RSRC2:USER_SGPR: 6
; COMPUTE_PGM_RSRC2:TRAP_HANDLER: 0
; COMPUTE_PGM_RSRC2:TGID_X_EN: 1
; COMPUTE_PGM_RSRC2:TGID_Y_EN: 0
; COMPUTE_PGM_RSRC2:TGID_Z_EN: 0
; COMPUTE_PGM_RSRC2:TIDIG_COMP_CNT: 0
	.section	.text._ZN9rocsparseL18bsrxmvn_4x4_kernelILj128ELj4EdiidddEEvT3_20rocsparse_direction_NS_24const_host_device_scalarIT1_EES1_PKS1_PKT2_SA_S7_PKT4_PKT5_S5_PT6_21rocsparse_index_base_b,"axG",@progbits,_ZN9rocsparseL18bsrxmvn_4x4_kernelILj128ELj4EdiidddEEvT3_20rocsparse_direction_NS_24const_host_device_scalarIT1_EES1_PKS1_PKT2_SA_S7_PKT4_PKT5_S5_PT6_21rocsparse_index_base_b,comdat
	.globl	_ZN9rocsparseL18bsrxmvn_4x4_kernelILj128ELj4EdiidddEEvT3_20rocsparse_direction_NS_24const_host_device_scalarIT1_EES1_PKS1_PKT2_SA_S7_PKT4_PKT5_S5_PT6_21rocsparse_index_base_b ; -- Begin function _ZN9rocsparseL18bsrxmvn_4x4_kernelILj128ELj4EdiidddEEvT3_20rocsparse_direction_NS_24const_host_device_scalarIT1_EES1_PKS1_PKT2_SA_S7_PKT4_PKT5_S5_PT6_21rocsparse_index_base_b
	.p2align	8
	.type	_ZN9rocsparseL18bsrxmvn_4x4_kernelILj128ELj4EdiidddEEvT3_20rocsparse_direction_NS_24const_host_device_scalarIT1_EES1_PKS1_PKT2_SA_S7_PKT4_PKT5_S5_PT6_21rocsparse_index_base_b,@function
_ZN9rocsparseL18bsrxmvn_4x4_kernelILj128ELj4EdiidddEEvT3_20rocsparse_direction_NS_24const_host_device_scalarIT1_EES1_PKS1_PKT2_SA_S7_PKT4_PKT5_S5_PT6_21rocsparse_index_base_b: ; @_ZN9rocsparseL18bsrxmvn_4x4_kernelILj128ELj4EdiidddEEvT3_20rocsparse_direction_NS_24const_host_device_scalarIT1_EES1_PKS1_PKT2_SA_S7_PKT4_PKT5_S5_PT6_21rocsparse_index_base_b
; %bb.0:
	s_clause 0x2
	s_load_dwordx2 s[2:3], s[4:5], 0x58
	s_load_dwordx2 s[8:9], s[4:5], 0x8
	;; [unrolled: 1-line block ×3, first 2 shown]
	s_waitcnt lgkmcnt(0)
	s_bitcmp1_b32 s3, 0
	v_mov_b32_e32 v2, s8
	v_mov_b32_e32 v3, s9
	s_cselect_b32 s3, -1, 0
	s_and_b32 vcc_lo, exec_lo, s3
	s_xor_b32 s3, s3, -1
	s_cbranch_vccnz .LBB5_2
; %bb.1:
	v_mov_b32_e32 v1, s8
	v_mov_b32_e32 v2, s9
	flat_load_dwordx2 v[2:3], v[1:2]
.LBB5_2:
	v_mov_b32_e32 v9, s1
	v_mov_b32_e32 v8, s0
	s_andn2_b32 vcc_lo, exec_lo, s3
	s_cbranch_vccnz .LBB5_4
; %bb.3:
	v_mov_b32_e32 v5, s1
	v_mov_b32_e32 v4, s0
	flat_load_dwordx2 v[8:9], v[4:5]
.LBB5_4:
	s_waitcnt vmcnt(0) lgkmcnt(0)
	v_cmp_neq_f64_e32 vcc_lo, 0, v[2:3]
	v_cmp_neq_f64_e64 s0, 1.0, v[8:9]
	s_or_b32 s0, vcc_lo, s0
	s_and_saveexec_b32 s1, s0
	s_cbranch_execz .LBB5_10
; %bb.5:
	s_clause 0x1
	s_load_dwordx2 s[8:9], s[4:5], 0x18
	s_load_dwordx2 s[0:1], s[4:5], 0x0
	v_lshrrev_b32_e32 v1, 2, v0
	v_lshl_or_b32 v10, s6, 5, v1
	s_waitcnt lgkmcnt(0)
	s_cmp_lg_u64 s[8:9], 0
	s_cbranch_scc0 .LBB5_11
; %bb.6:
	s_load_dword s3, s[4:5], 0x10
	s_mov_b32 s6, 0
                                        ; implicit-def: $vgpr1
	s_waitcnt lgkmcnt(0)
	v_cmp_gt_i32_e32 vcc_lo, s3, v10
	s_mov_b32 s3, 0
	s_and_saveexec_b32 s7, vcc_lo
	s_xor_b32 s7, exec_lo, s7
	s_cbranch_execz .LBB5_8
; %bb.7:
	v_ashrrev_i32_e32 v11, 31, v10
	s_mov_b32 s3, exec_lo
	v_lshlrev_b64 v[4:5], 2, v[10:11]
	v_add_co_u32 v4, vcc_lo, s8, v4
	v_add_co_ci_u32_e64 v5, null, s9, v5, vcc_lo
	global_load_dword v1, v[4:5], off
	s_waitcnt vmcnt(0)
	v_subrev_nc_u32_e32 v1, s2, v1
.LBB5_8:
	s_or_b32 exec_lo, exec_lo, s7
	s_and_b32 vcc_lo, exec_lo, s6
	s_cbranch_vccz .LBB5_12
.LBB5_9:
	v_cmp_gt_i32_e32 vcc_lo, s0, v10
	s_andn2_b32 s0, s3, exec_lo
	s_and_b32 s3, vcc_lo, exec_lo
	s_or_b32 s3, s0, s3
	s_and_b32 exec_lo, exec_lo, s3
	s_cbranch_execnz .LBB5_13
.LBB5_10:
	s_endpgm
.LBB5_11:
	s_mov_b32 s3, 0
                                        ; implicit-def: $vgpr1
	s_cbranch_execnz .LBB5_9
.LBB5_12:
	v_mov_b32_e32 v10, v1
	s_and_b32 exec_lo, exec_lo, s3
	s_cbranch_execz .LBB5_10
.LBB5_13:
	s_load_dwordx8 s[8:15], s[4:5], 0x20
	v_ashrrev_i32_e32 v11, 31, v10
	v_and_b32_e32 v21, 3, v0
	s_load_dwordx2 s[6:7], s[4:5], 0x40
	v_lshlrev_b64 v[4:5], 2, v[10:11]
	s_waitcnt lgkmcnt(0)
	v_add_co_u32 v6, vcc_lo, s8, v4
	v_add_co_ci_u32_e64 v7, null, s9, v5, vcc_lo
	v_add_co_u32 v1, vcc_lo, s10, v4
	v_add_co_ci_u32_e64 v4, null, s11, v5, vcc_lo
	global_load_dword v23, v[6:7], off
	v_add_co_u32 v6, vcc_lo, v6, 4
	v_add_co_ci_u32_e64 v5, null, 0, v7, vcc_lo
	s_cmp_eq_u64 s[10:11], 0
	s_cselect_b32 vcc_lo, -1, 0
	s_cmp_eq_u32 s1, 1
	v_cndmask_b32_e32 v5, v4, v5, vcc_lo
	v_cndmask_b32_e32 v4, v1, v6, vcc_lo
	global_load_dword v6, v[4:5], off
	s_waitcnt vmcnt(1)
	v_subrev_nc_u32_e32 v0, s2, v23
	v_add_nc_u32_e32 v0, v0, v21
	v_ashrrev_i32_e32 v1, 31, v0
	s_waitcnt vmcnt(0)
	v_subrev_nc_u32_e32 v22, s2, v6
	v_lshlrev_b64 v[4:5], 7, v[0:1]
	v_cmp_lt_i32_e64 s0, v0, v22
	v_add_co_u32 v4, vcc_lo, s14, v4
	v_add_co_ci_u32_e64 v5, null, s15, v5, vcc_lo
	s_cbranch_scc1 .LBB5_25
; %bb.14:
	v_mov_b32_e32 v6, 0
	v_mov_b32_e32 v11, 0
	;; [unrolled: 1-line block ×8, first 2 shown]
	s_and_saveexec_b32 s3, s0
	s_cbranch_execz .LBB5_24
; %bb.15:
	v_add_nc_u32_e32 v1, v23, v21
	v_not_b32_e32 v6, v23
	v_mov_b32_e32 v13, 0
	v_mov_b32_e32 v15, 0
	;; [unrolled: 1-line block ×3, first 2 shown]
	v_subrev_nc_u32_e32 v1, s2, v1
	v_mov_b32_e32 v14, 0
	v_mov_b32_e32 v16, 0
	;; [unrolled: 1-line block ×4, first 2 shown]
	v_add_nc_u32_e32 v1, 4, v1
	v_max_i32_e32 v1, v1, v22
	v_add3_u32 v1, s2, v1, v6
	v_mov_b32_e32 v6, 0
	v_mov_b32_e32 v7, 0
	v_sub_nc_u32_e32 v1, v1, v21
	v_and_b32_e32 v17, 12, v1
	v_cmp_ne_u32_e32 vcc_lo, 12, v17
	v_mov_b32_e32 v18, v5
	v_mov_b32_e32 v17, v4
	s_and_saveexec_b32 s1, vcc_lo
	s_cbranch_execz .LBB5_19
; %bb.16:
	v_lshrrev_b32_e32 v6, 2, v1
	v_mov_b32_e32 v18, v5
	v_mov_b32_e32 v15, 0
	;; [unrolled: 1-line block ×4, first 2 shown]
	v_add_nc_u32_e32 v11, 1, v6
	v_mov_b32_e32 v6, 0
	v_mov_b32_e32 v7, 0
	;; [unrolled: 1-line block ×4, first 2 shown]
	v_and_b32_e32 v19, 3, v11
	v_mov_b32_e32 v11, 0
	v_mov_b32_e32 v12, 0
	s_mov_b32 s8, 0
	v_sub_nc_u32_e32 v24, 0, v19
	v_mov_b32_e32 v19, v0
.LBB5_17:                               ; =>This Inner Loop Header: Depth=1
	v_ashrrev_i32_e32 v20, 31, v19
	v_add_co_u32 v24, s9, v24, 1
	s_or_b32 s8, s9, s8
	v_lshlrev_b64 v[25:26], 2, v[19:20]
	v_add_nc_u32_e32 v19, 4, v19
	v_add_co_u32 v25, vcc_lo, s12, v25
	v_add_co_ci_u32_e64 v26, null, s13, v26, vcc_lo
	global_load_dword v20, v[25:26], off
	s_clause 0x6
	global_load_dwordx4 v[25:28], v[17:18], off offset:48
	global_load_dwordx4 v[29:32], v[17:18], off offset:32
	;; [unrolled: 1-line block ×3, first 2 shown]
	global_load_dwordx4 v[37:40], v[17:18], off
	global_load_dwordx4 v[41:44], v[17:18], off offset:112
	global_load_dwordx4 v[45:48], v[17:18], off offset:96
	;; [unrolled: 1-line block ×3, first 2 shown]
	s_waitcnt vmcnt(7)
	v_subrev_nc_u32_e32 v20, s2, v20
	v_lshlrev_b32_e32 v53, 2, v20
	v_ashrrev_i32_e32 v54, 31, v53
	v_lshlrev_b64 v[53:54], 3, v[53:54]
	v_add_co_u32 v61, vcc_lo, s6, v53
	v_add_co_ci_u32_e64 v62, null, s7, v54, vcc_lo
	global_load_dwordx4 v[53:56], v[17:18], off offset:64
	s_clause 0x1
	global_load_dwordx4 v[57:60], v[61:62], off
	global_load_dwordx4 v[61:64], v[61:62], off offset:16
	v_add_co_u32 v17, vcc_lo, 0x200, v17
	v_add_co_ci_u32_e64 v18, null, 0, v18, vcc_lo
	s_waitcnt vmcnt(1)
	v_fma_f64 v[13:14], v[37:38], v[57:58], v[13:14]
	v_fma_f64 v[15:16], v[29:30], v[57:58], v[15:16]
	;; [unrolled: 1-line block ×8, first 2 shown]
	s_waitcnt vmcnt(0)
	v_fma_f64 v[13:14], v[33:34], v[61:62], v[13:14]
	v_fma_f64 v[15:16], v[25:26], v[61:62], v[15:16]
	;; [unrolled: 1-line block ×8, first 2 shown]
	s_andn2_b32 exec_lo, exec_lo, s8
	s_cbranch_execnz .LBB5_17
; %bb.18:
	s_or_b32 exec_lo, exec_lo, s8
.LBB5_19:
	s_or_b32 exec_lo, exec_lo, s1
	s_mov_b32 s8, exec_lo
	v_cmpx_lt_u32_e32 11, v1
	s_cbranch_execz .LBB5_23
; %bb.20:
	s_mov_b32 s9, 0
.LBB5_21:                               ; =>This Inner Loop Header: Depth=1
	v_ashrrev_i32_e32 v20, 31, v19
	s_clause 0x14
	global_load_dwordx4 v[24:27], v[17:18], off offset:48
	global_load_dwordx4 v[28:31], v[17:18], off offset:32
	;; [unrolled: 1-line block ×3, first 2 shown]
	global_load_dwordx4 v[36:39], v[17:18], off
	global_load_dwordx4 v[40:43], v[17:18], off offset:112
	global_load_dwordx4 v[44:47], v[17:18], off offset:96
	;; [unrolled: 1-line block ×17, first 2 shown]
	v_lshlrev_b64 v[108:109], 2, v[19:20]
	v_add_nc_u32_e32 v19, 16, v19
	v_add_co_u32 v108, vcc_lo, s12, v108
	v_add_co_ci_u32_e64 v109, null, s13, v109, vcc_lo
	s_clause 0x3
	global_load_dword v1, v[108:109], off
	global_load_dword v20, v[108:109], off offset:16
	global_load_dword v120, v[108:109], off offset:32
	;; [unrolled: 1-line block ×3, first 2 shown]
	s_waitcnt vmcnt(3)
	v_subrev_nc_u32_e32 v1, s2, v1
	v_lshlrev_b32_e32 v108, 2, v1
	s_waitcnt vmcnt(2)
	v_subrev_nc_u32_e32 v1, s2, v20
	s_waitcnt vmcnt(1)
	v_subrev_nc_u32_e32 v20, s2, v120
	v_ashrrev_i32_e32 v109, 31, v108
	v_lshlrev_b64 v[108:109], 3, v[108:109]
	v_add_co_u32 v112, vcc_lo, s6, v108
	v_add_co_ci_u32_e64 v113, null, s7, v109, vcc_lo
	s_clause 0x1
	global_load_dwordx4 v[108:111], v[112:113], off
	global_load_dwordx4 v[112:115], v[112:113], off offset:16
	s_waitcnt vmcnt(1)
	v_fma_f64 v[13:14], v[36:37], v[108:109], v[13:14]
	v_fma_f64 v[6:7], v[44:45], v[108:109], v[6:7]
	;; [unrolled: 1-line block ×7, first 2 shown]
	global_load_dwordx4 v[36:39], v[17:18], off offset:1120
	s_waitcnt vmcnt(1)
	v_fma_f64 v[32:33], v[32:33], v[112:113], v[116:117]
	v_fma_f64 v[118:119], v[30:31], v[110:111], v[13:14]
	;; [unrolled: 1-line block ×3, first 2 shown]
	v_lshlrev_b32_e32 v40, 2, v1
	v_fma_f64 v[11:12], v[48:49], v[112:113], v[11:12]
	s_clause 0x3
	global_load_dwordx4 v[13:16], v[17:18], off offset:1104
	global_load_dwordx4 v[28:31], v[17:18], off offset:1088
	;; [unrolled: 1-line block ×4, first 2 shown]
	v_ashrrev_i32_e32 v41, 31, v40
	v_subrev_nc_u32_e32 v1, s2, v121
	v_lshlrev_b64 v[40:41], 3, v[40:41]
	v_add_co_u32 v108, vcc_lo, s6, v40
	v_add_co_ci_u32_e64 v109, null, s7, v41, vcc_lo
	v_fma_f64 v[24:25], v[24:25], v[112:113], v[118:119]
	v_fma_f64 v[6:7], v[42:43], v[114:115], v[6:7]
	v_lshlrev_b32_e32 v42, 2, v20
	v_fma_f64 v[116:117], v[34:35], v[114:115], v[32:33]
	global_load_dwordx4 v[32:35], v[17:18], off offset:1552
	v_fma_f64 v[11:12], v[50:51], v[114:115], v[11:12]
	global_load_dwordx4 v[48:51], v[17:18], off offset:1632
	v_ashrrev_i32_e32 v43, 31, v42
	v_lshlrev_b64 v[42:43], 3, v[42:43]
	v_add_co_u32 v112, vcc_lo, s6, v42
	v_add_co_ci_u32_e64 v113, null, s7, v43, vcc_lo
	v_fma_f64 v[118:119], v[26:27], v[114:115], v[24:25]
	global_load_dwordx4 v[24:27], v[17:18], off offset:1536
	s_clause 0x1
	global_load_dwordx4 v[40:43], v[108:109], off
	global_load_dwordx4 v[108:111], v[108:109], off offset:16
	s_waitcnt vmcnt(1)
	v_fma_f64 v[68:69], v[68:69], v[40:41], v[116:117]
	v_fma_f64 v[11:12], v[84:85], v[40:41], v[11:12]
	;; [unrolled: 1-line block ×3, first 2 shown]
	v_lshlrev_b32_e32 v76, 2, v1
	v_fma_f64 v[60:61], v[60:61], v[40:41], v[118:119]
	v_ashrrev_i32_e32 v77, 31, v76
	v_lshlrev_b64 v[76:77], 3, v[76:77]
	v_fma_f64 v[114:115], v[70:71], v[42:43], v[68:69]
	global_load_dwordx4 v[68:71], v[112:113], off
	v_fma_f64 v[11:12], v[86:87], v[42:43], v[11:12]
	global_load_dwordx4 v[84:87], v[112:113], off offset:16
	v_add_co_u32 v112, vcc_lo, s6, v76
	v_add_co_ci_u32_e64 v113, null, s7, v77, vcc_lo
	v_fma_f64 v[116:117], v[62:63], v[42:43], v[60:61]
	global_load_dwordx4 v[60:63], v[17:18], off offset:1600
	v_fma_f64 v[6:7], v[78:79], v[42:43], v[6:7]
	global_load_dwordx4 v[76:79], v[112:113], off
	global_load_dwordx4 v[40:43], v[17:18], off offset:1648
	v_cmp_ge_i32_e32 vcc_lo, v19, v22
	s_or_b32 s9, vcc_lo, s9
	s_waitcnt vmcnt(5)
	v_fma_f64 v[64:65], v[64:65], v[108:109], v[114:115]
	v_fma_f64 v[11:12], v[80:81], v[108:109], v[11:12]
	;; [unrolled: 1-line block ×5, first 2 shown]
	global_load_dwordx4 v[64:67], v[17:18], off offset:1616
	v_fma_f64 v[11:12], v[82:83], v[110:111], v[11:12]
	v_add_co_u32 v17, s1, 0x800, v17
	v_add_co_ci_u32_e64 v18, null, 0, v18, s1
	v_fma_f64 v[116:117], v[58:59], v[110:111], v[56:57]
	global_load_dwordx4 v[56:59], v[112:113], off offset:16
	v_fma_f64 v[6:7], v[74:75], v[110:111], v[6:7]
	s_waitcnt vmcnt(6)
	v_fma_f64 v[72:73], v[100:101], v[68:69], v[114:115]
	v_fma_f64 v[74:75], v[92:93], v[68:69], v[116:117]
	v_fma_f64 v[11:12], v[28:29], v[68:69], v[11:12]
	v_fma_f64 v[6:7], v[36:37], v[68:69], v[6:7]
	v_fma_f64 v[28:29], v[102:103], v[70:71], v[72:73]
	v_fma_f64 v[36:37], v[94:95], v[70:71], v[74:75]
	v_fma_f64 v[11:12], v[30:31], v[70:71], v[11:12]
	v_fma_f64 v[6:7], v[38:39], v[70:71], v[6:7]
	s_waitcnt vmcnt(5)
	v_fma_f64 v[28:29], v[96:97], v[84:85], v[28:29]
	v_fma_f64 v[30:31], v[88:89], v[84:85], v[36:37]
	v_fma_f64 v[11:12], v[13:14], v[84:85], v[11:12]
	v_fma_f64 v[6:7], v[104:105], v[84:85], v[6:7]
	v_fma_f64 v[13:14], v[98:99], v[86:87], v[28:29]
	v_fma_f64 v[28:29], v[90:91], v[86:87], v[30:31]
	v_fma_f64 v[11:12], v[15:16], v[86:87], v[11:12]
	v_fma_f64 v[6:7], v[106:107], v[86:87], v[6:7]
	s_waitcnt vmcnt(3)
	v_fma_f64 v[13:14], v[24:25], v[76:77], v[13:14]
	v_fma_f64 v[15:16], v[52:53], v[76:77], v[28:29]
	v_fma_f64 v[11:12], v[60:61], v[76:77], v[11:12]
	v_fma_f64 v[6:7], v[48:49], v[76:77], v[6:7]
	v_fma_f64 v[13:14], v[26:27], v[78:79], v[13:14]
	v_fma_f64 v[15:16], v[54:55], v[78:79], v[15:16]
	v_fma_f64 v[11:12], v[62:63], v[78:79], v[11:12]
	v_fma_f64 v[6:7], v[50:51], v[78:79], v[6:7]
	s_waitcnt vmcnt(0)
	v_fma_f64 v[13:14], v[32:33], v[56:57], v[13:14]
	v_fma_f64 v[15:16], v[44:45], v[56:57], v[15:16]
	v_fma_f64 v[11:12], v[64:65], v[56:57], v[11:12]
	v_fma_f64 v[6:7], v[40:41], v[56:57], v[6:7]
	v_fma_f64 v[13:14], v[34:35], v[58:59], v[13:14]
	v_fma_f64 v[15:16], v[46:47], v[58:59], v[15:16]
	v_fma_f64 v[11:12], v[66:67], v[58:59], v[11:12]
	v_fma_f64 v[6:7], v[42:43], v[58:59], v[6:7]
	s_andn2_b32 exec_lo, exec_lo, s9
	s_cbranch_execnz .LBB5_21
; %bb.22:
	s_or_b32 exec_lo, exec_lo, s9
.LBB5_23:
	s_or_b32 exec_lo, exec_lo, s8
.LBB5_24:
	s_or_b32 exec_lo, exec_lo, s3
	s_cbranch_execz .LBB5_26
	s_branch .LBB5_37
.LBB5_25:
                                        ; implicit-def: $vgpr6_vgpr7
                                        ; implicit-def: $vgpr11_vgpr12
                                        ; implicit-def: $vgpr15_vgpr16
                                        ; implicit-def: $vgpr13_vgpr14
.LBB5_26:
	v_mov_b32_e32 v6, 0
	v_mov_b32_e32 v11, 0
	;; [unrolled: 1-line block ×8, first 2 shown]
	s_and_saveexec_b32 s1, s0
	s_cbranch_execz .LBB5_36
; %bb.27:
	v_add_nc_u32_e32 v1, v23, v21
	v_not_b32_e32 v6, v23
	v_mov_b32_e32 v13, 0
	v_mov_b32_e32 v15, 0
	;; [unrolled: 1-line block ×3, first 2 shown]
	v_subrev_nc_u32_e32 v1, s2, v1
	v_mov_b32_e32 v14, 0
	v_mov_b32_e32 v16, 0
	;; [unrolled: 1-line block ×3, first 2 shown]
	s_mov_b32 s0, exec_lo
	v_add_nc_u32_e32 v1, 4, v1
	v_max_i32_e32 v1, v1, v22
	v_add3_u32 v1, s2, v1, v6
	v_mov_b32_e32 v6, 0
	v_mov_b32_e32 v7, 0
	v_sub_nc_u32_e32 v17, v1, v21
	v_and_b32_e32 v1, 12, v17
	v_cmpx_ne_u32_e32 12, v1
	s_cbranch_execz .LBB5_31
; %bb.28:
	v_lshrrev_b32_e32 v1, 2, v17
	v_mov_b32_e32 v6, 0
	v_mov_b32_e32 v11, 0
	v_mov_b32_e32 v15, 0
	v_mov_b32_e32 v13, 0
	v_add_nc_u32_e32 v1, 1, v1
	v_mov_b32_e32 v7, 0
	v_mov_b32_e32 v12, 0
	;; [unrolled: 1-line block ×4, first 2 shown]
	v_and_b32_e32 v1, 3, v1
	s_mov_b32 s3, 0
	v_sub_nc_u32_e32 v18, 0, v1
.LBB5_29:                               ; =>This Inner Loop Header: Depth=1
	v_ashrrev_i32_e32 v1, 31, v0
	v_add_co_u32 v18, s8, v18, 1
	s_or_b32 s3, s8, s3
	v_lshlrev_b64 v[19:20], 2, v[0:1]
	v_add_nc_u32_e32 v0, 4, v0
	v_add_co_u32 v19, vcc_lo, s12, v19
	v_add_co_ci_u32_e64 v20, null, s13, v20, vcc_lo
	global_load_dword v1, v[19:20], off
	global_load_dwordx4 v[23:26], v[4:5], off offset:16
	s_waitcnt vmcnt(1)
	v_subrev_nc_u32_e32 v1, s2, v1
	v_lshlrev_b32_e32 v19, 2, v1
	v_ashrrev_i32_e32 v20, 31, v19
	v_lshlrev_b64 v[19:20], 3, v[19:20]
	v_add_co_u32 v19, vcc_lo, s6, v19
	v_add_co_ci_u32_e64 v20, null, s7, v20, vcc_lo
	global_load_dwordx4 v[27:30], v[4:5], off
	s_clause 0x1
	global_load_dwordx4 v[31:34], v[19:20], off
	global_load_dwordx4 v[35:38], v[19:20], off offset:16
	s_clause 0x5
	global_load_dwordx4 v[39:42], v[4:5], off offset:32
	global_load_dwordx4 v[43:46], v[4:5], off offset:48
	;; [unrolled: 1-line block ×6, first 2 shown]
	v_add_co_u32 v4, vcc_lo, 0x200, v4
	v_add_co_ci_u32_e64 v5, null, 0, v5, vcc_lo
	s_waitcnt vmcnt(7)
	v_fma_f64 v[13:14], v[27:28], v[31:32], v[13:14]
	v_fma_f64 v[15:16], v[29:30], v[31:32], v[15:16]
	;; [unrolled: 1-line block ×4, first 2 shown]
	s_waitcnt vmcnt(5)
	v_fma_f64 v[13:14], v[39:40], v[33:34], v[13:14]
	v_fma_f64 v[15:16], v[41:42], v[33:34], v[15:16]
	s_waitcnt vmcnt(4)
	v_fma_f64 v[11:12], v[43:44], v[33:34], v[11:12]
	v_fma_f64 v[6:7], v[45:46], v[33:34], v[6:7]
	;; [unrolled: 3-line block ×6, first 2 shown]
	s_andn2_b32 exec_lo, exec_lo, s3
	s_cbranch_execnz .LBB5_29
; %bb.30:
	s_or_b32 exec_lo, exec_lo, s3
.LBB5_31:
	s_or_b32 exec_lo, exec_lo, s0
	s_mov_b32 s3, exec_lo
	v_cmpx_lt_u32_e32 11, v17
	s_cbranch_execz .LBB5_35
; %bb.32:
	s_mov_b32 s8, 0
.LBB5_33:                               ; =>This Inner Loop Header: Depth=1
	v_ashrrev_i32_e32 v1, 31, v0
	s_clause 0x10
	global_load_dwordx4 v[17:20], v[4:5], off offset:48
	global_load_dwordx4 v[23:26], v[4:5], off offset:32
	;; [unrolled: 1-line block ×3, first 2 shown]
	global_load_dwordx4 v[31:34], v[4:5], off
	global_load_dwordx4 v[35:38], v[4:5], off offset:112
	global_load_dwordx4 v[39:42], v[4:5], off offset:96
	global_load_dwordx4 v[43:46], v[4:5], off offset:80
	global_load_dwordx4 v[47:50], v[4:5], off offset:64
	global_load_dwordx4 v[51:54], v[4:5], off offset:560
	global_load_dwordx4 v[55:58], v[4:5], off offset:544
	global_load_dwordx4 v[59:62], v[4:5], off offset:528
	global_load_dwordx4 v[63:66], v[4:5], off offset:512
	global_load_dwordx4 v[67:70], v[4:5], off offset:624
	global_load_dwordx4 v[71:74], v[4:5], off offset:608
	global_load_dwordx4 v[75:78], v[4:5], off offset:592
	global_load_dwordx4 v[79:82], v[4:5], off offset:576
	global_load_dwordx4 v[83:86], v[4:5], off offset:1040
	v_lshlrev_b64 v[87:88], 2, v[0:1]
	v_add_nc_u32_e32 v0, 16, v0
	v_add_co_u32 v87, vcc_lo, s12, v87
	v_add_co_ci_u32_e64 v88, null, s13, v88, vcc_lo
	s_clause 0x3
	global_load_dword v1, v[87:88], off
	global_load_dword v95, v[87:88], off offset:16
	global_load_dword v96, v[87:88], off offset:32
	;; [unrolled: 1-line block ×3, first 2 shown]
	s_waitcnt vmcnt(3)
	v_subrev_nc_u32_e32 v1, s2, v1
	v_lshlrev_b32_e32 v87, 2, v1
	s_waitcnt vmcnt(2)
	v_subrev_nc_u32_e32 v1, s2, v95
	s_waitcnt vmcnt(1)
	v_subrev_nc_u32_e32 v95, s2, v96
	v_ashrrev_i32_e32 v88, 31, v87
	v_lshlrev_b64 v[87:88], 3, v[87:88]
	v_add_co_u32 v91, vcc_lo, s6, v87
	v_add_co_ci_u32_e64 v92, null, s7, v88, vcc_lo
	s_clause 0x1
	global_load_dwordx4 v[87:90], v[91:92], off
	global_load_dwordx4 v[91:94], v[91:92], off offset:16
	s_waitcnt vmcnt(1)
	v_fma_f64 v[11:12], v[27:28], v[87:88], v[11:12]
	v_lshlrev_b32_e32 v27, 2, v1
	v_fma_f64 v[31:32], v[31:32], v[87:88], v[13:14]
	v_fma_f64 v[33:34], v[33:34], v[87:88], v[15:16]
	;; [unrolled: 1-line block ×3, first 2 shown]
	v_lshlrev_b32_e32 v29, 2, v95
	v_ashrrev_i32_e32 v28, 31, v27
	global_load_dwordx4 v[13:16], v[4:5], off offset:1024
	v_subrev_nc_u32_e32 v1, s2, v99
	v_ashrrev_i32_e32 v30, 31, v29
	v_lshlrev_b64 v[27:28], 3, v[27:28]
	v_lshlrev_b64 v[29:30], 3, v[29:30]
	v_add_co_u32 v27, vcc_lo, s6, v27
	v_add_co_ci_u32_e64 v28, null, s7, v28, vcc_lo
	v_add_co_u32 v87, vcc_lo, s6, v29
	v_add_co_ci_u32_e64 v88, null, s7, v30, vcc_lo
	v_fma_f64 v[95:96], v[23:24], v[89:90], v[31:32]
	v_fma_f64 v[97:98], v[25:26], v[89:90], v[33:34]
	s_clause 0x1
	global_load_dwordx4 v[23:26], v[27:28], off
	global_load_dwordx4 v[27:30], v[27:28], off offset:16
	v_fma_f64 v[11:12], v[17:18], v[89:90], v[11:12]
	v_fma_f64 v[6:7], v[19:20], v[89:90], v[6:7]
	global_load_dwordx4 v[17:20], v[87:88], off
	global_load_dwordx4 v[31:34], v[4:5], off offset:1056
	s_waitcnt vmcnt(5)
	v_fma_f64 v[89:90], v[47:48], v[91:92], v[95:96]
	v_fma_f64 v[95:96], v[49:50], v[91:92], v[97:98]
	global_load_dwordx4 v[47:50], v[4:5], off offset:1072
	v_fma_f64 v[11:12], v[43:44], v[91:92], v[11:12]
	v_fma_f64 v[6:7], v[45:46], v[91:92], v[6:7]
	global_load_dwordx4 v[43:46], v[4:5], off offset:1104
	;; [unrolled: 3-line block ×4, first 2 shown]
	v_lshlrev_b32_e32 v89, 2, v1
	v_ashrrev_i32_e32 v90, 31, v89
	v_lshlrev_b64 v[87:88], 3, v[89:90]
	v_add_co_u32 v93, vcc_lo, s6, v87
	v_add_co_ci_u32_e64 v94, null, s7, v88, vcc_lo
	global_load_dwordx4 v[87:90], v[4:5], off offset:1136
	v_cmp_ge_i32_e32 vcc_lo, v0, v22
	s_or_b32 s8, vcc_lo, s8
	s_waitcnt vmcnt(8)
	v_fma_f64 v[91:92], v[63:64], v[23:24], v[91:92]
	v_fma_f64 v[95:96], v[65:66], v[23:24], v[95:96]
	global_load_dwordx4 v[63:66], v[4:5], off offset:1120
	v_fma_f64 v[11:12], v[59:60], v[23:24], v[11:12]
	v_fma_f64 v[6:7], v[61:62], v[23:24], v[6:7]
	global_load_dwordx4 v[59:62], v[4:5], off offset:1552
	;; [unrolled: 3-line block ×3, first 2 shown]
	v_fma_f64 v[11:12], v[51:52], v[25:26], v[11:12]
	v_fma_f64 v[6:7], v[53:54], v[25:26], v[6:7]
	global_load_dwordx4 v[23:26], v[93:94], off
	global_load_dwordx4 v[51:54], v[4:5], off offset:1568
	s_waitcnt vmcnt(12)
	v_fma_f64 v[91:92], v[79:80], v[27:28], v[91:92]
	v_fma_f64 v[95:96], v[81:82], v[27:28], v[95:96]
	global_load_dwordx4 v[79:82], v[4:5], off offset:1584
	v_fma_f64 v[11:12], v[75:76], v[27:28], v[11:12]
	v_fma_f64 v[6:7], v[77:78], v[27:28], v[6:7]
	global_load_dwordx4 v[75:78], v[4:5], off offset:1600
	v_fma_f64 v[91:92], v[71:72], v[29:30], v[91:92]
	v_fma_f64 v[95:96], v[73:74], v[29:30], v[95:96]
	global_load_dwordx4 v[71:74], v[4:5], off offset:1616
	v_fma_f64 v[11:12], v[67:68], v[29:30], v[11:12]
	v_fma_f64 v[6:7], v[69:70], v[29:30], v[6:7]
	global_load_dwordx4 v[27:30], v[93:94], off offset:16
	global_load_dwordx4 v[67:70], v[4:5], off offset:1632
	s_waitcnt vmcnt(16)
	v_fma_f64 v[13:14], v[13:14], v[17:18], v[91:92]
	global_load_dwordx4 v[91:94], v[4:5], off offset:1648
	v_fma_f64 v[15:16], v[15:16], v[17:18], v[95:96]
	v_fma_f64 v[11:12], v[83:84], v[17:18], v[11:12]
	;; [unrolled: 1-line block ×3, first 2 shown]
	v_add_co_u32 v4, s0, 0x800, v4
	v_add_co_ci_u32_e64 v5, null, 0, v5, s0
	s_waitcnt vmcnt(16)
	v_fma_f64 v[13:14], v[31:32], v[19:20], v[13:14]
	v_fma_f64 v[15:16], v[33:34], v[19:20], v[15:16]
	s_waitcnt vmcnt(15)
	v_fma_f64 v[11:12], v[47:48], v[19:20], v[11:12]
	v_fma_f64 v[6:7], v[49:50], v[19:20], v[6:7]
	;; [unrolled: 3-line block ×3, first 2 shown]
	v_fma_f64 v[11:12], v[43:44], v[35:36], v[11:12]
	v_fma_f64 v[6:7], v[45:46], v[35:36], v[6:7]
	s_waitcnt vmcnt(11)
	v_fma_f64 v[11:12], v[87:88], v[37:38], v[11:12]
	v_fma_f64 v[6:7], v[89:90], v[37:38], v[6:7]
	s_waitcnt vmcnt(10)
	;; [unrolled: 3-line block ×3, first 2 shown]
	v_fma_f64 v[11:12], v[59:60], v[23:24], v[11:12]
	v_fma_f64 v[13:14], v[55:56], v[23:24], v[13:14]
	v_fma_f64 v[15:16], v[57:58], v[23:24], v[15:16]
	v_fma_f64 v[6:7], v[61:62], v[23:24], v[6:7]
	s_waitcnt vmcnt(5)
	v_fma_f64 v[11:12], v[79:80], v[25:26], v[11:12]
	v_fma_f64 v[13:14], v[51:52], v[25:26], v[13:14]
	v_fma_f64 v[15:16], v[53:54], v[25:26], v[15:16]
	v_fma_f64 v[6:7], v[81:82], v[25:26], v[6:7]
	s_waitcnt vmcnt(2)
	;; [unrolled: 5-line block ×3, first 2 shown]
	v_fma_f64 v[11:12], v[91:92], v[29:30], v[11:12]
	v_fma_f64 v[13:14], v[67:68], v[29:30], v[13:14]
	;; [unrolled: 1-line block ×4, first 2 shown]
	s_andn2_b32 exec_lo, exec_lo, s8
	s_cbranch_execnz .LBB5_33
; %bb.34:
	s_or_b32 exec_lo, exec_lo, s8
.LBB5_35:
	s_or_b32 exec_lo, exec_lo, s3
.LBB5_36:
	s_or_b32 exec_lo, exec_lo, s1
.LBB5_37:
	v_mbcnt_lo_u32_b32 v24, -1, 0
	v_xor_b32_e32 v0, 2, v24
	v_cmp_gt_i32_e32 vcc_lo, 32, v0
	v_cndmask_b32_e32 v0, v24, v0, vcc_lo
	v_lshlrev_b32_e32 v17, 2, v0
	ds_bpermute_b32 v0, v17, v13
	ds_bpermute_b32 v1, v17, v14
	;; [unrolled: 1-line block ×8, first 2 shown]
	s_waitcnt lgkmcnt(6)
	v_add_f64 v[17:18], v[13:14], v[0:1]
	s_waitcnt lgkmcnt(4)
	v_add_f64 v[13:14], v[15:16], v[4:5]
	;; [unrolled: 2-line block ×4, first 2 shown]
	v_xor_b32_e32 v6, 1, v24
	v_cmp_gt_i32_e32 vcc_lo, 32, v6
	v_cndmask_b32_e32 v6, v24, v6, vcc_lo
	v_cmp_eq_u32_e32 vcc_lo, 3, v21
	v_lshlrev_b32_e32 v7, 2, v6
	ds_bpermute_b32 v19, v7, v17
	ds_bpermute_b32 v20, v7, v18
	ds_bpermute_b32 v15, v7, v13
	ds_bpermute_b32 v16, v7, v14
	ds_bpermute_b32 v11, v7, v0
	ds_bpermute_b32 v12, v7, v1
	ds_bpermute_b32 v6, v7, v4
	ds_bpermute_b32 v7, v7, v5
	s_and_b32 exec_lo, exec_lo, vcc_lo
	s_cbranch_execz .LBB5_10
; %bb.38:
	s_waitcnt lgkmcnt(6)
	v_add_f64 v[17:18], v[17:18], v[19:20]
	s_waitcnt lgkmcnt(4)
	v_add_f64 v[13:14], v[13:14], v[15:16]
	;; [unrolled: 2-line block ×4, first 2 shown]
	s_load_dwordx2 s[0:1], s[4:5], 0x50
	v_lshlrev_b32_e32 v10, 2, v10
	s_mov_b32 s2, exec_lo
	v_mul_f64 v[4:5], v[2:3], v[17:18]
	v_mul_f64 v[6:7], v[2:3], v[13:14]
	;; [unrolled: 1-line block ×4, first 2 shown]
	v_cmpx_eq_f64_e32 0, v[8:9]
	s_xor_b32 s2, exec_lo, s2
	s_cbranch_execz .LBB5_40
; %bb.39:
	v_ashrrev_i32_e32 v11, 31, v10
	v_lshlrev_b64 v[8:9], 3, v[10:11]
                                        ; implicit-def: $vgpr10
	s_waitcnt lgkmcnt(0)
	v_add_co_u32 v8, vcc_lo, s0, v8
	v_add_co_ci_u32_e64 v9, null, s1, v9, vcc_lo
	global_store_dwordx4 v[8:9], v[4:7], off
	global_store_dwordx4 v[8:9], v[0:3], off offset:16
                                        ; implicit-def: $vgpr8_vgpr9
                                        ; implicit-def: $vgpr4_vgpr5
                                        ; implicit-def: $vgpr0_vgpr1
.LBB5_40:
	s_andn2_saveexec_b32 s2, s2
	s_cbranch_execz .LBB5_10
; %bb.41:
	v_ashrrev_i32_e32 v11, 31, v10
	v_lshlrev_b64 v[10:11], 3, v[10:11]
	s_waitcnt lgkmcnt(0)
	v_add_co_u32 v18, vcc_lo, s0, v10
	v_add_co_ci_u32_e64 v19, null, s1, v11, vcc_lo
	s_clause 0x1
	global_load_dwordx4 v[10:13], v[18:19], off
	global_load_dwordx4 v[14:17], v[18:19], off offset:16
	s_waitcnt vmcnt(1)
	v_fma_f64 v[4:5], v[8:9], v[10:11], v[4:5]
	v_fma_f64 v[6:7], v[8:9], v[12:13], v[6:7]
	s_waitcnt vmcnt(0)
	v_fma_f64 v[0:1], v[8:9], v[14:15], v[0:1]
	v_fma_f64 v[2:3], v[8:9], v[16:17], v[2:3]
	global_store_dwordx4 v[18:19], v[4:7], off
	global_store_dwordx4 v[18:19], v[0:3], off offset:16
	s_endpgm
	.section	.rodata,"a",@progbits
	.p2align	6, 0x0
	.amdhsa_kernel _ZN9rocsparseL18bsrxmvn_4x4_kernelILj128ELj4EdiidddEEvT3_20rocsparse_direction_NS_24const_host_device_scalarIT1_EES1_PKS1_PKT2_SA_S7_PKT4_PKT5_S5_PT6_21rocsparse_index_base_b
		.amdhsa_group_segment_fixed_size 0
		.amdhsa_private_segment_fixed_size 0
		.amdhsa_kernarg_size 96
		.amdhsa_user_sgpr_count 6
		.amdhsa_user_sgpr_private_segment_buffer 1
		.amdhsa_user_sgpr_dispatch_ptr 0
		.amdhsa_user_sgpr_queue_ptr 0
		.amdhsa_user_sgpr_kernarg_segment_ptr 1
		.amdhsa_user_sgpr_dispatch_id 0
		.amdhsa_user_sgpr_flat_scratch_init 0
		.amdhsa_user_sgpr_private_segment_size 0
		.amdhsa_wavefront_size32 1
		.amdhsa_uses_dynamic_stack 0
		.amdhsa_system_sgpr_private_segment_wavefront_offset 0
		.amdhsa_system_sgpr_workgroup_id_x 1
		.amdhsa_system_sgpr_workgroup_id_y 0
		.amdhsa_system_sgpr_workgroup_id_z 0
		.amdhsa_system_sgpr_workgroup_info 0
		.amdhsa_system_vgpr_workitem_id 0
		.amdhsa_next_free_vgpr 122
		.amdhsa_next_free_sgpr 16
		.amdhsa_reserve_vcc 1
		.amdhsa_reserve_flat_scratch 0
		.amdhsa_float_round_mode_32 0
		.amdhsa_float_round_mode_16_64 0
		.amdhsa_float_denorm_mode_32 3
		.amdhsa_float_denorm_mode_16_64 3
		.amdhsa_dx10_clamp 1
		.amdhsa_ieee_mode 1
		.amdhsa_fp16_overflow 0
		.amdhsa_workgroup_processor_mode 1
		.amdhsa_memory_ordered 1
		.amdhsa_forward_progress 1
		.amdhsa_shared_vgpr_count 0
		.amdhsa_exception_fp_ieee_invalid_op 0
		.amdhsa_exception_fp_denorm_src 0
		.amdhsa_exception_fp_ieee_div_zero 0
		.amdhsa_exception_fp_ieee_overflow 0
		.amdhsa_exception_fp_ieee_underflow 0
		.amdhsa_exception_fp_ieee_inexact 0
		.amdhsa_exception_int_div_zero 0
	.end_amdhsa_kernel
	.section	.text._ZN9rocsparseL18bsrxmvn_4x4_kernelILj128ELj4EdiidddEEvT3_20rocsparse_direction_NS_24const_host_device_scalarIT1_EES1_PKS1_PKT2_SA_S7_PKT4_PKT5_S5_PT6_21rocsparse_index_base_b,"axG",@progbits,_ZN9rocsparseL18bsrxmvn_4x4_kernelILj128ELj4EdiidddEEvT3_20rocsparse_direction_NS_24const_host_device_scalarIT1_EES1_PKS1_PKT2_SA_S7_PKT4_PKT5_S5_PT6_21rocsparse_index_base_b,comdat
.Lfunc_end5:
	.size	_ZN9rocsparseL18bsrxmvn_4x4_kernelILj128ELj4EdiidddEEvT3_20rocsparse_direction_NS_24const_host_device_scalarIT1_EES1_PKS1_PKT2_SA_S7_PKT4_PKT5_S5_PT6_21rocsparse_index_base_b, .Lfunc_end5-_ZN9rocsparseL18bsrxmvn_4x4_kernelILj128ELj4EdiidddEEvT3_20rocsparse_direction_NS_24const_host_device_scalarIT1_EES1_PKS1_PKT2_SA_S7_PKT4_PKT5_S5_PT6_21rocsparse_index_base_b
                                        ; -- End function
	.set _ZN9rocsparseL18bsrxmvn_4x4_kernelILj128ELj4EdiidddEEvT3_20rocsparse_direction_NS_24const_host_device_scalarIT1_EES1_PKS1_PKT2_SA_S7_PKT4_PKT5_S5_PT6_21rocsparse_index_base_b.num_vgpr, 122
	.set _ZN9rocsparseL18bsrxmvn_4x4_kernelILj128ELj4EdiidddEEvT3_20rocsparse_direction_NS_24const_host_device_scalarIT1_EES1_PKS1_PKT2_SA_S7_PKT4_PKT5_S5_PT6_21rocsparse_index_base_b.num_agpr, 0
	.set _ZN9rocsparseL18bsrxmvn_4x4_kernelILj128ELj4EdiidddEEvT3_20rocsparse_direction_NS_24const_host_device_scalarIT1_EES1_PKS1_PKT2_SA_S7_PKT4_PKT5_S5_PT6_21rocsparse_index_base_b.numbered_sgpr, 16
	.set _ZN9rocsparseL18bsrxmvn_4x4_kernelILj128ELj4EdiidddEEvT3_20rocsparse_direction_NS_24const_host_device_scalarIT1_EES1_PKS1_PKT2_SA_S7_PKT4_PKT5_S5_PT6_21rocsparse_index_base_b.num_named_barrier, 0
	.set _ZN9rocsparseL18bsrxmvn_4x4_kernelILj128ELj4EdiidddEEvT3_20rocsparse_direction_NS_24const_host_device_scalarIT1_EES1_PKS1_PKT2_SA_S7_PKT4_PKT5_S5_PT6_21rocsparse_index_base_b.private_seg_size, 0
	.set _ZN9rocsparseL18bsrxmvn_4x4_kernelILj128ELj4EdiidddEEvT3_20rocsparse_direction_NS_24const_host_device_scalarIT1_EES1_PKS1_PKT2_SA_S7_PKT4_PKT5_S5_PT6_21rocsparse_index_base_b.uses_vcc, 1
	.set _ZN9rocsparseL18bsrxmvn_4x4_kernelILj128ELj4EdiidddEEvT3_20rocsparse_direction_NS_24const_host_device_scalarIT1_EES1_PKS1_PKT2_SA_S7_PKT4_PKT5_S5_PT6_21rocsparse_index_base_b.uses_flat_scratch, 0
	.set _ZN9rocsparseL18bsrxmvn_4x4_kernelILj128ELj4EdiidddEEvT3_20rocsparse_direction_NS_24const_host_device_scalarIT1_EES1_PKS1_PKT2_SA_S7_PKT4_PKT5_S5_PT6_21rocsparse_index_base_b.has_dyn_sized_stack, 0
	.set _ZN9rocsparseL18bsrxmvn_4x4_kernelILj128ELj4EdiidddEEvT3_20rocsparse_direction_NS_24const_host_device_scalarIT1_EES1_PKS1_PKT2_SA_S7_PKT4_PKT5_S5_PT6_21rocsparse_index_base_b.has_recursion, 0
	.set _ZN9rocsparseL18bsrxmvn_4x4_kernelILj128ELj4EdiidddEEvT3_20rocsparse_direction_NS_24const_host_device_scalarIT1_EES1_PKS1_PKT2_SA_S7_PKT4_PKT5_S5_PT6_21rocsparse_index_base_b.has_indirect_call, 0
	.section	.AMDGPU.csdata,"",@progbits
; Kernel info:
; codeLenInByte = 4464
; TotalNumSgprs: 18
; NumVgprs: 122
; ScratchSize: 0
; MemoryBound: 1
; FloatMode: 240
; IeeeMode: 1
; LDSByteSize: 0 bytes/workgroup (compile time only)
; SGPRBlocks: 0
; VGPRBlocks: 15
; NumSGPRsForWavesPerEU: 18
; NumVGPRsForWavesPerEU: 122
; Occupancy: 8
; WaveLimiterHint : 1
; COMPUTE_PGM_RSRC2:SCRATCH_EN: 0
; COMPUTE_PGM_RSRC2:USER_SGPR: 6
; COMPUTE_PGM_RSRC2:TRAP_HANDLER: 0
; COMPUTE_PGM_RSRC2:TGID_X_EN: 1
; COMPUTE_PGM_RSRC2:TGID_Y_EN: 0
; COMPUTE_PGM_RSRC2:TGID_Z_EN: 0
; COMPUTE_PGM_RSRC2:TIDIG_COMP_CNT: 0
	.section	.text._ZN9rocsparseL18bsrxmvn_4x4_kernelILj128ELj8EdiidddEEvT3_20rocsparse_direction_NS_24const_host_device_scalarIT1_EES1_PKS1_PKT2_SA_S7_PKT4_PKT5_S5_PT6_21rocsparse_index_base_b,"axG",@progbits,_ZN9rocsparseL18bsrxmvn_4x4_kernelILj128ELj8EdiidddEEvT3_20rocsparse_direction_NS_24const_host_device_scalarIT1_EES1_PKS1_PKT2_SA_S7_PKT4_PKT5_S5_PT6_21rocsparse_index_base_b,comdat
	.globl	_ZN9rocsparseL18bsrxmvn_4x4_kernelILj128ELj8EdiidddEEvT3_20rocsparse_direction_NS_24const_host_device_scalarIT1_EES1_PKS1_PKT2_SA_S7_PKT4_PKT5_S5_PT6_21rocsparse_index_base_b ; -- Begin function _ZN9rocsparseL18bsrxmvn_4x4_kernelILj128ELj8EdiidddEEvT3_20rocsparse_direction_NS_24const_host_device_scalarIT1_EES1_PKS1_PKT2_SA_S7_PKT4_PKT5_S5_PT6_21rocsparse_index_base_b
	.p2align	8
	.type	_ZN9rocsparseL18bsrxmvn_4x4_kernelILj128ELj8EdiidddEEvT3_20rocsparse_direction_NS_24const_host_device_scalarIT1_EES1_PKS1_PKT2_SA_S7_PKT4_PKT5_S5_PT6_21rocsparse_index_base_b,@function
_ZN9rocsparseL18bsrxmvn_4x4_kernelILj128ELj8EdiidddEEvT3_20rocsparse_direction_NS_24const_host_device_scalarIT1_EES1_PKS1_PKT2_SA_S7_PKT4_PKT5_S5_PT6_21rocsparse_index_base_b: ; @_ZN9rocsparseL18bsrxmvn_4x4_kernelILj128ELj8EdiidddEEvT3_20rocsparse_direction_NS_24const_host_device_scalarIT1_EES1_PKS1_PKT2_SA_S7_PKT4_PKT5_S5_PT6_21rocsparse_index_base_b
; %bb.0:
	s_clause 0x2
	s_load_dwordx2 s[2:3], s[4:5], 0x58
	s_load_dwordx2 s[8:9], s[4:5], 0x8
	;; [unrolled: 1-line block ×3, first 2 shown]
	s_waitcnt lgkmcnt(0)
	s_bitcmp1_b32 s3, 0
	v_mov_b32_e32 v2, s8
	v_mov_b32_e32 v3, s9
	s_cselect_b32 s3, -1, 0
	s_and_b32 vcc_lo, exec_lo, s3
	s_xor_b32 s3, s3, -1
	s_cbranch_vccnz .LBB6_2
; %bb.1:
	v_mov_b32_e32 v1, s8
	v_mov_b32_e32 v2, s9
	flat_load_dwordx2 v[2:3], v[1:2]
.LBB6_2:
	v_mov_b32_e32 v9, s1
	v_mov_b32_e32 v8, s0
	s_andn2_b32 vcc_lo, exec_lo, s3
	s_cbranch_vccnz .LBB6_4
; %bb.3:
	v_mov_b32_e32 v5, s1
	v_mov_b32_e32 v4, s0
	flat_load_dwordx2 v[8:9], v[4:5]
.LBB6_4:
	s_waitcnt vmcnt(0) lgkmcnt(0)
	v_cmp_neq_f64_e32 vcc_lo, 0, v[2:3]
	v_cmp_neq_f64_e64 s0, 1.0, v[8:9]
	s_or_b32 s0, vcc_lo, s0
	s_and_saveexec_b32 s1, s0
	s_cbranch_execz .LBB6_10
; %bb.5:
	s_clause 0x1
	s_load_dwordx2 s[8:9], s[4:5], 0x18
	s_load_dwordx2 s[0:1], s[4:5], 0x0
	v_lshrrev_b32_e32 v1, 3, v0
	v_lshl_or_b32 v10, s6, 4, v1
	s_waitcnt lgkmcnt(0)
	s_cmp_lg_u64 s[8:9], 0
	s_cbranch_scc0 .LBB6_11
; %bb.6:
	s_load_dword s3, s[4:5], 0x10
	s_mov_b32 s6, 0
                                        ; implicit-def: $vgpr1
	s_waitcnt lgkmcnt(0)
	v_cmp_gt_i32_e32 vcc_lo, s3, v10
	s_mov_b32 s3, 0
	s_and_saveexec_b32 s7, vcc_lo
	s_xor_b32 s7, exec_lo, s7
	s_cbranch_execz .LBB6_8
; %bb.7:
	v_ashrrev_i32_e32 v11, 31, v10
	s_mov_b32 s3, exec_lo
	v_lshlrev_b64 v[4:5], 2, v[10:11]
	v_add_co_u32 v4, vcc_lo, s8, v4
	v_add_co_ci_u32_e64 v5, null, s9, v5, vcc_lo
	global_load_dword v1, v[4:5], off
	s_waitcnt vmcnt(0)
	v_subrev_nc_u32_e32 v1, s2, v1
.LBB6_8:
	s_or_b32 exec_lo, exec_lo, s7
	s_and_b32 vcc_lo, exec_lo, s6
	s_cbranch_vccz .LBB6_12
.LBB6_9:
	v_cmp_gt_i32_e32 vcc_lo, s0, v10
	s_andn2_b32 s0, s3, exec_lo
	s_and_b32 s3, vcc_lo, exec_lo
	s_or_b32 s3, s0, s3
	s_and_b32 exec_lo, exec_lo, s3
	s_cbranch_execnz .LBB6_13
.LBB6_10:
	s_endpgm
.LBB6_11:
	s_mov_b32 s3, 0
                                        ; implicit-def: $vgpr1
	s_cbranch_execnz .LBB6_9
.LBB6_12:
	v_mov_b32_e32 v10, v1
	s_and_b32 exec_lo, exec_lo, s3
	s_cbranch_execz .LBB6_10
.LBB6_13:
	s_load_dwordx8 s[8:15], s[4:5], 0x20
	v_ashrrev_i32_e32 v11, 31, v10
	v_and_b32_e32 v21, 7, v0
	s_load_dwordx2 s[6:7], s[4:5], 0x40
	v_lshlrev_b64 v[4:5], 2, v[10:11]
	s_waitcnt lgkmcnt(0)
	v_add_co_u32 v6, vcc_lo, s8, v4
	v_add_co_ci_u32_e64 v7, null, s9, v5, vcc_lo
	v_add_co_u32 v1, vcc_lo, s10, v4
	v_add_co_ci_u32_e64 v4, null, s11, v5, vcc_lo
	global_load_dword v23, v[6:7], off
	v_add_co_u32 v6, vcc_lo, v6, 4
	v_add_co_ci_u32_e64 v5, null, 0, v7, vcc_lo
	s_cmp_eq_u64 s[10:11], 0
	s_cselect_b32 vcc_lo, -1, 0
	s_cmp_eq_u32 s1, 1
	v_cndmask_b32_e32 v5, v4, v5, vcc_lo
	v_cndmask_b32_e32 v4, v1, v6, vcc_lo
	global_load_dword v6, v[4:5], off
	s_waitcnt vmcnt(1)
	v_subrev_nc_u32_e32 v0, s2, v23
	v_add_nc_u32_e32 v0, v0, v21
	v_ashrrev_i32_e32 v1, 31, v0
	s_waitcnt vmcnt(0)
	v_subrev_nc_u32_e32 v22, s2, v6
	v_lshlrev_b64 v[4:5], 7, v[0:1]
	v_cmp_lt_i32_e64 s0, v0, v22
	v_add_co_u32 v4, vcc_lo, s14, v4
	v_add_co_ci_u32_e64 v5, null, s15, v5, vcc_lo
	s_cbranch_scc1 .LBB6_25
; %bb.14:
	v_mov_b32_e32 v6, 0
	v_mov_b32_e32 v11, 0
	;; [unrolled: 1-line block ×8, first 2 shown]
	s_and_saveexec_b32 s3, s0
	s_cbranch_execz .LBB6_24
; %bb.15:
	v_add_nc_u32_e32 v1, v23, v21
	v_not_b32_e32 v6, v23
	v_mov_b32_e32 v13, 0
	v_mov_b32_e32 v15, 0
	;; [unrolled: 1-line block ×3, first 2 shown]
	v_subrev_nc_u32_e32 v1, s2, v1
	v_mov_b32_e32 v14, 0
	v_mov_b32_e32 v16, 0
	;; [unrolled: 1-line block ×4, first 2 shown]
	v_add_nc_u32_e32 v1, 8, v1
	v_max_i32_e32 v1, v1, v22
	v_add3_u32 v1, s2, v1, v6
	v_mov_b32_e32 v6, 0
	v_mov_b32_e32 v7, 0
	v_sub_nc_u32_e32 v1, v1, v21
	v_and_b32_e32 v17, 24, v1
	v_cmp_ne_u32_e32 vcc_lo, 24, v17
	v_mov_b32_e32 v18, v5
	v_mov_b32_e32 v17, v4
	s_and_saveexec_b32 s1, vcc_lo
	s_cbranch_execz .LBB6_19
; %bb.16:
	v_lshrrev_b32_e32 v6, 3, v1
	v_mov_b32_e32 v18, v5
	v_mov_b32_e32 v15, 0
	;; [unrolled: 1-line block ×4, first 2 shown]
	v_add_nc_u32_e32 v11, 1, v6
	v_mov_b32_e32 v6, 0
	v_mov_b32_e32 v7, 0
	;; [unrolled: 1-line block ×4, first 2 shown]
	v_and_b32_e32 v19, 3, v11
	v_mov_b32_e32 v11, 0
	v_mov_b32_e32 v12, 0
	s_mov_b32 s8, 0
	v_sub_nc_u32_e32 v24, 0, v19
	v_mov_b32_e32 v19, v0
.LBB6_17:                               ; =>This Inner Loop Header: Depth=1
	v_ashrrev_i32_e32 v20, 31, v19
	v_add_co_u32 v24, s9, v24, 1
	s_or_b32 s8, s9, s8
	v_lshlrev_b64 v[25:26], 2, v[19:20]
	v_add_nc_u32_e32 v19, 8, v19
	v_add_co_u32 v25, vcc_lo, s12, v25
	v_add_co_ci_u32_e64 v26, null, s13, v26, vcc_lo
	global_load_dword v20, v[25:26], off
	s_clause 0x6
	global_load_dwordx4 v[25:28], v[17:18], off offset:48
	global_load_dwordx4 v[29:32], v[17:18], off offset:32
	global_load_dwordx4 v[33:36], v[17:18], off offset:16
	global_load_dwordx4 v[37:40], v[17:18], off
	global_load_dwordx4 v[41:44], v[17:18], off offset:112
	global_load_dwordx4 v[45:48], v[17:18], off offset:96
	;; [unrolled: 1-line block ×3, first 2 shown]
	s_waitcnt vmcnt(7)
	v_subrev_nc_u32_e32 v20, s2, v20
	v_lshlrev_b32_e32 v53, 2, v20
	v_ashrrev_i32_e32 v54, 31, v53
	v_lshlrev_b64 v[53:54], 3, v[53:54]
	v_add_co_u32 v61, vcc_lo, s6, v53
	v_add_co_ci_u32_e64 v62, null, s7, v54, vcc_lo
	global_load_dwordx4 v[53:56], v[17:18], off offset:64
	s_clause 0x1
	global_load_dwordx4 v[57:60], v[61:62], off
	global_load_dwordx4 v[61:64], v[61:62], off offset:16
	v_add_co_u32 v17, vcc_lo, 0x400, v17
	v_add_co_ci_u32_e64 v18, null, 0, v18, vcc_lo
	s_waitcnt vmcnt(1)
	v_fma_f64 v[13:14], v[37:38], v[57:58], v[13:14]
	v_fma_f64 v[15:16], v[29:30], v[57:58], v[15:16]
	;; [unrolled: 1-line block ×8, first 2 shown]
	s_waitcnt vmcnt(0)
	v_fma_f64 v[13:14], v[33:34], v[61:62], v[13:14]
	v_fma_f64 v[15:16], v[25:26], v[61:62], v[15:16]
	;; [unrolled: 1-line block ×8, first 2 shown]
	s_andn2_b32 exec_lo, exec_lo, s8
	s_cbranch_execnz .LBB6_17
; %bb.18:
	s_or_b32 exec_lo, exec_lo, s8
.LBB6_19:
	s_or_b32 exec_lo, exec_lo, s1
	s_mov_b32 s8, exec_lo
	v_cmpx_lt_u32_e32 23, v1
	s_cbranch_execz .LBB6_23
; %bb.20:
	s_mov_b32 s9, 0
.LBB6_21:                               ; =>This Inner Loop Header: Depth=1
	v_ashrrev_i32_e32 v20, 31, v19
	v_add_co_u32 v112, vcc_lo, 0x800, v17
	v_add_co_ci_u32_e64 v113, null, 0, v18, vcc_lo
	v_lshlrev_b64 v[104:105], 2, v[19:20]
	s_clause 0x13
	global_load_dwordx4 v[24:27], v[17:18], off offset:48
	global_load_dwordx4 v[28:31], v[17:18], off offset:32
	;; [unrolled: 1-line block ×3, first 2 shown]
	global_load_dwordx4 v[36:39], v[17:18], off
	global_load_dwordx4 v[40:43], v[17:18], off offset:112
	global_load_dwordx4 v[44:47], v[17:18], off offset:96
	;; [unrolled: 1-line block ×14, first 2 shown]
	global_load_dwordx4 v[96:99], v[112:113], off
	global_load_dwordx4 v[100:103], v[112:113], off offset:16
	v_add_nc_u32_e32 v19, 32, v19
	v_add_co_u32 v17, s1, 0x1000, v17
	v_add_co_u32 v104, vcc_lo, s12, v104
	v_add_co_ci_u32_e64 v105, null, s13, v105, vcc_lo
	v_add_co_ci_u32_e64 v18, null, 0, v18, s1
	s_clause 0x3
	global_load_dword v1, v[104:105], off
	global_load_dword v20, v[104:105], off offset:32
	global_load_dword v118, v[104:105], off offset:64
	global_load_dword v120, v[104:105], off offset:96
	s_waitcnt vmcnt(3)
	v_subrev_nc_u32_e32 v1, s2, v1
	v_lshlrev_b32_e32 v104, 2, v1
	s_waitcnt vmcnt(2)
	v_subrev_nc_u32_e32 v1, s2, v20
	v_ashrrev_i32_e32 v105, 31, v104
	v_lshlrev_b64 v[104:105], 3, v[104:105]
	v_add_co_u32 v108, vcc_lo, s6, v104
	v_add_co_ci_u32_e64 v109, null, s7, v105, vcc_lo
	s_clause 0x1
	global_load_dwordx4 v[104:107], v[108:109], off
	global_load_dwordx4 v[108:111], v[108:109], off offset:16
	s_waitcnt vmcnt(1)
	v_fma_f64 v[13:14], v[36:37], v[104:105], v[13:14]
	v_fma_f64 v[11:12], v[52:53], v[104:105], v[11:12]
	;; [unrolled: 1-line block ×3, first 2 shown]
	v_lshlrev_b32_e32 v52, 2, v1
	v_subrev_nc_u32_e32 v1, s2, v118
	v_ashrrev_i32_e32 v53, 31, v52
	v_lshlrev_b64 v[52:53], 3, v[52:53]
	v_fma_f64 v[114:115], v[38:39], v[106:107], v[13:14]
	v_fma_f64 v[13:14], v[28:29], v[104:105], v[15:16]
	;; [unrolled: 1-line block ×4, first 2 shown]
	v_add_co_u32 v104, vcc_lo, s6, v52
	v_add_co_ci_u32_e64 v105, null, s7, v53, vcc_lo
	s_clause 0x2
	global_load_dwordx4 v[36:39], v[112:113], off offset:112
	global_load_dwordx4 v[52:55], v[112:113], off offset:1072
	;; [unrolled: 1-line block ×3, first 2 shown]
	s_waitcnt vmcnt(3)
	v_fma_f64 v[32:33], v[32:33], v[108:109], v[114:115]
	v_fma_f64 v[116:117], v[30:31], v[106:107], v[13:14]
	;; [unrolled: 1-line block ×4, first 2 shown]
	v_lshlrev_b32_e32 v106, 2, v1
	s_clause 0x1
	global_load_dwordx4 v[13:16], v[112:113], off offset:96
	global_load_dwordx4 v[28:31], v[112:113], off offset:80
	v_subrev_nc_u32_e32 v1, s2, v120
	v_ashrrev_i32_e32 v107, 31, v106
	v_lshlrev_b64 v[118:119], 3, v[106:107]
	v_fma_f64 v[114:115], v[34:35], v[110:111], v[32:33]
	v_fma_f64 v[24:25], v[24:25], v[108:109], v[116:117]
	global_load_dwordx4 v[32:35], v[112:113], off offset:1056
	v_fma_f64 v[11:12], v[50:51], v[110:111], v[11:12]
	v_fma_f64 v[6:7], v[42:43], v[110:111], v[6:7]
	v_add_co_u32 v108, vcc_lo, s6, v118
	v_add_co_ci_u32_e64 v109, null, s7, v119, vcc_lo
	global_load_dwordx4 v[48:51], v[112:113], off offset:1024
	v_fma_f64 v[116:117], v[26:27], v[110:111], v[24:25]
	global_load_dwordx4 v[24:27], v[112:113], off offset:1040
	s_clause 0x1
	global_load_dwordx4 v[40:43], v[104:105], off
	global_load_dwordx4 v[104:107], v[104:105], off offset:16
	s_waitcnt vmcnt(1)
	v_fma_f64 v[68:69], v[68:69], v[40:41], v[114:115]
	v_fma_f64 v[60:61], v[60:61], v[40:41], v[116:117]
	;; [unrolled: 1-line block ×4, first 2 shown]
	v_lshlrev_b32_e32 v40, 2, v1
	v_ashrrev_i32_e32 v41, 31, v40
	v_lshlrev_b64 v[40:41], 3, v[40:41]
	v_add_co_u32 v118, vcc_lo, s6, v40
	v_fma_f64 v[114:115], v[70:71], v[42:43], v[68:69]
	s_clause 0x1
	global_load_dwordx4 v[68:71], v[108:109], off
	global_load_dwordx4 v[108:111], v[108:109], off offset:16
	v_add_co_ci_u32_e64 v119, null, s7, v41, vcc_lo
	v_fma_f64 v[116:117], v[62:63], v[42:43], v[60:61]
	global_load_dwordx4 v[60:63], v[112:113], off offset:1120
	v_fma_f64 v[11:12], v[86:87], v[42:43], v[11:12]
	global_load_dwordx4 v[84:87], v[112:113], off offset:1088
	v_fma_f64 v[6:7], v[78:79], v[42:43], v[6:7]
	global_load_dwordx4 v[40:43], v[118:119], off
	v_cmp_ge_i32_e32 vcc_lo, v19, v22
	s_or_b32 s9, vcc_lo, s9
	s_waitcnt vmcnt(5)
	v_fma_f64 v[64:65], v[64:65], v[104:105], v[114:115]
	v_fma_f64 v[56:57], v[56:57], v[104:105], v[116:117]
	;; [unrolled: 1-line block ×5, first 2 shown]
	s_clause 0x1
	global_load_dwordx4 v[64:67], v[112:113], off offset:1136
	global_load_dwordx4 v[76:79], v[112:113], off offset:1104
	v_fma_f64 v[112:113], v[58:59], v[106:107], v[56:57]
	global_load_dwordx4 v[56:59], v[118:119], off offset:16
	v_fma_f64 v[11:12], v[82:83], v[106:107], v[11:12]
	v_fma_f64 v[6:7], v[74:75], v[106:107], v[6:7]
	s_waitcnt vmcnt(7)
	v_fma_f64 v[72:73], v[96:97], v[68:69], v[114:115]
	v_fma_f64 v[74:75], v[92:93], v[68:69], v[112:113]
	v_fma_f64 v[11:12], v[44:45], v[68:69], v[11:12]
	v_fma_f64 v[6:7], v[13:14], v[68:69], v[6:7]
	v_fma_f64 v[13:14], v[98:99], v[70:71], v[72:73]
	v_fma_f64 v[44:45], v[94:95], v[70:71], v[74:75]
	v_fma_f64 v[11:12], v[46:47], v[70:71], v[11:12]
	v_fma_f64 v[6:7], v[15:16], v[70:71], v[6:7]
	s_waitcnt vmcnt(6)
	v_fma_f64 v[13:14], v[100:101], v[108:109], v[13:14]
	v_fma_f64 v[15:16], v[88:89], v[108:109], v[44:45]
	v_fma_f64 v[11:12], v[28:29], v[108:109], v[11:12]
	v_fma_f64 v[6:7], v[36:37], v[108:109], v[6:7]
	v_fma_f64 v[13:14], v[102:103], v[110:111], v[13:14]
	v_fma_f64 v[15:16], v[90:91], v[110:111], v[15:16]
	;; [unrolled: 9-line block ×4, first 2 shown]
	v_fma_f64 v[11:12], v[78:79], v[58:59], v[11:12]
	v_fma_f64 v[6:7], v[66:67], v[58:59], v[6:7]
	s_andn2_b32 exec_lo, exec_lo, s9
	s_cbranch_execnz .LBB6_21
; %bb.22:
	s_or_b32 exec_lo, exec_lo, s9
.LBB6_23:
	s_or_b32 exec_lo, exec_lo, s8
.LBB6_24:
	s_or_b32 exec_lo, exec_lo, s3
	s_cbranch_execz .LBB6_26
	s_branch .LBB6_37
.LBB6_25:
                                        ; implicit-def: $vgpr6_vgpr7
                                        ; implicit-def: $vgpr11_vgpr12
                                        ; implicit-def: $vgpr15_vgpr16
                                        ; implicit-def: $vgpr13_vgpr14
.LBB6_26:
	v_mov_b32_e32 v6, 0
	v_mov_b32_e32 v11, 0
	;; [unrolled: 1-line block ×8, first 2 shown]
	s_and_saveexec_b32 s1, s0
	s_cbranch_execz .LBB6_36
; %bb.27:
	v_add_nc_u32_e32 v1, v23, v21
	v_not_b32_e32 v6, v23
	v_mov_b32_e32 v13, 0
	v_mov_b32_e32 v15, 0
	;; [unrolled: 1-line block ×3, first 2 shown]
	v_subrev_nc_u32_e32 v1, s2, v1
	v_mov_b32_e32 v14, 0
	v_mov_b32_e32 v16, 0
	;; [unrolled: 1-line block ×3, first 2 shown]
	s_mov_b32 s0, exec_lo
	v_add_nc_u32_e32 v1, 8, v1
	v_max_i32_e32 v1, v1, v22
	v_add3_u32 v1, s2, v1, v6
	v_mov_b32_e32 v6, 0
	v_mov_b32_e32 v7, 0
	v_sub_nc_u32_e32 v17, v1, v21
	v_and_b32_e32 v1, 24, v17
	v_cmpx_ne_u32_e32 24, v1
	s_cbranch_execz .LBB6_31
; %bb.28:
	v_lshrrev_b32_e32 v1, 3, v17
	v_mov_b32_e32 v6, 0
	v_mov_b32_e32 v11, 0
	;; [unrolled: 1-line block ×4, first 2 shown]
	v_add_nc_u32_e32 v1, 1, v1
	v_mov_b32_e32 v7, 0
	v_mov_b32_e32 v12, 0
	;; [unrolled: 1-line block ×4, first 2 shown]
	v_and_b32_e32 v1, 3, v1
	s_mov_b32 s3, 0
	v_sub_nc_u32_e32 v18, 0, v1
.LBB6_29:                               ; =>This Inner Loop Header: Depth=1
	v_ashrrev_i32_e32 v1, 31, v0
	v_add_co_u32 v18, s8, v18, 1
	s_or_b32 s3, s8, s3
	v_lshlrev_b64 v[19:20], 2, v[0:1]
	v_add_nc_u32_e32 v0, 8, v0
	v_add_co_u32 v19, vcc_lo, s12, v19
	v_add_co_ci_u32_e64 v20, null, s13, v20, vcc_lo
	global_load_dword v1, v[19:20], off
	global_load_dwordx4 v[23:26], v[4:5], off offset:16
	s_waitcnt vmcnt(1)
	v_subrev_nc_u32_e32 v1, s2, v1
	v_lshlrev_b32_e32 v19, 2, v1
	v_ashrrev_i32_e32 v20, 31, v19
	v_lshlrev_b64 v[19:20], 3, v[19:20]
	v_add_co_u32 v19, vcc_lo, s6, v19
	v_add_co_ci_u32_e64 v20, null, s7, v20, vcc_lo
	global_load_dwordx4 v[27:30], v[4:5], off
	s_clause 0x1
	global_load_dwordx4 v[31:34], v[19:20], off
	global_load_dwordx4 v[35:38], v[19:20], off offset:16
	s_clause 0x5
	global_load_dwordx4 v[39:42], v[4:5], off offset:32
	global_load_dwordx4 v[43:46], v[4:5], off offset:48
	;; [unrolled: 1-line block ×6, first 2 shown]
	v_add_co_u32 v4, vcc_lo, 0x400, v4
	v_add_co_ci_u32_e64 v5, null, 0, v5, vcc_lo
	s_waitcnt vmcnt(7)
	v_fma_f64 v[13:14], v[27:28], v[31:32], v[13:14]
	v_fma_f64 v[15:16], v[29:30], v[31:32], v[15:16]
	v_fma_f64 v[11:12], v[23:24], v[31:32], v[11:12]
	v_fma_f64 v[6:7], v[25:26], v[31:32], v[6:7]
	s_waitcnt vmcnt(5)
	v_fma_f64 v[13:14], v[39:40], v[33:34], v[13:14]
	v_fma_f64 v[15:16], v[41:42], v[33:34], v[15:16]
	s_waitcnt vmcnt(4)
	v_fma_f64 v[11:12], v[43:44], v[33:34], v[11:12]
	v_fma_f64 v[6:7], v[45:46], v[33:34], v[6:7]
	;; [unrolled: 3-line block ×6, first 2 shown]
	s_andn2_b32 exec_lo, exec_lo, s3
	s_cbranch_execnz .LBB6_29
; %bb.30:
	s_or_b32 exec_lo, exec_lo, s3
.LBB6_31:
	s_or_b32 exec_lo, exec_lo, s0
	s_mov_b32 s3, exec_lo
	v_cmpx_lt_u32_e32 23, v17
	s_cbranch_execz .LBB6_35
; %bb.32:
	s_mov_b32 s8, 0
.LBB6_33:                               ; =>This Inner Loop Header: Depth=1
	v_ashrrev_i32_e32 v1, 31, v0
	v_add_co_u32 v91, vcc_lo, 0x800, v4
	v_add_co_ci_u32_e64 v92, null, 0, v5, vcc_lo
	v_lshlrev_b64 v[83:84], 2, v[0:1]
	s_clause 0xf
	global_load_dwordx4 v[17:20], v[4:5], off offset:48
	global_load_dwordx4 v[23:26], v[4:5], off offset:32
	;; [unrolled: 1-line block ×3, first 2 shown]
	global_load_dwordx4 v[31:34], v[4:5], off
	global_load_dwordx4 v[35:38], v[4:5], off offset:112
	global_load_dwordx4 v[39:42], v[4:5], off offset:96
	;; [unrolled: 1-line block ×12, first 2 shown]
	v_add_nc_u32_e32 v0, 32, v0
	v_add_co_u32 v4, s0, 0x1000, v4
	v_add_co_u32 v83, vcc_lo, s12, v83
	v_add_co_ci_u32_e64 v84, null, s13, v84, vcc_lo
	v_add_co_ci_u32_e64 v5, null, 0, v5, s0
	s_clause 0x3
	global_load_dword v1, v[83:84], off
	global_load_dword v85, v[83:84], off offset:32
	global_load_dword v86, v[83:84], off offset:64
	;; [unrolled: 1-line block ×3, first 2 shown]
	s_waitcnt vmcnt(3)
	v_subrev_nc_u32_e32 v1, s2, v1
	s_waitcnt vmcnt(2)
	v_subrev_nc_u32_e32 v84, s2, v85
	;; [unrolled: 2-line block ×3, first 2 shown]
	v_lshlrev_b32_e32 v83, 2, v1
	v_lshlrev_b32_e32 v85, 2, v84
	;; [unrolled: 1-line block ×3, first 2 shown]
	s_waitcnt vmcnt(0)
	v_subrev_nc_u32_e32 v1, s2, v99
	v_ashrrev_i32_e32 v84, 31, v83
	v_ashrrev_i32_e32 v86, 31, v85
	;; [unrolled: 1-line block ×3, first 2 shown]
	v_lshlrev_b64 v[83:84], 3, v[83:84]
	v_lshlrev_b64 v[85:86], 3, v[85:86]
	;; [unrolled: 1-line block ×3, first 2 shown]
	v_add_co_u32 v89, vcc_lo, s6, v83
	v_add_co_ci_u32_e64 v90, null, s7, v84, vcc_lo
	v_add_co_u32 v93, vcc_lo, s6, v85
	v_add_co_ci_u32_e64 v94, null, s7, v86, vcc_lo
	;; [unrolled: 2-line block ×3, first 2 shown]
	s_clause 0x1
	global_load_dwordx4 v[83:86], v[89:90], off
	global_load_dwordx4 v[87:90], v[89:90], off offset:16
	s_waitcnt vmcnt(1)
	v_fma_f64 v[31:32], v[31:32], v[83:84], v[13:14]
	v_fma_f64 v[33:34], v[33:34], v[83:84], v[15:16]
	;; [unrolled: 1-line block ×4, first 2 shown]
	s_clause 0x1
	global_load_dwordx4 v[13:16], v[91:92], off
	global_load_dwordx4 v[27:30], v[91:92], off offset:16
	v_fma_f64 v[83:84], v[23:24], v[85:86], v[31:32]
	v_fma_f64 v[97:98], v[25:26], v[85:86], v[33:34]
	global_load_dwordx4 v[23:26], v[93:94], off
	v_fma_f64 v[11:12], v[17:18], v[85:86], v[11:12]
	v_fma_f64 v[6:7], v[19:20], v[85:86], v[6:7]
	s_clause 0x1
	global_load_dwordx4 v[17:20], v[93:94], off offset:16
	global_load_dwordx4 v[31:34], v[95:96], off
	s_waitcnt vmcnt(5)
	v_fma_f64 v[83:84], v[47:48], v[87:88], v[83:84]
	v_fma_f64 v[85:86], v[49:50], v[87:88], v[97:98]
	global_load_dwordx4 v[47:50], v[91:92], off offset:32
	v_fma_f64 v[11:12], v[43:44], v[87:88], v[11:12]
	v_fma_f64 v[6:7], v[45:46], v[87:88], v[6:7]
	global_load_dwordx4 v[43:46], v[91:92], off offset:48
	;; [unrolled: 3-line block ×3, first 2 shown]
	v_fma_f64 v[11:12], v[35:36], v[89:90], v[11:12]
	v_fma_f64 v[6:7], v[37:38], v[89:90], v[6:7]
	s_clause 0x1
	global_load_dwordx4 v[35:38], v[91:92], off offset:80
	global_load_dwordx4 v[83:86], v[91:92], off offset:64
	;; [unrolled: 1-line block ×3, first 2 shown]
	s_waitcnt vmcnt(8)
	v_fma_f64 v[93:94], v[63:64], v[23:24], v[93:94]
	v_fma_f64 v[95:96], v[65:66], v[23:24], v[97:98]
	global_load_dwordx4 v[63:66], v[91:92], off offset:96
	v_fma_f64 v[11:12], v[59:60], v[23:24], v[11:12]
	v_fma_f64 v[6:7], v[61:62], v[23:24], v[6:7]
	v_lshlrev_b32_e32 v23, 2, v1
	global_load_dwordx4 v[59:62], v[91:92], off offset:1040
	v_ashrrev_i32_e32 v24, 31, v23
	v_lshlrev_b64 v[23:24], 3, v[23:24]
	v_fma_f64 v[55:56], v[55:56], v[25:26], v[93:94]
	v_add_co_u32 v93, vcc_lo, s6, v23
	v_add_co_ci_u32_e64 v94, null, s7, v24, vcc_lo
	v_fma_f64 v[57:58], v[57:58], v[25:26], v[95:96]
	v_fma_f64 v[11:12], v[51:52], v[25:26], v[11:12]
	;; [unrolled: 1-line block ×3, first 2 shown]
	global_load_dwordx4 v[23:26], v[91:92], off offset:1024
	global_load_dwordx4 v[51:54], v[93:94], off
	v_cmp_ge_i32_e32 vcc_lo, v0, v22
	s_or_b32 s8, vcc_lo, s8
	s_waitcnt vmcnt(11)
	v_fma_f64 v[79:80], v[79:80], v[17:18], v[55:56]
	v_fma_f64 v[81:82], v[81:82], v[17:18], v[57:58]
	global_load_dwordx4 v[55:58], v[91:92], off offset:1056
	v_fma_f64 v[11:12], v[75:76], v[17:18], v[11:12]
	v_fma_f64 v[6:7], v[77:78], v[17:18], v[6:7]
	global_load_dwordx4 v[75:78], v[91:92], off offset:1072
	;; [unrolled: 3-line block ×4, first 2 shown]
	global_load_dwordx4 v[67:70], v[93:94], off offset:16
	s_clause 0x1
	global_load_dwordx4 v[79:82], v[91:92], off offset:1120
	global_load_dwordx4 v[91:94], v[91:92], off offset:1136
	s_waitcnt vmcnt(17)
	v_fma_f64 v[13:14], v[13:14], v[31:32], v[95:96]
	v_fma_f64 v[15:16], v[15:16], v[31:32], v[97:98]
	;; [unrolled: 1-line block ×4, first 2 shown]
	s_waitcnt vmcnt(16)
	v_fma_f64 v[13:14], v[47:48], v[33:34], v[13:14]
	v_fma_f64 v[15:16], v[49:50], v[33:34], v[15:16]
	s_waitcnt vmcnt(15)
	v_fma_f64 v[11:12], v[43:44], v[33:34], v[11:12]
	v_fma_f64 v[6:7], v[45:46], v[33:34], v[6:7]
	;; [unrolled: 3-line block ×3, first 2 shown]
	v_fma_f64 v[11:12], v[35:36], v[87:88], v[11:12]
	v_fma_f64 v[6:7], v[37:38], v[87:88], v[6:7]
	;; [unrolled: 1-line block ×4, first 2 shown]
	s_waitcnt vmcnt(10)
	v_fma_f64 v[13:14], v[63:64], v[89:90], v[13:14]
	v_fma_f64 v[15:16], v[65:66], v[89:90], v[15:16]
	s_waitcnt vmcnt(7)
	v_fma_f64 v[13:14], v[23:24], v[51:52], v[13:14]
	v_fma_f64 v[15:16], v[25:26], v[51:52], v[15:16]
	;; [unrolled: 1-line block ×4, first 2 shown]
	s_waitcnt vmcnt(6)
	v_fma_f64 v[13:14], v[55:56], v[53:54], v[13:14]
	v_fma_f64 v[15:16], v[57:58], v[53:54], v[15:16]
	s_waitcnt vmcnt(5)
	v_fma_f64 v[11:12], v[75:76], v[53:54], v[11:12]
	v_fma_f64 v[6:7], v[77:78], v[53:54], v[6:7]
	;; [unrolled: 3-line block ×3, first 2 shown]
	v_fma_f64 v[11:12], v[17:18], v[67:68], v[11:12]
	v_fma_f64 v[6:7], v[19:20], v[67:68], v[6:7]
	s_waitcnt vmcnt(1)
	v_fma_f64 v[13:14], v[79:80], v[69:70], v[13:14]
	v_fma_f64 v[15:16], v[81:82], v[69:70], v[15:16]
	s_waitcnt vmcnt(0)
	v_fma_f64 v[11:12], v[91:92], v[69:70], v[11:12]
	v_fma_f64 v[6:7], v[93:94], v[69:70], v[6:7]
	s_andn2_b32 exec_lo, exec_lo, s8
	s_cbranch_execnz .LBB6_33
; %bb.34:
	s_or_b32 exec_lo, exec_lo, s8
.LBB6_35:
	s_or_b32 exec_lo, exec_lo, s3
.LBB6_36:
	s_or_b32 exec_lo, exec_lo, s1
.LBB6_37:
	v_mbcnt_lo_u32_b32 v24, -1, 0
	v_xor_b32_e32 v0, 4, v24
	v_cmp_gt_i32_e32 vcc_lo, 32, v0
	v_cndmask_b32_e32 v0, v24, v0, vcc_lo
	v_lshlrev_b32_e32 v20, 2, v0
	ds_bpermute_b32 v0, v20, v13
	ds_bpermute_b32 v1, v20, v14
	;; [unrolled: 1-line block ×8, first 2 shown]
	s_waitcnt lgkmcnt(6)
	v_add_f64 v[0:1], v[13:14], v[0:1]
	s_waitcnt lgkmcnt(4)
	v_add_f64 v[4:5], v[15:16], v[4:5]
	;; [unrolled: 2-line block ×4, first 2 shown]
	v_xor_b32_e32 v6, 2, v24
	v_cmp_gt_i32_e32 vcc_lo, 32, v6
	v_cndmask_b32_e32 v6, v24, v6, vcc_lo
	v_lshlrev_b32_e32 v11, 2, v6
	ds_bpermute_b32 v6, v11, v0
	ds_bpermute_b32 v7, v11, v1
	;; [unrolled: 1-line block ×8, first 2 shown]
	s_waitcnt lgkmcnt(6)
	v_add_f64 v[11:12], v[0:1], v[6:7]
	s_waitcnt lgkmcnt(4)
	v_add_f64 v[6:7], v[4:5], v[17:18]
	;; [unrolled: 2-line block ×3, first 2 shown]
	v_xor_b32_e32 v13, 1, v24
	s_waitcnt lgkmcnt(0)
	v_add_f64 v[4:5], v[15:16], v[22:23]
	v_cmp_gt_i32_e32 vcc_lo, 32, v13
	v_cndmask_b32_e32 v13, v24, v13, vcc_lo
	v_cmp_eq_u32_e32 vcc_lo, 7, v21
	v_lshlrev_b32_e32 v14, 2, v13
	ds_bpermute_b32 v19, v14, v11
	ds_bpermute_b32 v20, v14, v12
	;; [unrolled: 1-line block ×8, first 2 shown]
	s_and_b32 exec_lo, exec_lo, vcc_lo
	s_cbranch_execz .LBB6_10
; %bb.38:
	s_waitcnt lgkmcnt(6)
	v_add_f64 v[11:12], v[11:12], v[19:20]
	s_waitcnt lgkmcnt(4)
	v_add_f64 v[6:7], v[6:7], v[17:18]
	;; [unrolled: 2-line block ×4, first 2 shown]
	s_load_dwordx2 s[0:1], s[4:5], 0x50
	v_lshlrev_b32_e32 v10, 2, v10
	s_mov_b32 s2, exec_lo
	v_mul_f64 v[4:5], v[2:3], v[11:12]
	v_mul_f64 v[6:7], v[2:3], v[6:7]
	;; [unrolled: 1-line block ×4, first 2 shown]
	v_cmpx_eq_f64_e32 0, v[8:9]
	s_xor_b32 s2, exec_lo, s2
	s_cbranch_execz .LBB6_40
; %bb.39:
	v_ashrrev_i32_e32 v11, 31, v10
	v_lshlrev_b64 v[8:9], 3, v[10:11]
                                        ; implicit-def: $vgpr10
	s_waitcnt lgkmcnt(0)
	v_add_co_u32 v8, vcc_lo, s0, v8
	v_add_co_ci_u32_e64 v9, null, s1, v9, vcc_lo
	global_store_dwordx4 v[8:9], v[4:7], off
	global_store_dwordx4 v[8:9], v[0:3], off offset:16
                                        ; implicit-def: $vgpr8_vgpr9
                                        ; implicit-def: $vgpr4_vgpr5
                                        ; implicit-def: $vgpr0_vgpr1
.LBB6_40:
	s_andn2_saveexec_b32 s2, s2
	s_cbranch_execz .LBB6_10
; %bb.41:
	v_ashrrev_i32_e32 v11, 31, v10
	v_lshlrev_b64 v[10:11], 3, v[10:11]
	s_waitcnt lgkmcnt(0)
	v_add_co_u32 v18, vcc_lo, s0, v10
	v_add_co_ci_u32_e64 v19, null, s1, v11, vcc_lo
	s_clause 0x1
	global_load_dwordx4 v[10:13], v[18:19], off
	global_load_dwordx4 v[14:17], v[18:19], off offset:16
	s_waitcnt vmcnt(1)
	v_fma_f64 v[4:5], v[8:9], v[10:11], v[4:5]
	v_fma_f64 v[6:7], v[8:9], v[12:13], v[6:7]
	s_waitcnt vmcnt(0)
	v_fma_f64 v[0:1], v[8:9], v[14:15], v[0:1]
	v_fma_f64 v[2:3], v[8:9], v[16:17], v[2:3]
	global_store_dwordx4 v[18:19], v[4:7], off
	global_store_dwordx4 v[18:19], v[0:3], off offset:16
	s_endpgm
	.section	.rodata,"a",@progbits
	.p2align	6, 0x0
	.amdhsa_kernel _ZN9rocsparseL18bsrxmvn_4x4_kernelILj128ELj8EdiidddEEvT3_20rocsparse_direction_NS_24const_host_device_scalarIT1_EES1_PKS1_PKT2_SA_S7_PKT4_PKT5_S5_PT6_21rocsparse_index_base_b
		.amdhsa_group_segment_fixed_size 0
		.amdhsa_private_segment_fixed_size 0
		.amdhsa_kernarg_size 96
		.amdhsa_user_sgpr_count 6
		.amdhsa_user_sgpr_private_segment_buffer 1
		.amdhsa_user_sgpr_dispatch_ptr 0
		.amdhsa_user_sgpr_queue_ptr 0
		.amdhsa_user_sgpr_kernarg_segment_ptr 1
		.amdhsa_user_sgpr_dispatch_id 0
		.amdhsa_user_sgpr_flat_scratch_init 0
		.amdhsa_user_sgpr_private_segment_size 0
		.amdhsa_wavefront_size32 1
		.amdhsa_uses_dynamic_stack 0
		.amdhsa_system_sgpr_private_segment_wavefront_offset 0
		.amdhsa_system_sgpr_workgroup_id_x 1
		.amdhsa_system_sgpr_workgroup_id_y 0
		.amdhsa_system_sgpr_workgroup_id_z 0
		.amdhsa_system_sgpr_workgroup_info 0
		.amdhsa_system_vgpr_workitem_id 0
		.amdhsa_next_free_vgpr 121
		.amdhsa_next_free_sgpr 16
		.amdhsa_reserve_vcc 1
		.amdhsa_reserve_flat_scratch 0
		.amdhsa_float_round_mode_32 0
		.amdhsa_float_round_mode_16_64 0
		.amdhsa_float_denorm_mode_32 3
		.amdhsa_float_denorm_mode_16_64 3
		.amdhsa_dx10_clamp 1
		.amdhsa_ieee_mode 1
		.amdhsa_fp16_overflow 0
		.amdhsa_workgroup_processor_mode 1
		.amdhsa_memory_ordered 1
		.amdhsa_forward_progress 1
		.amdhsa_shared_vgpr_count 0
		.amdhsa_exception_fp_ieee_invalid_op 0
		.amdhsa_exception_fp_denorm_src 0
		.amdhsa_exception_fp_ieee_div_zero 0
		.amdhsa_exception_fp_ieee_overflow 0
		.amdhsa_exception_fp_ieee_underflow 0
		.amdhsa_exception_fp_ieee_inexact 0
		.amdhsa_exception_int_div_zero 0
	.end_amdhsa_kernel
	.section	.text._ZN9rocsparseL18bsrxmvn_4x4_kernelILj128ELj8EdiidddEEvT3_20rocsparse_direction_NS_24const_host_device_scalarIT1_EES1_PKS1_PKT2_SA_S7_PKT4_PKT5_S5_PT6_21rocsparse_index_base_b,"axG",@progbits,_ZN9rocsparseL18bsrxmvn_4x4_kernelILj128ELj8EdiidddEEvT3_20rocsparse_direction_NS_24const_host_device_scalarIT1_EES1_PKS1_PKT2_SA_S7_PKT4_PKT5_S5_PT6_21rocsparse_index_base_b,comdat
.Lfunc_end6:
	.size	_ZN9rocsparseL18bsrxmvn_4x4_kernelILj128ELj8EdiidddEEvT3_20rocsparse_direction_NS_24const_host_device_scalarIT1_EES1_PKS1_PKT2_SA_S7_PKT4_PKT5_S5_PT6_21rocsparse_index_base_b, .Lfunc_end6-_ZN9rocsparseL18bsrxmvn_4x4_kernelILj128ELj8EdiidddEEvT3_20rocsparse_direction_NS_24const_host_device_scalarIT1_EES1_PKS1_PKT2_SA_S7_PKT4_PKT5_S5_PT6_21rocsparse_index_base_b
                                        ; -- End function
	.set _ZN9rocsparseL18bsrxmvn_4x4_kernelILj128ELj8EdiidddEEvT3_20rocsparse_direction_NS_24const_host_device_scalarIT1_EES1_PKS1_PKT2_SA_S7_PKT4_PKT5_S5_PT6_21rocsparse_index_base_b.num_vgpr, 121
	.set _ZN9rocsparseL18bsrxmvn_4x4_kernelILj128ELj8EdiidddEEvT3_20rocsparse_direction_NS_24const_host_device_scalarIT1_EES1_PKS1_PKT2_SA_S7_PKT4_PKT5_S5_PT6_21rocsparse_index_base_b.num_agpr, 0
	.set _ZN9rocsparseL18bsrxmvn_4x4_kernelILj128ELj8EdiidddEEvT3_20rocsparse_direction_NS_24const_host_device_scalarIT1_EES1_PKS1_PKT2_SA_S7_PKT4_PKT5_S5_PT6_21rocsparse_index_base_b.numbered_sgpr, 16
	.set _ZN9rocsparseL18bsrxmvn_4x4_kernelILj128ELj8EdiidddEEvT3_20rocsparse_direction_NS_24const_host_device_scalarIT1_EES1_PKS1_PKT2_SA_S7_PKT4_PKT5_S5_PT6_21rocsparse_index_base_b.num_named_barrier, 0
	.set _ZN9rocsparseL18bsrxmvn_4x4_kernelILj128ELj8EdiidddEEvT3_20rocsparse_direction_NS_24const_host_device_scalarIT1_EES1_PKS1_PKT2_SA_S7_PKT4_PKT5_S5_PT6_21rocsparse_index_base_b.private_seg_size, 0
	.set _ZN9rocsparseL18bsrxmvn_4x4_kernelILj128ELj8EdiidddEEvT3_20rocsparse_direction_NS_24const_host_device_scalarIT1_EES1_PKS1_PKT2_SA_S7_PKT4_PKT5_S5_PT6_21rocsparse_index_base_b.uses_vcc, 1
	.set _ZN9rocsparseL18bsrxmvn_4x4_kernelILj128ELj8EdiidddEEvT3_20rocsparse_direction_NS_24const_host_device_scalarIT1_EES1_PKS1_PKT2_SA_S7_PKT4_PKT5_S5_PT6_21rocsparse_index_base_b.uses_flat_scratch, 0
	.set _ZN9rocsparseL18bsrxmvn_4x4_kernelILj128ELj8EdiidddEEvT3_20rocsparse_direction_NS_24const_host_device_scalarIT1_EES1_PKS1_PKT2_SA_S7_PKT4_PKT5_S5_PT6_21rocsparse_index_base_b.has_dyn_sized_stack, 0
	.set _ZN9rocsparseL18bsrxmvn_4x4_kernelILj128ELj8EdiidddEEvT3_20rocsparse_direction_NS_24const_host_device_scalarIT1_EES1_PKS1_PKT2_SA_S7_PKT4_PKT5_S5_PT6_21rocsparse_index_base_b.has_recursion, 0
	.set _ZN9rocsparseL18bsrxmvn_4x4_kernelILj128ELj8EdiidddEEvT3_20rocsparse_direction_NS_24const_host_device_scalarIT1_EES1_PKS1_PKT2_SA_S7_PKT4_PKT5_S5_PT6_21rocsparse_index_base_b.has_indirect_call, 0
	.section	.AMDGPU.csdata,"",@progbits
; Kernel info:
; codeLenInByte = 4660
; TotalNumSgprs: 18
; NumVgprs: 121
; ScratchSize: 0
; MemoryBound: 1
; FloatMode: 240
; IeeeMode: 1
; LDSByteSize: 0 bytes/workgroup (compile time only)
; SGPRBlocks: 0
; VGPRBlocks: 15
; NumSGPRsForWavesPerEU: 18
; NumVGPRsForWavesPerEU: 121
; Occupancy: 8
; WaveLimiterHint : 1
; COMPUTE_PGM_RSRC2:SCRATCH_EN: 0
; COMPUTE_PGM_RSRC2:USER_SGPR: 6
; COMPUTE_PGM_RSRC2:TRAP_HANDLER: 0
; COMPUTE_PGM_RSRC2:TGID_X_EN: 1
; COMPUTE_PGM_RSRC2:TGID_Y_EN: 0
; COMPUTE_PGM_RSRC2:TGID_Z_EN: 0
; COMPUTE_PGM_RSRC2:TIDIG_COMP_CNT: 0
	.section	.text._ZN9rocsparseL18bsrxmvn_4x4_kernelILj128ELj16EdiidddEEvT3_20rocsparse_direction_NS_24const_host_device_scalarIT1_EES1_PKS1_PKT2_SA_S7_PKT4_PKT5_S5_PT6_21rocsparse_index_base_b,"axG",@progbits,_ZN9rocsparseL18bsrxmvn_4x4_kernelILj128ELj16EdiidddEEvT3_20rocsparse_direction_NS_24const_host_device_scalarIT1_EES1_PKS1_PKT2_SA_S7_PKT4_PKT5_S5_PT6_21rocsparse_index_base_b,comdat
	.globl	_ZN9rocsparseL18bsrxmvn_4x4_kernelILj128ELj16EdiidddEEvT3_20rocsparse_direction_NS_24const_host_device_scalarIT1_EES1_PKS1_PKT2_SA_S7_PKT4_PKT5_S5_PT6_21rocsparse_index_base_b ; -- Begin function _ZN9rocsparseL18bsrxmvn_4x4_kernelILj128ELj16EdiidddEEvT3_20rocsparse_direction_NS_24const_host_device_scalarIT1_EES1_PKS1_PKT2_SA_S7_PKT4_PKT5_S5_PT6_21rocsparse_index_base_b
	.p2align	8
	.type	_ZN9rocsparseL18bsrxmvn_4x4_kernelILj128ELj16EdiidddEEvT3_20rocsparse_direction_NS_24const_host_device_scalarIT1_EES1_PKS1_PKT2_SA_S7_PKT4_PKT5_S5_PT6_21rocsparse_index_base_b,@function
_ZN9rocsparseL18bsrxmvn_4x4_kernelILj128ELj16EdiidddEEvT3_20rocsparse_direction_NS_24const_host_device_scalarIT1_EES1_PKS1_PKT2_SA_S7_PKT4_PKT5_S5_PT6_21rocsparse_index_base_b: ; @_ZN9rocsparseL18bsrxmvn_4x4_kernelILj128ELj16EdiidddEEvT3_20rocsparse_direction_NS_24const_host_device_scalarIT1_EES1_PKS1_PKT2_SA_S7_PKT4_PKT5_S5_PT6_21rocsparse_index_base_b
; %bb.0:
	s_clause 0x2
	s_load_dwordx2 s[2:3], s[4:5], 0x58
	s_load_dwordx2 s[8:9], s[4:5], 0x8
	;; [unrolled: 1-line block ×3, first 2 shown]
	s_waitcnt lgkmcnt(0)
	s_bitcmp1_b32 s3, 0
	v_mov_b32_e32 v2, s8
	v_mov_b32_e32 v3, s9
	s_cselect_b32 s3, -1, 0
	s_and_b32 vcc_lo, exec_lo, s3
	s_xor_b32 s3, s3, -1
	s_cbranch_vccnz .LBB7_2
; %bb.1:
	v_mov_b32_e32 v1, s8
	v_mov_b32_e32 v2, s9
	flat_load_dwordx2 v[2:3], v[1:2]
.LBB7_2:
	v_mov_b32_e32 v9, s1
	v_mov_b32_e32 v8, s0
	s_andn2_b32 vcc_lo, exec_lo, s3
	s_cbranch_vccnz .LBB7_4
; %bb.3:
	v_mov_b32_e32 v5, s1
	v_mov_b32_e32 v4, s0
	flat_load_dwordx2 v[8:9], v[4:5]
.LBB7_4:
	s_waitcnt vmcnt(0) lgkmcnt(0)
	v_cmp_neq_f64_e32 vcc_lo, 0, v[2:3]
	v_cmp_neq_f64_e64 s0, 1.0, v[8:9]
	s_or_b32 s0, vcc_lo, s0
	s_and_saveexec_b32 s1, s0
	s_cbranch_execz .LBB7_10
; %bb.5:
	s_clause 0x1
	s_load_dwordx2 s[8:9], s[4:5], 0x18
	s_load_dwordx2 s[0:1], s[4:5], 0x0
	v_lshrrev_b32_e32 v1, 4, v0
	v_lshl_or_b32 v10, s6, 3, v1
	s_waitcnt lgkmcnt(0)
	s_cmp_lg_u64 s[8:9], 0
	s_cbranch_scc0 .LBB7_11
; %bb.6:
	s_load_dword s3, s[4:5], 0x10
	s_mov_b32 s6, 0
                                        ; implicit-def: $vgpr1
	s_waitcnt lgkmcnt(0)
	v_cmp_gt_i32_e32 vcc_lo, s3, v10
	s_mov_b32 s3, 0
	s_and_saveexec_b32 s7, vcc_lo
	s_xor_b32 s7, exec_lo, s7
	s_cbranch_execz .LBB7_8
; %bb.7:
	v_ashrrev_i32_e32 v11, 31, v10
	s_mov_b32 s3, exec_lo
	v_lshlrev_b64 v[4:5], 2, v[10:11]
	v_add_co_u32 v4, vcc_lo, s8, v4
	v_add_co_ci_u32_e64 v5, null, s9, v5, vcc_lo
	global_load_dword v1, v[4:5], off
	s_waitcnt vmcnt(0)
	v_subrev_nc_u32_e32 v1, s2, v1
.LBB7_8:
	s_or_b32 exec_lo, exec_lo, s7
	s_and_b32 vcc_lo, exec_lo, s6
	s_cbranch_vccz .LBB7_12
.LBB7_9:
	v_cmp_gt_i32_e32 vcc_lo, s0, v10
	s_andn2_b32 s0, s3, exec_lo
	s_and_b32 s3, vcc_lo, exec_lo
	s_or_b32 s3, s0, s3
	s_and_b32 exec_lo, exec_lo, s3
	s_cbranch_execnz .LBB7_13
.LBB7_10:
	s_endpgm
.LBB7_11:
	s_mov_b32 s3, 0
                                        ; implicit-def: $vgpr1
	s_cbranch_execnz .LBB7_9
.LBB7_12:
	v_mov_b32_e32 v10, v1
	s_and_b32 exec_lo, exec_lo, s3
	s_cbranch_execz .LBB7_10
.LBB7_13:
	s_load_dwordx8 s[8:15], s[4:5], 0x20
	v_ashrrev_i32_e32 v11, 31, v10
	v_and_b32_e32 v21, 15, v0
	s_load_dwordx2 s[6:7], s[4:5], 0x40
	v_lshlrev_b64 v[4:5], 2, v[10:11]
	s_waitcnt lgkmcnt(0)
	v_add_co_u32 v6, vcc_lo, s8, v4
	v_add_co_ci_u32_e64 v7, null, s9, v5, vcc_lo
	v_add_co_u32 v1, vcc_lo, s10, v4
	v_add_co_ci_u32_e64 v4, null, s11, v5, vcc_lo
	global_load_dword v23, v[6:7], off
	v_add_co_u32 v6, vcc_lo, v6, 4
	v_add_co_ci_u32_e64 v5, null, 0, v7, vcc_lo
	s_cmp_eq_u64 s[10:11], 0
	s_cselect_b32 vcc_lo, -1, 0
	s_cmp_eq_u32 s1, 1
	v_cndmask_b32_e32 v5, v4, v5, vcc_lo
	v_cndmask_b32_e32 v4, v1, v6, vcc_lo
	global_load_dword v6, v[4:5], off
	s_waitcnt vmcnt(1)
	v_subrev_nc_u32_e32 v0, s2, v23
	v_add_nc_u32_e32 v0, v0, v21
	v_ashrrev_i32_e32 v1, 31, v0
	s_waitcnt vmcnt(0)
	v_subrev_nc_u32_e32 v22, s2, v6
	v_lshlrev_b64 v[4:5], 7, v[0:1]
	v_cmp_lt_i32_e64 s0, v0, v22
	v_add_co_u32 v4, vcc_lo, s14, v4
	v_add_co_ci_u32_e64 v5, null, s15, v5, vcc_lo
	s_cbranch_scc1 .LBB7_25
; %bb.14:
	v_mov_b32_e32 v6, 0
	v_mov_b32_e32 v11, 0
	;; [unrolled: 1-line block ×8, first 2 shown]
	s_and_saveexec_b32 s3, s0
	s_cbranch_execz .LBB7_24
; %bb.15:
	v_add_nc_u32_e32 v1, v23, v21
	v_not_b32_e32 v6, v23
	v_mov_b32_e32 v13, 0
	v_mov_b32_e32 v15, 0
	;; [unrolled: 1-line block ×3, first 2 shown]
	v_subrev_nc_u32_e32 v1, s2, v1
	v_mov_b32_e32 v14, 0
	v_mov_b32_e32 v16, 0
	;; [unrolled: 1-line block ×4, first 2 shown]
	v_add_nc_u32_e32 v1, 16, v1
	v_max_i32_e32 v1, v1, v22
	v_add3_u32 v1, s2, v1, v6
	v_mov_b32_e32 v6, 0
	v_mov_b32_e32 v7, 0
	v_sub_nc_u32_e32 v1, v1, v21
	v_and_b32_e32 v17, 48, v1
	v_cmp_ne_u32_e32 vcc_lo, 48, v17
	v_mov_b32_e32 v18, v5
	v_mov_b32_e32 v17, v4
	s_and_saveexec_b32 s1, vcc_lo
	s_cbranch_execz .LBB7_19
; %bb.16:
	v_lshrrev_b32_e32 v6, 4, v1
	v_mov_b32_e32 v18, v5
	v_mov_b32_e32 v15, 0
	;; [unrolled: 1-line block ×4, first 2 shown]
	v_add_nc_u32_e32 v11, 1, v6
	v_mov_b32_e32 v6, 0
	v_mov_b32_e32 v7, 0
	;; [unrolled: 1-line block ×4, first 2 shown]
	v_and_b32_e32 v19, 3, v11
	v_mov_b32_e32 v11, 0
	v_mov_b32_e32 v12, 0
	s_mov_b32 s8, 0
	v_sub_nc_u32_e32 v24, 0, v19
	v_mov_b32_e32 v19, v0
.LBB7_17:                               ; =>This Inner Loop Header: Depth=1
	v_ashrrev_i32_e32 v20, 31, v19
	v_add_co_u32 v24, s9, v24, 1
	s_or_b32 s8, s9, s8
	v_lshlrev_b64 v[25:26], 2, v[19:20]
	v_add_nc_u32_e32 v19, 16, v19
	v_add_co_u32 v25, vcc_lo, s12, v25
	v_add_co_ci_u32_e64 v26, null, s13, v26, vcc_lo
	global_load_dword v20, v[25:26], off
	s_clause 0x6
	global_load_dwordx4 v[25:28], v[17:18], off offset:48
	global_load_dwordx4 v[29:32], v[17:18], off offset:32
	;; [unrolled: 1-line block ×3, first 2 shown]
	global_load_dwordx4 v[37:40], v[17:18], off
	global_load_dwordx4 v[41:44], v[17:18], off offset:112
	global_load_dwordx4 v[45:48], v[17:18], off offset:96
	;; [unrolled: 1-line block ×3, first 2 shown]
	s_waitcnt vmcnt(7)
	v_subrev_nc_u32_e32 v20, s2, v20
	v_lshlrev_b32_e32 v53, 2, v20
	v_ashrrev_i32_e32 v54, 31, v53
	v_lshlrev_b64 v[53:54], 3, v[53:54]
	v_add_co_u32 v61, vcc_lo, s6, v53
	v_add_co_ci_u32_e64 v62, null, s7, v54, vcc_lo
	global_load_dwordx4 v[53:56], v[17:18], off offset:64
	s_clause 0x1
	global_load_dwordx4 v[57:60], v[61:62], off
	global_load_dwordx4 v[61:64], v[61:62], off offset:16
	v_add_co_u32 v17, vcc_lo, 0x800, v17
	v_add_co_ci_u32_e64 v18, null, 0, v18, vcc_lo
	s_waitcnt vmcnt(1)
	v_fma_f64 v[13:14], v[37:38], v[57:58], v[13:14]
	v_fma_f64 v[15:16], v[29:30], v[57:58], v[15:16]
	;; [unrolled: 1-line block ×8, first 2 shown]
	s_waitcnt vmcnt(0)
	v_fma_f64 v[13:14], v[33:34], v[61:62], v[13:14]
	v_fma_f64 v[15:16], v[25:26], v[61:62], v[15:16]
	;; [unrolled: 1-line block ×8, first 2 shown]
	s_andn2_b32 exec_lo, exec_lo, s8
	s_cbranch_execnz .LBB7_17
; %bb.18:
	s_or_b32 exec_lo, exec_lo, s8
.LBB7_19:
	s_or_b32 exec_lo, exec_lo, s1
	s_mov_b32 s8, exec_lo
	v_cmpx_lt_u32_e32 47, v1
	s_cbranch_execz .LBB7_23
; %bb.20:
	s_mov_b32 s9, 0
.LBB7_21:                               ; =>This Inner Loop Header: Depth=1
	v_ashrrev_i32_e32 v20, 31, v19
	v_add_co_u32 v80, vcc_lo, 0x800, v17
	v_add_co_ci_u32_e64 v81, null, 0, v18, vcc_lo
	v_add_co_u32 v88, vcc_lo, v17, 0x1000
	v_lshlrev_b64 v[104:105], 2, v[19:20]
	v_add_co_ci_u32_e64 v89, null, 0, v18, vcc_lo
	v_add_co_u32 v112, vcc_lo, 0x1000, v17
	v_add_co_ci_u32_e64 v113, null, 0, v18, vcc_lo
	v_add_co_u32 v114, vcc_lo, 0x1800, v17
	;; [unrolled: 2-line block ×3, first 2 shown]
	v_add_co_ci_u32_e64 v105, null, s13, v105, vcc_lo
	s_clause 0x13
	global_load_dwordx4 v[24:27], v[17:18], off offset:48
	global_load_dwordx4 v[28:31], v[17:18], off offset:32
	;; [unrolled: 1-line block ×3, first 2 shown]
	global_load_dwordx4 v[36:39], v[17:18], off
	global_load_dwordx4 v[40:43], v[17:18], off offset:112
	global_load_dwordx4 v[44:47], v[17:18], off offset:96
	;; [unrolled: 1-line block ×11, first 2 shown]
	global_load_dwordx4 v[84:87], v[88:89], off offset:-2048
	global_load_dwordx4 v[88:91], v[88:89], off
	global_load_dwordx4 v[92:95], v[112:113], off offset:48
	global_load_dwordx4 v[96:99], v[112:113], off offset:32
	;; [unrolled: 1-line block ×3, first 2 shown]
	s_clause 0x3
	global_load_dword v1, v[104:105], off
	global_load_dword v20, v[104:105], off offset:64
	global_load_dword v120, v[104:105], off offset:128
	;; [unrolled: 1-line block ×3, first 2 shown]
	v_add_nc_u32_e32 v19, 64, v19
	v_add_co_u32 v17, s1, 0x2000, v17
	v_add_co_ci_u32_e64 v18, null, 0, v18, s1
	s_waitcnt vmcnt(3)
	v_subrev_nc_u32_e32 v1, s2, v1
	v_lshlrev_b32_e32 v104, 2, v1
	s_waitcnt vmcnt(2)
	v_subrev_nc_u32_e32 v1, s2, v20
	v_ashrrev_i32_e32 v105, 31, v104
	v_lshlrev_b64 v[104:105], 3, v[104:105]
	v_add_co_u32 v108, vcc_lo, s6, v104
	v_add_co_ci_u32_e64 v109, null, s7, v105, vcc_lo
	s_clause 0x1
	global_load_dwordx4 v[104:107], v[108:109], off
	global_load_dwordx4 v[108:111], v[108:109], off offset:16
	s_waitcnt vmcnt(1)
	v_fma_f64 v[13:14], v[36:37], v[104:105], v[13:14]
	v_fma_f64 v[11:12], v[52:53], v[104:105], v[11:12]
	;; [unrolled: 1-line block ×3, first 2 shown]
	v_lshlrev_b32_e32 v52, 2, v1
	v_subrev_nc_u32_e32 v1, s2, v120
	v_ashrrev_i32_e32 v53, 31, v52
	v_lshlrev_b64 v[52:53], 3, v[52:53]
	v_fma_f64 v[116:117], v[38:39], v[106:107], v[13:14]
	v_fma_f64 v[13:14], v[28:29], v[104:105], v[15:16]
	;; [unrolled: 1-line block ×4, first 2 shown]
	v_add_co_u32 v104, vcc_lo, s6, v52
	v_add_co_ci_u32_e64 v105, null, s7, v53, vcc_lo
	s_clause 0x2
	global_load_dwordx4 v[36:39], v[112:113], off offset:112
	global_load_dwordx4 v[52:55], v[114:115], off
	global_load_dwordx4 v[44:47], v[112:113], off offset:64
	s_waitcnt vmcnt(3)
	v_fma_f64 v[32:33], v[32:33], v[108:109], v[116:117]
	v_fma_f64 v[118:119], v[30:31], v[106:107], v[13:14]
	v_fma_f64 v[11:12], v[48:49], v[108:109], v[11:12]
	v_fma_f64 v[6:7], v[40:41], v[108:109], v[6:7]
	v_lshlrev_b32_e32 v106, 2, v1
	s_clause 0x1
	global_load_dwordx4 v[13:16], v[112:113], off offset:96
	global_load_dwordx4 v[28:31], v[112:113], off offset:80
	v_subrev_nc_u32_e32 v1, s2, v121
	v_ashrrev_i32_e32 v107, 31, v106
	v_fma_f64 v[112:113], v[34:35], v[110:111], v[32:33]
	v_fma_f64 v[24:25], v[24:25], v[108:109], v[118:119]
	global_load_dwordx4 v[32:35], v[114:115], off offset:48
	v_fma_f64 v[11:12], v[50:51], v[110:111], v[11:12]
	global_load_dwordx4 v[48:51], v[114:115], off offset:112
	v_lshlrev_b64 v[118:119], 3, v[106:107]
	v_fma_f64 v[6:7], v[42:43], v[110:111], v[6:7]
	v_add_co_u32 v108, vcc_lo, s6, v118
	v_add_co_ci_u32_e64 v109, null, s7, v119, vcc_lo
	v_fma_f64 v[116:117], v[26:27], v[110:111], v[24:25]
	global_load_dwordx4 v[24:27], v[114:115], off offset:32
	s_clause 0x1
	global_load_dwordx4 v[40:43], v[104:105], off
	global_load_dwordx4 v[104:107], v[104:105], off offset:16
	s_waitcnt vmcnt(1)
	v_fma_f64 v[84:85], v[84:85], v[40:41], v[112:113]
	v_fma_f64 v[56:57], v[56:57], v[40:41], v[116:117]
	;; [unrolled: 1-line block ×4, first 2 shown]
	v_lshlrev_b32_e32 v40, 2, v1
	v_ashrrev_i32_e32 v41, 31, v40
	v_lshlrev_b64 v[40:41], 3, v[40:41]
	v_add_co_u32 v118, vcc_lo, s6, v40
	v_fma_f64 v[112:113], v[86:87], v[42:43], v[84:85]
	s_clause 0x1
	global_load_dwordx4 v[84:87], v[108:109], off
	global_load_dwordx4 v[108:111], v[108:109], off offset:16
	v_add_co_ci_u32_e64 v119, null, s7, v41, vcc_lo
	v_fma_f64 v[116:117], v[58:59], v[42:43], v[56:57]
	global_load_dwordx4 v[56:59], v[114:115], off offset:96
	v_fma_f64 v[11:12], v[82:83], v[42:43], v[11:12]
	global_load_dwordx4 v[80:83], v[114:115], off offset:64
	v_fma_f64 v[6:7], v[70:71], v[42:43], v[6:7]
	global_load_dwordx4 v[40:43], v[118:119], off
	v_cmp_ge_i32_e32 vcc_lo, v19, v22
	s_or_b32 s9, vcc_lo, s9
	s_waitcnt vmcnt(5)
	v_fma_f64 v[60:61], v[60:61], v[104:105], v[112:113]
	v_fma_f64 v[76:77], v[76:77], v[104:105], v[116:117]
	;; [unrolled: 1-line block ×5, first 2 shown]
	s_clause 0x1
	global_load_dwordx4 v[60:63], v[114:115], off offset:80
	global_load_dwordx4 v[68:71], v[114:115], off offset:16
	v_fma_f64 v[114:115], v[78:79], v[106:107], v[76:77]
	global_load_dwordx4 v[76:79], v[118:119], off offset:16
	v_fma_f64 v[11:12], v[74:75], v[106:107], v[11:12]
	v_fma_f64 v[6:7], v[66:67], v[106:107], v[6:7]
	s_waitcnt vmcnt(7)
	v_fma_f64 v[64:65], v[88:89], v[84:85], v[112:113]
	v_fma_f64 v[66:67], v[96:97], v[84:85], v[114:115]
	v_fma_f64 v[11:12], v[44:45], v[84:85], v[11:12]
	v_fma_f64 v[6:7], v[13:14], v[84:85], v[6:7]
	v_fma_f64 v[13:14], v[90:91], v[86:87], v[64:65]
	v_fma_f64 v[44:45], v[98:99], v[86:87], v[66:67]
	v_fma_f64 v[11:12], v[46:47], v[86:87], v[11:12]
	v_fma_f64 v[6:7], v[15:16], v[86:87], v[6:7]
	s_waitcnt vmcnt(6)
	v_fma_f64 v[13:14], v[100:101], v[108:109], v[13:14]
	v_fma_f64 v[15:16], v[92:93], v[108:109], v[44:45]
	v_fma_f64 v[11:12], v[28:29], v[108:109], v[11:12]
	v_fma_f64 v[6:7], v[36:37], v[108:109], v[6:7]
	v_fma_f64 v[13:14], v[102:103], v[110:111], v[13:14]
	v_fma_f64 v[15:16], v[94:95], v[110:111], v[15:16]
	v_fma_f64 v[11:12], v[30:31], v[110:111], v[11:12]
	v_fma_f64 v[6:7], v[38:39], v[110:111], v[6:7]
	s_waitcnt vmcnt(3)
	v_fma_f64 v[13:14], v[52:53], v[40:41], v[13:14]
	v_fma_f64 v[15:16], v[24:25], v[40:41], v[15:16]
	v_fma_f64 v[11:12], v[80:81], v[40:41], v[11:12]
	v_fma_f64 v[6:7], v[56:57], v[40:41], v[6:7]
	v_fma_f64 v[13:14], v[54:55], v[42:43], v[13:14]
	v_fma_f64 v[15:16], v[26:27], v[42:43], v[15:16]
	v_fma_f64 v[11:12], v[82:83], v[42:43], v[11:12]
	v_fma_f64 v[6:7], v[58:59], v[42:43], v[6:7]
	s_waitcnt vmcnt(0)
	v_fma_f64 v[13:14], v[68:69], v[76:77], v[13:14]
	v_fma_f64 v[15:16], v[32:33], v[76:77], v[15:16]
	v_fma_f64 v[11:12], v[60:61], v[76:77], v[11:12]
	v_fma_f64 v[6:7], v[48:49], v[76:77], v[6:7]
	v_fma_f64 v[13:14], v[70:71], v[78:79], v[13:14]
	v_fma_f64 v[15:16], v[34:35], v[78:79], v[15:16]
	v_fma_f64 v[11:12], v[62:63], v[78:79], v[11:12]
	v_fma_f64 v[6:7], v[50:51], v[78:79], v[6:7]
	s_andn2_b32 exec_lo, exec_lo, s9
	s_cbranch_execnz .LBB7_21
; %bb.22:
	s_or_b32 exec_lo, exec_lo, s9
.LBB7_23:
	s_or_b32 exec_lo, exec_lo, s8
.LBB7_24:
	s_or_b32 exec_lo, exec_lo, s3
	s_cbranch_execz .LBB7_26
	s_branch .LBB7_37
.LBB7_25:
                                        ; implicit-def: $vgpr6_vgpr7
                                        ; implicit-def: $vgpr11_vgpr12
                                        ; implicit-def: $vgpr15_vgpr16
                                        ; implicit-def: $vgpr13_vgpr14
.LBB7_26:
	v_mov_b32_e32 v6, 0
	v_mov_b32_e32 v11, 0
	v_mov_b32_e32 v15, 0
	v_mov_b32_e32 v13, 0
	v_mov_b32_e32 v7, 0
	v_mov_b32_e32 v12, 0
	v_mov_b32_e32 v16, 0
	v_mov_b32_e32 v14, 0
	s_and_saveexec_b32 s1, s0
	s_cbranch_execz .LBB7_36
; %bb.27:
	v_add_nc_u32_e32 v1, v23, v21
	v_not_b32_e32 v6, v23
	v_mov_b32_e32 v13, 0
	v_mov_b32_e32 v15, 0
	;; [unrolled: 1-line block ×3, first 2 shown]
	v_subrev_nc_u32_e32 v1, s2, v1
	v_mov_b32_e32 v14, 0
	v_mov_b32_e32 v16, 0
	;; [unrolled: 1-line block ×3, first 2 shown]
	s_mov_b32 s0, exec_lo
	v_add_nc_u32_e32 v1, 16, v1
	v_max_i32_e32 v1, v1, v22
	v_add3_u32 v1, s2, v1, v6
	v_mov_b32_e32 v6, 0
	v_mov_b32_e32 v7, 0
	v_sub_nc_u32_e32 v17, v1, v21
	v_and_b32_e32 v1, 48, v17
	v_cmpx_ne_u32_e32 48, v1
	s_cbranch_execz .LBB7_31
; %bb.28:
	v_lshrrev_b32_e32 v1, 4, v17
	v_mov_b32_e32 v6, 0
	v_mov_b32_e32 v11, 0
	;; [unrolled: 1-line block ×4, first 2 shown]
	v_add_nc_u32_e32 v1, 1, v1
	v_mov_b32_e32 v7, 0
	v_mov_b32_e32 v12, 0
	;; [unrolled: 1-line block ×4, first 2 shown]
	v_and_b32_e32 v1, 3, v1
	s_mov_b32 s3, 0
	v_sub_nc_u32_e32 v18, 0, v1
.LBB7_29:                               ; =>This Inner Loop Header: Depth=1
	v_ashrrev_i32_e32 v1, 31, v0
	v_add_co_u32 v18, s8, v18, 1
	s_or_b32 s3, s8, s3
	v_lshlrev_b64 v[19:20], 2, v[0:1]
	v_add_nc_u32_e32 v0, 16, v0
	v_add_co_u32 v19, vcc_lo, s12, v19
	v_add_co_ci_u32_e64 v20, null, s13, v20, vcc_lo
	global_load_dword v1, v[19:20], off
	global_load_dwordx4 v[23:26], v[4:5], off offset:16
	s_waitcnt vmcnt(1)
	v_subrev_nc_u32_e32 v1, s2, v1
	v_lshlrev_b32_e32 v19, 2, v1
	v_ashrrev_i32_e32 v20, 31, v19
	v_lshlrev_b64 v[19:20], 3, v[19:20]
	v_add_co_u32 v19, vcc_lo, s6, v19
	v_add_co_ci_u32_e64 v20, null, s7, v20, vcc_lo
	global_load_dwordx4 v[27:30], v[4:5], off
	s_clause 0x1
	global_load_dwordx4 v[31:34], v[19:20], off
	global_load_dwordx4 v[35:38], v[19:20], off offset:16
	s_clause 0x5
	global_load_dwordx4 v[39:42], v[4:5], off offset:32
	global_load_dwordx4 v[43:46], v[4:5], off offset:48
	;; [unrolled: 1-line block ×6, first 2 shown]
	v_add_co_u32 v4, vcc_lo, 0x800, v4
	v_add_co_ci_u32_e64 v5, null, 0, v5, vcc_lo
	s_waitcnt vmcnt(7)
	v_fma_f64 v[13:14], v[27:28], v[31:32], v[13:14]
	v_fma_f64 v[15:16], v[29:30], v[31:32], v[15:16]
	;; [unrolled: 1-line block ×4, first 2 shown]
	s_waitcnt vmcnt(5)
	v_fma_f64 v[13:14], v[39:40], v[33:34], v[13:14]
	v_fma_f64 v[15:16], v[41:42], v[33:34], v[15:16]
	s_waitcnt vmcnt(4)
	v_fma_f64 v[11:12], v[43:44], v[33:34], v[11:12]
	v_fma_f64 v[6:7], v[45:46], v[33:34], v[6:7]
	;; [unrolled: 3-line block ×6, first 2 shown]
	s_andn2_b32 exec_lo, exec_lo, s3
	s_cbranch_execnz .LBB7_29
; %bb.30:
	s_or_b32 exec_lo, exec_lo, s3
.LBB7_31:
	s_or_b32 exec_lo, exec_lo, s0
	s_mov_b32 s3, exec_lo
	v_cmpx_lt_u32_e32 47, v17
	s_cbranch_execz .LBB7_35
; %bb.32:
	s_mov_b32 s8, 0
.LBB7_33:                               ; =>This Inner Loop Header: Depth=1
	v_ashrrev_i32_e32 v1, 31, v0
	v_add_co_u32 v75, vcc_lo, 0x800, v4
	v_add_co_ci_u32_e64 v76, null, 0, v5, vcc_lo
	v_lshlrev_b64 v[83:84], 2, v[0:1]
	v_add_co_u32 v91, vcc_lo, v4, 0x1000
	v_add_co_ci_u32_e64 v92, null, 0, v5, vcc_lo
	v_add_co_u32 v93, vcc_lo, 0x1000, v4
	v_add_co_ci_u32_e64 v94, null, 0, v5, vcc_lo
	;; [unrolled: 2-line block ×3, first 2 shown]
	s_clause 0xf
	global_load_dwordx4 v[17:20], v[4:5], off offset:48
	global_load_dwordx4 v[23:26], v[4:5], off offset:32
	;; [unrolled: 1-line block ×3, first 2 shown]
	global_load_dwordx4 v[31:34], v[4:5], off
	global_load_dwordx4 v[35:38], v[4:5], off offset:112
	global_load_dwordx4 v[39:42], v[4:5], off offset:96
	;; [unrolled: 1-line block ×11, first 2 shown]
	global_load_dwordx4 v[79:82], v[91:92], off offset:-2048
	s_clause 0x3
	global_load_dword v1, v[83:84], off
	global_load_dword v85, v[83:84], off offset:64
	global_load_dword v86, v[83:84], off offset:128
	;; [unrolled: 1-line block ×3, first 2 shown]
	v_add_nc_u32_e32 v0, 64, v0
	s_waitcnt vmcnt(3)
	v_subrev_nc_u32_e32 v1, s2, v1
	s_waitcnt vmcnt(2)
	v_subrev_nc_u32_e32 v95, s2, v85
	;; [unrolled: 2-line block ×3, first 2 shown]
	v_lshlrev_b32_e32 v83, 2, v1
	s_waitcnt vmcnt(0)
	v_subrev_nc_u32_e32 v1, s2, v99
	v_ashrrev_i32_e32 v84, 31, v83
	v_lshlrev_b64 v[83:84], 3, v[83:84]
	v_add_co_u32 v87, vcc_lo, s6, v83
	v_add_co_ci_u32_e64 v88, null, s7, v84, vcc_lo
	s_clause 0x1
	global_load_dwordx4 v[83:86], v[87:88], off
	global_load_dwordx4 v[87:90], v[87:88], off offset:16
	s_waitcnt vmcnt(1)
	v_fma_f64 v[31:32], v[31:32], v[83:84], v[13:14]
	v_lshlrev_b32_e32 v13, 2, v95
	v_fma_f64 v[33:34], v[33:34], v[83:84], v[15:16]
	v_fma_f64 v[11:12], v[27:28], v[83:84], v[11:12]
	;; [unrolled: 1-line block ×3, first 2 shown]
	v_lshlrev_b32_e32 v15, 2, v96
	v_ashrrev_i32_e32 v14, 31, v13
	global_load_dwordx4 v[27:30], v[93:94], off offset:32
	v_ashrrev_i32_e32 v16, 31, v15
	v_lshlrev_b64 v[13:14], 3, v[13:14]
	v_lshlrev_b64 v[15:16], 3, v[15:16]
	v_add_co_u32 v95, vcc_lo, s6, v13
	v_add_co_ci_u32_e64 v96, null, s7, v14, vcc_lo
	v_add_co_u32 v97, vcc_lo, s6, v15
	v_add_co_ci_u32_e64 v98, null, s7, v16, vcc_lo
	global_load_dwordx4 v[13:16], v[91:92], off
	v_fma_f64 v[83:84], v[23:24], v[85:86], v[31:32]
	v_fma_f64 v[91:92], v[25:26], v[85:86], v[33:34]
	global_load_dwordx4 v[23:26], v[93:94], off offset:16
	v_fma_f64 v[11:12], v[17:18], v[85:86], v[11:12]
	v_fma_f64 v[6:7], v[19:20], v[85:86], v[6:7]
	s_clause 0x1
	global_load_dwordx4 v[17:20], v[95:96], off
	global_load_dwordx4 v[31:34], v[95:96], off offset:16
	s_waitcnt vmcnt(5)
	v_fma_f64 v[83:84], v[47:48], v[87:88], v[83:84]
	v_fma_f64 v[85:86], v[49:50], v[87:88], v[91:92]
	global_load_dwordx4 v[47:50], v[97:98], off
	v_fma_f64 v[11:12], v[43:44], v[87:88], v[11:12]
	v_fma_f64 v[6:7], v[45:46], v[87:88], v[6:7]
	global_load_dwordx4 v[43:46], v[93:94], off offset:48
	v_fma_f64 v[91:92], v[39:40], v[89:90], v[83:84]
	v_fma_f64 v[95:96], v[41:42], v[89:90], v[85:86]
	global_load_dwordx4 v[39:42], v[93:94], off offset:96
	v_fma_f64 v[11:12], v[35:36], v[89:90], v[11:12]
	v_fma_f64 v[6:7], v[37:38], v[89:90], v[6:7]
	s_clause 0x1
	global_load_dwordx4 v[35:38], v[93:94], off offset:80
	global_load_dwordx4 v[83:86], v[93:94], off offset:64
	;; [unrolled: 1-line block ×3, first 2 shown]
	v_add_co_u32 v97, vcc_lo, 0x1800, v4
	v_add_co_ci_u32_e64 v98, null, 0, v5, vcc_lo
	v_add_co_u32 v4, s0, 0x2000, v4
	v_add_co_ci_u32_e64 v5, null, 0, v5, s0
	s_waitcnt vmcnt(7)
	v_fma_f64 v[95:96], v[81:82], v[17:18], v[95:96]
	v_fma_f64 v[91:92], v[79:80], v[17:18], v[91:92]
	global_load_dwordx4 v[79:82], v[93:94], off offset:112
	v_fma_f64 v[11:12], v[55:56], v[17:18], v[11:12]
	v_fma_f64 v[6:7], v[57:58], v[17:18], v[6:7]
	v_lshlrev_b32_e32 v17, 2, v1
	global_load_dwordx4 v[55:58], v[97:98], off
	v_ashrrev_i32_e32 v18, 31, v17
	v_lshlrev_b64 v[17:18], 3, v[17:18]
	v_fma_f64 v[93:94], v[53:54], v[19:20], v[95:96]
	v_add_co_u32 v95, vcc_lo, s6, v17
	v_add_co_ci_u32_e64 v96, null, s7, v18, vcc_lo
	v_fma_f64 v[91:92], v[51:52], v[19:20], v[91:92]
	v_fma_f64 v[11:12], v[71:72], v[19:20], v[11:12]
	;; [unrolled: 1-line block ×3, first 2 shown]
	global_load_dwordx4 v[17:20], v[97:98], off offset:16
	global_load_dwordx4 v[51:54], v[95:96], off
	global_load_dwordx4 v[71:74], v[97:98], off offset:32
	v_cmp_ge_i32_e32 vcc_lo, v0, v22
	s_or_b32 s8, vcc_lo, s8
	s_waitcnt vmcnt(11)
	v_fma_f64 v[77:78], v[77:78], v[31:32], v[93:94]
	v_fma_f64 v[75:76], v[75:76], v[31:32], v[91:92]
	v_fma_f64 v[11:12], v[67:68], v[31:32], v[11:12]
	v_fma_f64 v[6:7], v[69:70], v[31:32], v[6:7]
	global_load_dwordx4 v[67:70], v[97:98], off offset:48
	v_fma_f64 v[93:94], v[65:66], v[33:34], v[77:78]
	v_fma_f64 v[91:92], v[63:64], v[33:34], v[75:76]
	global_load_dwordx4 v[63:66], v[97:98], off offset:64
	v_fma_f64 v[11:12], v[59:60], v[33:34], v[11:12]
	v_fma_f64 v[6:7], v[61:62], v[33:34], v[6:7]
	global_load_dwordx4 v[31:34], v[97:98], off offset:80
	global_load_dwordx4 v[59:62], v[95:96], off offset:16
	;; [unrolled: 1-line block ×3, first 2 shown]
	s_waitcnt vmcnt(15)
	v_fma_f64 v[15:16], v[15:16], v[47:48], v[93:94]
	v_fma_f64 v[13:14], v[13:14], v[47:48], v[91:92]
	global_load_dwordx4 v[91:94], v[97:98], off offset:112
	v_fma_f64 v[11:12], v[23:24], v[47:48], v[11:12]
	v_fma_f64 v[6:7], v[25:26], v[47:48], v[6:7]
	;; [unrolled: 1-line block ×4, first 2 shown]
	s_waitcnt vmcnt(15)
	v_fma_f64 v[11:12], v[43:44], v[49:50], v[11:12]
	v_fma_f64 v[6:7], v[45:46], v[49:50], v[6:7]
	s_waitcnt vmcnt(11)
	v_fma_f64 v[15:16], v[85:86], v[87:88], v[15:16]
	v_fma_f64 v[13:14], v[83:84], v[87:88], v[13:14]
	;; [unrolled: 1-line block ×6, first 2 shown]
	s_waitcnt vmcnt(10)
	v_fma_f64 v[11:12], v[79:80], v[89:90], v[11:12]
	v_fma_f64 v[6:7], v[81:82], v[89:90], v[6:7]
	s_waitcnt vmcnt(7)
	v_fma_f64 v[13:14], v[55:56], v[51:52], v[13:14]
	v_fma_f64 v[15:16], v[57:58], v[51:52], v[15:16]
	;; [unrolled: 1-line block ×4, first 2 shown]
	s_waitcnt vmcnt(6)
	v_fma_f64 v[13:14], v[71:72], v[53:54], v[13:14]
	v_fma_f64 v[15:16], v[73:74], v[53:54], v[15:16]
	s_waitcnt vmcnt(5)
	v_fma_f64 v[11:12], v[67:68], v[53:54], v[11:12]
	v_fma_f64 v[6:7], v[69:70], v[53:54], v[6:7]
	;; [unrolled: 3-line block ×3, first 2 shown]
	v_fma_f64 v[11:12], v[31:32], v[59:60], v[11:12]
	v_fma_f64 v[6:7], v[33:34], v[59:60], v[6:7]
	s_waitcnt vmcnt(1)
	v_fma_f64 v[13:14], v[75:76], v[61:62], v[13:14]
	v_fma_f64 v[15:16], v[77:78], v[61:62], v[15:16]
	s_waitcnt vmcnt(0)
	v_fma_f64 v[11:12], v[91:92], v[61:62], v[11:12]
	v_fma_f64 v[6:7], v[93:94], v[61:62], v[6:7]
	s_andn2_b32 exec_lo, exec_lo, s8
	s_cbranch_execnz .LBB7_33
; %bb.34:
	s_or_b32 exec_lo, exec_lo, s8
.LBB7_35:
	s_or_b32 exec_lo, exec_lo, s3
.LBB7_36:
	s_or_b32 exec_lo, exec_lo, s1
.LBB7_37:
	v_mbcnt_lo_u32_b32 v24, -1, 0
	v_xor_b32_e32 v0, 8, v24
	v_cmp_gt_i32_e32 vcc_lo, 32, v0
	v_cndmask_b32_e32 v0, v24, v0, vcc_lo
	v_lshlrev_b32_e32 v20, 2, v0
	ds_bpermute_b32 v0, v20, v13
	ds_bpermute_b32 v1, v20, v14
	ds_bpermute_b32 v4, v20, v15
	ds_bpermute_b32 v5, v20, v16
	ds_bpermute_b32 v17, v20, v11
	ds_bpermute_b32 v18, v20, v12
	ds_bpermute_b32 v19, v20, v6
	ds_bpermute_b32 v20, v20, v7
	s_waitcnt lgkmcnt(6)
	v_add_f64 v[0:1], v[13:14], v[0:1]
	v_xor_b32_e32 v13, 4, v24
	s_waitcnt lgkmcnt(4)
	v_add_f64 v[4:5], v[15:16], v[4:5]
	s_waitcnt lgkmcnt(2)
	v_add_f64 v[11:12], v[11:12], v[17:18]
	;; [unrolled: 2-line block ×3, first 2 shown]
	v_cmp_gt_i32_e32 vcc_lo, 32, v13
	v_cndmask_b32_e32 v13, v24, v13, vcc_lo
	v_lshlrev_b32_e32 v20, 2, v13
	ds_bpermute_b32 v13, v20, v0
	ds_bpermute_b32 v14, v20, v1
	;; [unrolled: 1-line block ×8, first 2 shown]
	s_waitcnt lgkmcnt(6)
	v_add_f64 v[0:1], v[0:1], v[13:14]
	s_waitcnt lgkmcnt(4)
	v_add_f64 v[4:5], v[4:5], v[15:16]
	;; [unrolled: 2-line block ×4, first 2 shown]
	v_xor_b32_e32 v6, 2, v24
	v_cmp_gt_i32_e32 vcc_lo, 32, v6
	v_cndmask_b32_e32 v6, v24, v6, vcc_lo
	v_lshlrev_b32_e32 v11, 2, v6
	ds_bpermute_b32 v6, v11, v0
	ds_bpermute_b32 v7, v11, v1
	;; [unrolled: 1-line block ×8, first 2 shown]
	s_waitcnt lgkmcnt(6)
	v_add_f64 v[11:12], v[0:1], v[6:7]
	s_waitcnt lgkmcnt(4)
	v_add_f64 v[6:7], v[4:5], v[17:18]
	;; [unrolled: 2-line block ×3, first 2 shown]
	v_xor_b32_e32 v13, 1, v24
	s_waitcnt lgkmcnt(0)
	v_add_f64 v[4:5], v[15:16], v[22:23]
	v_cmp_gt_i32_e32 vcc_lo, 32, v13
	v_cndmask_b32_e32 v13, v24, v13, vcc_lo
	v_cmp_eq_u32_e32 vcc_lo, 15, v21
	v_lshlrev_b32_e32 v14, 2, v13
	ds_bpermute_b32 v19, v14, v11
	ds_bpermute_b32 v20, v14, v12
	;; [unrolled: 1-line block ×8, first 2 shown]
	s_and_b32 exec_lo, exec_lo, vcc_lo
	s_cbranch_execz .LBB7_10
; %bb.38:
	s_waitcnt lgkmcnt(6)
	v_add_f64 v[11:12], v[11:12], v[19:20]
	s_waitcnt lgkmcnt(4)
	v_add_f64 v[6:7], v[6:7], v[17:18]
	;; [unrolled: 2-line block ×4, first 2 shown]
	s_load_dwordx2 s[0:1], s[4:5], 0x50
	v_lshlrev_b32_e32 v10, 2, v10
	s_mov_b32 s2, exec_lo
	v_mul_f64 v[4:5], v[2:3], v[11:12]
	v_mul_f64 v[6:7], v[2:3], v[6:7]
	;; [unrolled: 1-line block ×4, first 2 shown]
	v_cmpx_eq_f64_e32 0, v[8:9]
	s_xor_b32 s2, exec_lo, s2
	s_cbranch_execz .LBB7_40
; %bb.39:
	v_ashrrev_i32_e32 v11, 31, v10
	v_lshlrev_b64 v[8:9], 3, v[10:11]
                                        ; implicit-def: $vgpr10
	s_waitcnt lgkmcnt(0)
	v_add_co_u32 v8, vcc_lo, s0, v8
	v_add_co_ci_u32_e64 v9, null, s1, v9, vcc_lo
	global_store_dwordx4 v[8:9], v[4:7], off
	global_store_dwordx4 v[8:9], v[0:3], off offset:16
                                        ; implicit-def: $vgpr8_vgpr9
                                        ; implicit-def: $vgpr4_vgpr5
                                        ; implicit-def: $vgpr0_vgpr1
.LBB7_40:
	s_andn2_saveexec_b32 s2, s2
	s_cbranch_execz .LBB7_10
; %bb.41:
	v_ashrrev_i32_e32 v11, 31, v10
	v_lshlrev_b64 v[10:11], 3, v[10:11]
	s_waitcnt lgkmcnt(0)
	v_add_co_u32 v18, vcc_lo, s0, v10
	v_add_co_ci_u32_e64 v19, null, s1, v11, vcc_lo
	s_clause 0x1
	global_load_dwordx4 v[10:13], v[18:19], off
	global_load_dwordx4 v[14:17], v[18:19], off offset:16
	s_waitcnt vmcnt(1)
	v_fma_f64 v[4:5], v[8:9], v[10:11], v[4:5]
	v_fma_f64 v[6:7], v[8:9], v[12:13], v[6:7]
	s_waitcnt vmcnt(0)
	v_fma_f64 v[0:1], v[8:9], v[14:15], v[0:1]
	v_fma_f64 v[2:3], v[8:9], v[16:17], v[2:3]
	global_store_dwordx4 v[18:19], v[4:7], off
	global_store_dwordx4 v[18:19], v[0:3], off offset:16
	s_endpgm
	.section	.rodata,"a",@progbits
	.p2align	6, 0x0
	.amdhsa_kernel _ZN9rocsparseL18bsrxmvn_4x4_kernelILj128ELj16EdiidddEEvT3_20rocsparse_direction_NS_24const_host_device_scalarIT1_EES1_PKS1_PKT2_SA_S7_PKT4_PKT5_S5_PT6_21rocsparse_index_base_b
		.amdhsa_group_segment_fixed_size 0
		.amdhsa_private_segment_fixed_size 0
		.amdhsa_kernarg_size 96
		.amdhsa_user_sgpr_count 6
		.amdhsa_user_sgpr_private_segment_buffer 1
		.amdhsa_user_sgpr_dispatch_ptr 0
		.amdhsa_user_sgpr_queue_ptr 0
		.amdhsa_user_sgpr_kernarg_segment_ptr 1
		.amdhsa_user_sgpr_dispatch_id 0
		.amdhsa_user_sgpr_flat_scratch_init 0
		.amdhsa_user_sgpr_private_segment_size 0
		.amdhsa_wavefront_size32 1
		.amdhsa_uses_dynamic_stack 0
		.amdhsa_system_sgpr_private_segment_wavefront_offset 0
		.amdhsa_system_sgpr_workgroup_id_x 1
		.amdhsa_system_sgpr_workgroup_id_y 0
		.amdhsa_system_sgpr_workgroup_id_z 0
		.amdhsa_system_sgpr_workgroup_info 0
		.amdhsa_system_vgpr_workitem_id 0
		.amdhsa_next_free_vgpr 122
		.amdhsa_next_free_sgpr 16
		.amdhsa_reserve_vcc 1
		.amdhsa_reserve_flat_scratch 0
		.amdhsa_float_round_mode_32 0
		.amdhsa_float_round_mode_16_64 0
		.amdhsa_float_denorm_mode_32 3
		.amdhsa_float_denorm_mode_16_64 3
		.amdhsa_dx10_clamp 1
		.amdhsa_ieee_mode 1
		.amdhsa_fp16_overflow 0
		.amdhsa_workgroup_processor_mode 1
		.amdhsa_memory_ordered 1
		.amdhsa_forward_progress 1
		.amdhsa_shared_vgpr_count 0
		.amdhsa_exception_fp_ieee_invalid_op 0
		.amdhsa_exception_fp_denorm_src 0
		.amdhsa_exception_fp_ieee_div_zero 0
		.amdhsa_exception_fp_ieee_overflow 0
		.amdhsa_exception_fp_ieee_underflow 0
		.amdhsa_exception_fp_ieee_inexact 0
		.amdhsa_exception_int_div_zero 0
	.end_amdhsa_kernel
	.section	.text._ZN9rocsparseL18bsrxmvn_4x4_kernelILj128ELj16EdiidddEEvT3_20rocsparse_direction_NS_24const_host_device_scalarIT1_EES1_PKS1_PKT2_SA_S7_PKT4_PKT5_S5_PT6_21rocsparse_index_base_b,"axG",@progbits,_ZN9rocsparseL18bsrxmvn_4x4_kernelILj128ELj16EdiidddEEvT3_20rocsparse_direction_NS_24const_host_device_scalarIT1_EES1_PKS1_PKT2_SA_S7_PKT4_PKT5_S5_PT6_21rocsparse_index_base_b,comdat
.Lfunc_end7:
	.size	_ZN9rocsparseL18bsrxmvn_4x4_kernelILj128ELj16EdiidddEEvT3_20rocsparse_direction_NS_24const_host_device_scalarIT1_EES1_PKS1_PKT2_SA_S7_PKT4_PKT5_S5_PT6_21rocsparse_index_base_b, .Lfunc_end7-_ZN9rocsparseL18bsrxmvn_4x4_kernelILj128ELj16EdiidddEEvT3_20rocsparse_direction_NS_24const_host_device_scalarIT1_EES1_PKS1_PKT2_SA_S7_PKT4_PKT5_S5_PT6_21rocsparse_index_base_b
                                        ; -- End function
	.set _ZN9rocsparseL18bsrxmvn_4x4_kernelILj128ELj16EdiidddEEvT3_20rocsparse_direction_NS_24const_host_device_scalarIT1_EES1_PKS1_PKT2_SA_S7_PKT4_PKT5_S5_PT6_21rocsparse_index_base_b.num_vgpr, 122
	.set _ZN9rocsparseL18bsrxmvn_4x4_kernelILj128ELj16EdiidddEEvT3_20rocsparse_direction_NS_24const_host_device_scalarIT1_EES1_PKS1_PKT2_SA_S7_PKT4_PKT5_S5_PT6_21rocsparse_index_base_b.num_agpr, 0
	.set _ZN9rocsparseL18bsrxmvn_4x4_kernelILj128ELj16EdiidddEEvT3_20rocsparse_direction_NS_24const_host_device_scalarIT1_EES1_PKS1_PKT2_SA_S7_PKT4_PKT5_S5_PT6_21rocsparse_index_base_b.numbered_sgpr, 16
	.set _ZN9rocsparseL18bsrxmvn_4x4_kernelILj128ELj16EdiidddEEvT3_20rocsparse_direction_NS_24const_host_device_scalarIT1_EES1_PKS1_PKT2_SA_S7_PKT4_PKT5_S5_PT6_21rocsparse_index_base_b.num_named_barrier, 0
	.set _ZN9rocsparseL18bsrxmvn_4x4_kernelILj128ELj16EdiidddEEvT3_20rocsparse_direction_NS_24const_host_device_scalarIT1_EES1_PKS1_PKT2_SA_S7_PKT4_PKT5_S5_PT6_21rocsparse_index_base_b.private_seg_size, 0
	.set _ZN9rocsparseL18bsrxmvn_4x4_kernelILj128ELj16EdiidddEEvT3_20rocsparse_direction_NS_24const_host_device_scalarIT1_EES1_PKS1_PKT2_SA_S7_PKT4_PKT5_S5_PT6_21rocsparse_index_base_b.uses_vcc, 1
	.set _ZN9rocsparseL18bsrxmvn_4x4_kernelILj128ELj16EdiidddEEvT3_20rocsparse_direction_NS_24const_host_device_scalarIT1_EES1_PKS1_PKT2_SA_S7_PKT4_PKT5_S5_PT6_21rocsparse_index_base_b.uses_flat_scratch, 0
	.set _ZN9rocsparseL18bsrxmvn_4x4_kernelILj128ELj16EdiidddEEvT3_20rocsparse_direction_NS_24const_host_device_scalarIT1_EES1_PKS1_PKT2_SA_S7_PKT4_PKT5_S5_PT6_21rocsparse_index_base_b.has_dyn_sized_stack, 0
	.set _ZN9rocsparseL18bsrxmvn_4x4_kernelILj128ELj16EdiidddEEvT3_20rocsparse_direction_NS_24const_host_device_scalarIT1_EES1_PKS1_PKT2_SA_S7_PKT4_PKT5_S5_PT6_21rocsparse_index_base_b.has_recursion, 0
	.set _ZN9rocsparseL18bsrxmvn_4x4_kernelILj128ELj16EdiidddEEvT3_20rocsparse_direction_NS_24const_host_device_scalarIT1_EES1_PKS1_PKT2_SA_S7_PKT4_PKT5_S5_PT6_21rocsparse_index_base_b.has_indirect_call, 0
	.section	.AMDGPU.csdata,"",@progbits
; Kernel info:
; codeLenInByte = 4896
; TotalNumSgprs: 18
; NumVgprs: 122
; ScratchSize: 0
; MemoryBound: 1
; FloatMode: 240
; IeeeMode: 1
; LDSByteSize: 0 bytes/workgroup (compile time only)
; SGPRBlocks: 0
; VGPRBlocks: 15
; NumSGPRsForWavesPerEU: 18
; NumVGPRsForWavesPerEU: 122
; Occupancy: 8
; WaveLimiterHint : 1
; COMPUTE_PGM_RSRC2:SCRATCH_EN: 0
; COMPUTE_PGM_RSRC2:USER_SGPR: 6
; COMPUTE_PGM_RSRC2:TRAP_HANDLER: 0
; COMPUTE_PGM_RSRC2:TGID_X_EN: 1
; COMPUTE_PGM_RSRC2:TGID_Y_EN: 0
; COMPUTE_PGM_RSRC2:TGID_Z_EN: 0
; COMPUTE_PGM_RSRC2:TIDIG_COMP_CNT: 0
	.section	.text._ZN9rocsparseL18bsrxmvn_4x4_kernelILj128ELj32EdiidddEEvT3_20rocsparse_direction_NS_24const_host_device_scalarIT1_EES1_PKS1_PKT2_SA_S7_PKT4_PKT5_S5_PT6_21rocsparse_index_base_b,"axG",@progbits,_ZN9rocsparseL18bsrxmvn_4x4_kernelILj128ELj32EdiidddEEvT3_20rocsparse_direction_NS_24const_host_device_scalarIT1_EES1_PKS1_PKT2_SA_S7_PKT4_PKT5_S5_PT6_21rocsparse_index_base_b,comdat
	.globl	_ZN9rocsparseL18bsrxmvn_4x4_kernelILj128ELj32EdiidddEEvT3_20rocsparse_direction_NS_24const_host_device_scalarIT1_EES1_PKS1_PKT2_SA_S7_PKT4_PKT5_S5_PT6_21rocsparse_index_base_b ; -- Begin function _ZN9rocsparseL18bsrxmvn_4x4_kernelILj128ELj32EdiidddEEvT3_20rocsparse_direction_NS_24const_host_device_scalarIT1_EES1_PKS1_PKT2_SA_S7_PKT4_PKT5_S5_PT6_21rocsparse_index_base_b
	.p2align	8
	.type	_ZN9rocsparseL18bsrxmvn_4x4_kernelILj128ELj32EdiidddEEvT3_20rocsparse_direction_NS_24const_host_device_scalarIT1_EES1_PKS1_PKT2_SA_S7_PKT4_PKT5_S5_PT6_21rocsparse_index_base_b,@function
_ZN9rocsparseL18bsrxmvn_4x4_kernelILj128ELj32EdiidddEEvT3_20rocsparse_direction_NS_24const_host_device_scalarIT1_EES1_PKS1_PKT2_SA_S7_PKT4_PKT5_S5_PT6_21rocsparse_index_base_b: ; @_ZN9rocsparseL18bsrxmvn_4x4_kernelILj128ELj32EdiidddEEvT3_20rocsparse_direction_NS_24const_host_device_scalarIT1_EES1_PKS1_PKT2_SA_S7_PKT4_PKT5_S5_PT6_21rocsparse_index_base_b
; %bb.0:
	s_clause 0x2
	s_load_dwordx2 s[2:3], s[4:5], 0x58
	s_load_dwordx2 s[8:9], s[4:5], 0x8
	;; [unrolled: 1-line block ×3, first 2 shown]
	s_waitcnt lgkmcnt(0)
	s_bitcmp1_b32 s3, 0
	v_mov_b32_e32 v2, s8
	v_mov_b32_e32 v3, s9
	s_cselect_b32 s3, -1, 0
	s_and_b32 vcc_lo, exec_lo, s3
	s_xor_b32 s3, s3, -1
	s_cbranch_vccnz .LBB8_2
; %bb.1:
	v_mov_b32_e32 v1, s8
	v_mov_b32_e32 v2, s9
	flat_load_dwordx2 v[2:3], v[1:2]
.LBB8_2:
	v_mov_b32_e32 v9, s1
	v_mov_b32_e32 v8, s0
	s_andn2_b32 vcc_lo, exec_lo, s3
	s_cbranch_vccnz .LBB8_4
; %bb.3:
	v_mov_b32_e32 v5, s1
	v_mov_b32_e32 v4, s0
	flat_load_dwordx2 v[8:9], v[4:5]
.LBB8_4:
	s_waitcnt vmcnt(0) lgkmcnt(0)
	v_cmp_neq_f64_e32 vcc_lo, 0, v[2:3]
	v_cmp_neq_f64_e64 s0, 1.0, v[8:9]
	s_or_b32 s0, vcc_lo, s0
	s_and_saveexec_b32 s1, s0
	s_cbranch_execz .LBB8_10
; %bb.5:
	s_clause 0x1
	s_load_dwordx2 s[8:9], s[4:5], 0x18
	s_load_dwordx2 s[0:1], s[4:5], 0x0
	v_lshrrev_b32_e32 v1, 5, v0
	v_lshl_or_b32 v10, s6, 2, v1
	s_waitcnt lgkmcnt(0)
	s_cmp_lg_u64 s[8:9], 0
	s_cbranch_scc0 .LBB8_11
; %bb.6:
	s_load_dword s3, s[4:5], 0x10
	s_mov_b32 s6, 0
                                        ; implicit-def: $vgpr1
	s_waitcnt lgkmcnt(0)
	v_cmp_gt_i32_e32 vcc_lo, s3, v10
	s_mov_b32 s3, 0
	s_and_saveexec_b32 s7, vcc_lo
	s_xor_b32 s7, exec_lo, s7
	s_cbranch_execz .LBB8_8
; %bb.7:
	v_ashrrev_i32_e32 v11, 31, v10
	s_mov_b32 s3, exec_lo
	v_lshlrev_b64 v[4:5], 2, v[10:11]
	v_add_co_u32 v4, vcc_lo, s8, v4
	v_add_co_ci_u32_e64 v5, null, s9, v5, vcc_lo
	global_load_dword v1, v[4:5], off
	s_waitcnt vmcnt(0)
	v_subrev_nc_u32_e32 v1, s2, v1
.LBB8_8:
	s_or_b32 exec_lo, exec_lo, s7
	s_and_b32 vcc_lo, exec_lo, s6
	s_cbranch_vccz .LBB8_12
.LBB8_9:
	v_cmp_gt_i32_e32 vcc_lo, s0, v10
	s_andn2_b32 s0, s3, exec_lo
	s_and_b32 s3, vcc_lo, exec_lo
	s_or_b32 s3, s0, s3
	s_and_b32 exec_lo, exec_lo, s3
	s_cbranch_execnz .LBB8_13
.LBB8_10:
	s_endpgm
.LBB8_11:
	s_mov_b32 s3, 0
                                        ; implicit-def: $vgpr1
	s_cbranch_execnz .LBB8_9
.LBB8_12:
	v_mov_b32_e32 v10, v1
	s_and_b32 exec_lo, exec_lo, s3
	s_cbranch_execz .LBB8_10
.LBB8_13:
	s_load_dwordx8 s[8:15], s[4:5], 0x20
	v_ashrrev_i32_e32 v11, 31, v10
	v_and_b32_e32 v21, 31, v0
	s_load_dwordx2 s[6:7], s[4:5], 0x40
	v_lshlrev_b64 v[4:5], 2, v[10:11]
	s_waitcnt lgkmcnt(0)
	v_add_co_u32 v6, vcc_lo, s8, v4
	v_add_co_ci_u32_e64 v7, null, s9, v5, vcc_lo
	v_add_co_u32 v1, vcc_lo, s10, v4
	v_add_co_ci_u32_e64 v4, null, s11, v5, vcc_lo
	global_load_dword v23, v[6:7], off
	v_add_co_u32 v6, vcc_lo, v6, 4
	v_add_co_ci_u32_e64 v5, null, 0, v7, vcc_lo
	s_cmp_eq_u64 s[10:11], 0
	s_cselect_b32 vcc_lo, -1, 0
	s_cmp_eq_u32 s1, 1
	v_cndmask_b32_e32 v5, v4, v5, vcc_lo
	v_cndmask_b32_e32 v4, v1, v6, vcc_lo
	global_load_dword v6, v[4:5], off
	s_waitcnt vmcnt(1)
	v_subrev_nc_u32_e32 v0, s2, v23
	v_add_nc_u32_e32 v0, v0, v21
	v_ashrrev_i32_e32 v1, 31, v0
	s_waitcnt vmcnt(0)
	v_subrev_nc_u32_e32 v22, s2, v6
	v_lshlrev_b64 v[4:5], 7, v[0:1]
	v_cmp_lt_i32_e64 s0, v0, v22
	v_add_co_u32 v4, vcc_lo, s14, v4
	v_add_co_ci_u32_e64 v5, null, s15, v5, vcc_lo
	s_cbranch_scc1 .LBB8_25
; %bb.14:
	v_mov_b32_e32 v6, 0
	v_mov_b32_e32 v11, 0
	;; [unrolled: 1-line block ×8, first 2 shown]
	s_and_saveexec_b32 s3, s0
	s_cbranch_execz .LBB8_24
; %bb.15:
	v_add_nc_u32_e32 v1, v23, v21
	v_not_b32_e32 v6, v23
	v_mov_b32_e32 v13, 0
	v_mov_b32_e32 v15, 0
	;; [unrolled: 1-line block ×3, first 2 shown]
	v_subrev_nc_u32_e32 v1, s2, v1
	v_mov_b32_e32 v14, 0
	v_mov_b32_e32 v16, 0
	;; [unrolled: 1-line block ×4, first 2 shown]
	v_add_nc_u32_e32 v1, 32, v1
	v_max_i32_e32 v1, v1, v22
	v_add3_u32 v1, s2, v1, v6
	v_mov_b32_e32 v6, 0
	v_mov_b32_e32 v7, 0
	v_sub_nc_u32_e32 v1, v1, v21
	v_and_b32_e32 v17, 0x60, v1
	v_cmp_ne_u32_e32 vcc_lo, 0x60, v17
	v_mov_b32_e32 v18, v5
	v_mov_b32_e32 v17, v4
	s_and_saveexec_b32 s1, vcc_lo
	s_cbranch_execz .LBB8_19
; %bb.16:
	v_lshrrev_b32_e32 v6, 5, v1
	v_mov_b32_e32 v18, v5
	v_mov_b32_e32 v15, 0
	v_mov_b32_e32 v13, 0
	v_mov_b32_e32 v17, v4
	v_add_nc_u32_e32 v11, 1, v6
	v_mov_b32_e32 v6, 0
	v_mov_b32_e32 v7, 0
	;; [unrolled: 1-line block ×4, first 2 shown]
	v_and_b32_e32 v19, 3, v11
	v_mov_b32_e32 v11, 0
	v_mov_b32_e32 v12, 0
	s_mov_b32 s8, 0
	v_sub_nc_u32_e32 v24, 0, v19
	v_mov_b32_e32 v19, v0
.LBB8_17:                               ; =>This Inner Loop Header: Depth=1
	v_ashrrev_i32_e32 v20, 31, v19
	v_add_co_u32 v24, s9, v24, 1
	s_or_b32 s8, s9, s8
	v_lshlrev_b64 v[25:26], 2, v[19:20]
	v_add_nc_u32_e32 v19, 32, v19
	v_add_co_u32 v25, vcc_lo, s12, v25
	v_add_co_ci_u32_e64 v26, null, s13, v26, vcc_lo
	global_load_dword v20, v[25:26], off
	s_clause 0x6
	global_load_dwordx4 v[25:28], v[17:18], off offset:48
	global_load_dwordx4 v[29:32], v[17:18], off offset:32
	;; [unrolled: 1-line block ×3, first 2 shown]
	global_load_dwordx4 v[37:40], v[17:18], off
	global_load_dwordx4 v[41:44], v[17:18], off offset:112
	global_load_dwordx4 v[45:48], v[17:18], off offset:96
	;; [unrolled: 1-line block ×3, first 2 shown]
	s_waitcnt vmcnt(7)
	v_subrev_nc_u32_e32 v20, s2, v20
	v_lshlrev_b32_e32 v53, 2, v20
	v_ashrrev_i32_e32 v54, 31, v53
	v_lshlrev_b64 v[53:54], 3, v[53:54]
	v_add_co_u32 v61, vcc_lo, s6, v53
	v_add_co_ci_u32_e64 v62, null, s7, v54, vcc_lo
	global_load_dwordx4 v[53:56], v[17:18], off offset:64
	s_clause 0x1
	global_load_dwordx4 v[57:60], v[61:62], off
	global_load_dwordx4 v[61:64], v[61:62], off offset:16
	v_add_co_u32 v17, vcc_lo, 0x1000, v17
	v_add_co_ci_u32_e64 v18, null, 0, v18, vcc_lo
	s_waitcnt vmcnt(1)
	v_fma_f64 v[13:14], v[37:38], v[57:58], v[13:14]
	v_fma_f64 v[15:16], v[29:30], v[57:58], v[15:16]
	;; [unrolled: 1-line block ×8, first 2 shown]
	s_waitcnt vmcnt(0)
	v_fma_f64 v[13:14], v[33:34], v[61:62], v[13:14]
	v_fma_f64 v[15:16], v[25:26], v[61:62], v[15:16]
	v_fma_f64 v[11:12], v[49:50], v[61:62], v[11:12]
	v_fma_f64 v[6:7], v[41:42], v[61:62], v[6:7]
	v_fma_f64 v[13:14], v[35:36], v[63:64], v[13:14]
	v_fma_f64 v[15:16], v[27:28], v[63:64], v[15:16]
	v_fma_f64 v[11:12], v[51:52], v[63:64], v[11:12]
	v_fma_f64 v[6:7], v[43:44], v[63:64], v[6:7]
	s_andn2_b32 exec_lo, exec_lo, s8
	s_cbranch_execnz .LBB8_17
; %bb.18:
	s_or_b32 exec_lo, exec_lo, s8
.LBB8_19:
	s_or_b32 exec_lo, exec_lo, s1
	s_mov_b32 s8, exec_lo
	v_cmpx_lt_u32_e32 0x5f, v1
	s_cbranch_execz .LBB8_23
; %bb.20:
	s_mov_b32 s9, 0
.LBB8_21:                               ; =>This Inner Loop Header: Depth=1
	v_ashrrev_i32_e32 v20, 31, v19
	v_add_co_u32 v84, vcc_lo, 0x1000, v17
	v_add_co_ci_u32_e64 v85, null, 0, v18, vcc_lo
	v_lshlrev_b64 v[104:105], 2, v[19:20]
	v_add_co_u32 v112, vcc_lo, 0x2000, v17
	v_add_co_ci_u32_e64 v113, null, 0, v18, vcc_lo
	v_add_co_u32 v114, vcc_lo, 0x3000, v17
	v_add_co_ci_u32_e64 v115, null, 0, v18, vcc_lo
	;; [unrolled: 2-line block ×3, first 2 shown]
	s_clause 0x13
	global_load_dwordx4 v[24:27], v[17:18], off offset:48
	global_load_dwordx4 v[28:31], v[17:18], off offset:32
	;; [unrolled: 1-line block ×3, first 2 shown]
	global_load_dwordx4 v[36:39], v[17:18], off
	global_load_dwordx4 v[40:43], v[17:18], off offset:112
	global_load_dwordx4 v[44:47], v[17:18], off offset:96
	;; [unrolled: 1-line block ×6, first 2 shown]
	global_load_dwordx4 v[64:67], v[84:85], off
	global_load_dwordx4 v[68:71], v[84:85], off offset:16
	global_load_dwordx4 v[72:75], v[84:85], off offset:112
	;; [unrolled: 1-line block ×7, first 2 shown]
	global_load_dwordx4 v[96:99], v[112:113], off
	global_load_dwordx4 v[100:103], v[112:113], off offset:16
	s_clause 0x3
	global_load_dword v1, v[104:105], off
	global_load_dword v20, v[104:105], off offset:128
	global_load_dword v120, v[104:105], off offset:256
	;; [unrolled: 1-line block ×3, first 2 shown]
	v_add_nc_u32_e32 v19, 0x80, v19
	v_add_co_u32 v17, s1, 0x4000, v17
	v_add_co_ci_u32_e64 v18, null, 0, v18, s1
	s_waitcnt vmcnt(3)
	v_subrev_nc_u32_e32 v1, s2, v1
	v_lshlrev_b32_e32 v104, 2, v1
	s_waitcnt vmcnt(2)
	v_subrev_nc_u32_e32 v1, s2, v20
	v_ashrrev_i32_e32 v105, 31, v104
	v_lshlrev_b64 v[104:105], 3, v[104:105]
	v_add_co_u32 v108, vcc_lo, s6, v104
	v_add_co_ci_u32_e64 v109, null, s7, v105, vcc_lo
	s_clause 0x1
	global_load_dwordx4 v[104:107], v[108:109], off
	global_load_dwordx4 v[108:111], v[108:109], off offset:16
	s_waitcnt vmcnt(1)
	v_fma_f64 v[13:14], v[36:37], v[104:105], v[13:14]
	v_fma_f64 v[11:12], v[52:53], v[104:105], v[11:12]
	;; [unrolled: 1-line block ×3, first 2 shown]
	v_lshlrev_b32_e32 v52, 2, v1
	v_subrev_nc_u32_e32 v1, s2, v120
	v_ashrrev_i32_e32 v53, 31, v52
	v_lshlrev_b64 v[52:53], 3, v[52:53]
	v_fma_f64 v[116:117], v[38:39], v[106:107], v[13:14]
	v_fma_f64 v[13:14], v[28:29], v[104:105], v[15:16]
	;; [unrolled: 1-line block ×4, first 2 shown]
	v_add_co_u32 v104, vcc_lo, s6, v52
	v_add_co_ci_u32_e64 v105, null, s7, v53, vcc_lo
	s_clause 0x2
	global_load_dwordx4 v[36:39], v[112:113], off offset:112
	global_load_dwordx4 v[52:55], v[114:115], off
	global_load_dwordx4 v[44:47], v[112:113], off offset:64
	s_waitcnt vmcnt(3)
	v_fma_f64 v[32:33], v[32:33], v[108:109], v[116:117]
	v_fma_f64 v[118:119], v[30:31], v[106:107], v[13:14]
	;; [unrolled: 1-line block ×4, first 2 shown]
	v_lshlrev_b32_e32 v106, 2, v1
	s_clause 0x1
	global_load_dwordx4 v[13:16], v[112:113], off offset:96
	global_load_dwordx4 v[28:31], v[112:113], off offset:80
	v_subrev_nc_u32_e32 v1, s2, v121
	v_ashrrev_i32_e32 v107, 31, v106
	v_fma_f64 v[112:113], v[34:35], v[110:111], v[32:33]
	v_fma_f64 v[24:25], v[24:25], v[108:109], v[118:119]
	global_load_dwordx4 v[32:35], v[114:115], off offset:48
	v_fma_f64 v[11:12], v[50:51], v[110:111], v[11:12]
	global_load_dwordx4 v[48:51], v[114:115], off offset:112
	v_lshlrev_b64 v[118:119], 3, v[106:107]
	v_fma_f64 v[6:7], v[42:43], v[110:111], v[6:7]
	v_add_co_u32 v108, vcc_lo, s6, v118
	v_add_co_ci_u32_e64 v109, null, s7, v119, vcc_lo
	v_fma_f64 v[116:117], v[26:27], v[110:111], v[24:25]
	global_load_dwordx4 v[24:27], v[114:115], off offset:32
	s_clause 0x1
	global_load_dwordx4 v[40:43], v[104:105], off
	global_load_dwordx4 v[104:107], v[104:105], off offset:16
	s_waitcnt vmcnt(1)
	v_fma_f64 v[64:65], v[64:65], v[40:41], v[112:113]
	v_fma_f64 v[60:61], v[60:61], v[40:41], v[116:117]
	;; [unrolled: 1-line block ×4, first 2 shown]
	v_lshlrev_b32_e32 v40, 2, v1
	v_ashrrev_i32_e32 v41, 31, v40
	v_lshlrev_b64 v[40:41], 3, v[40:41]
	v_add_co_u32 v118, vcc_lo, s6, v40
	v_fma_f64 v[112:113], v[66:67], v[42:43], v[64:65]
	s_clause 0x1
	global_load_dwordx4 v[64:67], v[108:109], off
	global_load_dwordx4 v[108:111], v[108:109], off offset:16
	v_add_co_ci_u32_e64 v119, null, s7, v41, vcc_lo
	v_fma_f64 v[116:117], v[62:63], v[42:43], v[60:61]
	global_load_dwordx4 v[60:63], v[114:115], off offset:96
	v_fma_f64 v[11:12], v[86:87], v[42:43], v[11:12]
	global_load_dwordx4 v[84:87], v[114:115], off offset:64
	v_fma_f64 v[6:7], v[78:79], v[42:43], v[6:7]
	global_load_dwordx4 v[40:43], v[118:119], off
	v_cmp_ge_i32_e32 vcc_lo, v19, v22
	s_or_b32 s9, vcc_lo, s9
	s_waitcnt vmcnt(5)
	v_fma_f64 v[68:69], v[68:69], v[104:105], v[112:113]
	v_fma_f64 v[56:57], v[56:57], v[104:105], v[116:117]
	;; [unrolled: 1-line block ×5, first 2 shown]
	s_clause 0x1
	global_load_dwordx4 v[68:71], v[114:115], off offset:80
	global_load_dwordx4 v[76:79], v[114:115], off offset:16
	v_fma_f64 v[114:115], v[58:59], v[106:107], v[56:57]
	global_load_dwordx4 v[56:59], v[118:119], off offset:16
	v_fma_f64 v[11:12], v[82:83], v[106:107], v[11:12]
	v_fma_f64 v[6:7], v[74:75], v[106:107], v[6:7]
	s_waitcnt vmcnt(7)
	v_fma_f64 v[72:73], v[96:97], v[64:65], v[112:113]
	v_fma_f64 v[74:75], v[92:93], v[64:65], v[114:115]
	v_fma_f64 v[11:12], v[44:45], v[64:65], v[11:12]
	v_fma_f64 v[6:7], v[13:14], v[64:65], v[6:7]
	v_fma_f64 v[13:14], v[98:99], v[66:67], v[72:73]
	v_fma_f64 v[44:45], v[94:95], v[66:67], v[74:75]
	v_fma_f64 v[11:12], v[46:47], v[66:67], v[11:12]
	v_fma_f64 v[6:7], v[15:16], v[66:67], v[6:7]
	s_waitcnt vmcnt(6)
	v_fma_f64 v[13:14], v[100:101], v[108:109], v[13:14]
	v_fma_f64 v[15:16], v[88:89], v[108:109], v[44:45]
	v_fma_f64 v[11:12], v[28:29], v[108:109], v[11:12]
	v_fma_f64 v[6:7], v[36:37], v[108:109], v[6:7]
	v_fma_f64 v[13:14], v[102:103], v[110:111], v[13:14]
	v_fma_f64 v[15:16], v[90:91], v[110:111], v[15:16]
	;; [unrolled: 9-line block ×4, first 2 shown]
	v_fma_f64 v[11:12], v[70:71], v[58:59], v[11:12]
	v_fma_f64 v[6:7], v[50:51], v[58:59], v[6:7]
	s_andn2_b32 exec_lo, exec_lo, s9
	s_cbranch_execnz .LBB8_21
; %bb.22:
	s_or_b32 exec_lo, exec_lo, s9
.LBB8_23:
	s_or_b32 exec_lo, exec_lo, s8
.LBB8_24:
	s_or_b32 exec_lo, exec_lo, s3
	s_cbranch_execz .LBB8_26
	s_branch .LBB8_37
.LBB8_25:
                                        ; implicit-def: $vgpr6_vgpr7
                                        ; implicit-def: $vgpr11_vgpr12
                                        ; implicit-def: $vgpr15_vgpr16
                                        ; implicit-def: $vgpr13_vgpr14
.LBB8_26:
	v_mov_b32_e32 v6, 0
	v_mov_b32_e32 v11, 0
	;; [unrolled: 1-line block ×8, first 2 shown]
	s_and_saveexec_b32 s1, s0
	s_cbranch_execz .LBB8_36
; %bb.27:
	v_add_nc_u32_e32 v1, v23, v21
	v_not_b32_e32 v6, v23
	v_mov_b32_e32 v13, 0
	v_mov_b32_e32 v15, 0
	;; [unrolled: 1-line block ×3, first 2 shown]
	v_subrev_nc_u32_e32 v1, s2, v1
	v_mov_b32_e32 v14, 0
	v_mov_b32_e32 v16, 0
	;; [unrolled: 1-line block ×3, first 2 shown]
	s_mov_b32 s0, exec_lo
	v_add_nc_u32_e32 v1, 32, v1
	v_max_i32_e32 v1, v1, v22
	v_add3_u32 v1, s2, v1, v6
	v_mov_b32_e32 v6, 0
	v_mov_b32_e32 v7, 0
	v_sub_nc_u32_e32 v17, v1, v21
	v_and_b32_e32 v1, 0x60, v17
	v_cmpx_ne_u32_e32 0x60, v1
	s_cbranch_execz .LBB8_31
; %bb.28:
	v_lshrrev_b32_e32 v1, 5, v17
	v_mov_b32_e32 v6, 0
	v_mov_b32_e32 v11, 0
	;; [unrolled: 1-line block ×4, first 2 shown]
	v_add_nc_u32_e32 v1, 1, v1
	v_mov_b32_e32 v7, 0
	v_mov_b32_e32 v12, 0
	;; [unrolled: 1-line block ×4, first 2 shown]
	v_and_b32_e32 v1, 3, v1
	s_mov_b32 s3, 0
	v_sub_nc_u32_e32 v18, 0, v1
.LBB8_29:                               ; =>This Inner Loop Header: Depth=1
	v_ashrrev_i32_e32 v1, 31, v0
	v_add_co_u32 v18, s8, v18, 1
	s_or_b32 s3, s8, s3
	v_lshlrev_b64 v[19:20], 2, v[0:1]
	v_add_nc_u32_e32 v0, 32, v0
	v_add_co_u32 v19, vcc_lo, s12, v19
	v_add_co_ci_u32_e64 v20, null, s13, v20, vcc_lo
	global_load_dword v1, v[19:20], off
	global_load_dwordx4 v[23:26], v[4:5], off offset:16
	s_waitcnt vmcnt(1)
	v_subrev_nc_u32_e32 v1, s2, v1
	v_lshlrev_b32_e32 v19, 2, v1
	v_ashrrev_i32_e32 v20, 31, v19
	v_lshlrev_b64 v[19:20], 3, v[19:20]
	v_add_co_u32 v19, vcc_lo, s6, v19
	v_add_co_ci_u32_e64 v20, null, s7, v20, vcc_lo
	global_load_dwordx4 v[27:30], v[4:5], off
	s_clause 0x1
	global_load_dwordx4 v[31:34], v[19:20], off
	global_load_dwordx4 v[35:38], v[19:20], off offset:16
	s_clause 0x5
	global_load_dwordx4 v[39:42], v[4:5], off offset:32
	global_load_dwordx4 v[43:46], v[4:5], off offset:48
	;; [unrolled: 1-line block ×6, first 2 shown]
	v_add_co_u32 v4, vcc_lo, 0x1000, v4
	v_add_co_ci_u32_e64 v5, null, 0, v5, vcc_lo
	s_waitcnt vmcnt(7)
	v_fma_f64 v[13:14], v[27:28], v[31:32], v[13:14]
	v_fma_f64 v[15:16], v[29:30], v[31:32], v[15:16]
	;; [unrolled: 1-line block ×4, first 2 shown]
	s_waitcnt vmcnt(5)
	v_fma_f64 v[13:14], v[39:40], v[33:34], v[13:14]
	v_fma_f64 v[15:16], v[41:42], v[33:34], v[15:16]
	s_waitcnt vmcnt(4)
	v_fma_f64 v[11:12], v[43:44], v[33:34], v[11:12]
	v_fma_f64 v[6:7], v[45:46], v[33:34], v[6:7]
	;; [unrolled: 3-line block ×6, first 2 shown]
	s_andn2_b32 exec_lo, exec_lo, s3
	s_cbranch_execnz .LBB8_29
; %bb.30:
	s_or_b32 exec_lo, exec_lo, s3
.LBB8_31:
	s_or_b32 exec_lo, exec_lo, s0
	s_mov_b32 s3, exec_lo
	v_cmpx_lt_u32_e32 0x5f, v17
	s_cbranch_execz .LBB8_35
; %bb.32:
	s_mov_b32 s8, 0
.LBB8_33:                               ; =>This Inner Loop Header: Depth=1
	v_ashrrev_i32_e32 v1, 31, v0
	v_add_co_u32 v79, vcc_lo, 0x1000, v4
	v_add_co_ci_u32_e64 v80, null, 0, v5, vcc_lo
	v_lshlrev_b64 v[83:84], 2, v[0:1]
	v_add_co_u32 v91, vcc_lo, 0x2000, v4
	v_add_co_ci_u32_e64 v92, null, 0, v5, vcc_lo
	v_add_co_u32 v93, vcc_lo, 0x3000, v4
	v_add_co_ci_u32_e64 v94, null, 0, v5, vcc_lo
	;; [unrolled: 2-line block ×3, first 2 shown]
	s_clause 0xf
	global_load_dwordx4 v[17:20], v[4:5], off offset:48
	global_load_dwordx4 v[23:26], v[4:5], off offset:32
	;; [unrolled: 1-line block ×3, first 2 shown]
	global_load_dwordx4 v[31:34], v[4:5], off
	global_load_dwordx4 v[35:38], v[4:5], off offset:112
	global_load_dwordx4 v[39:42], v[4:5], off offset:96
	;; [unrolled: 1-line block ×6, first 2 shown]
	global_load_dwordx4 v[59:62], v[79:80], off
	global_load_dwordx4 v[63:66], v[79:80], off offset:16
	global_load_dwordx4 v[67:70], v[79:80], off offset:112
	;; [unrolled: 1-line block ×5, first 2 shown]
	s_clause 0x3
	global_load_dword v1, v[83:84], off
	global_load_dword v95, v[83:84], off offset:128
	global_load_dword v96, v[83:84], off offset:256
	;; [unrolled: 1-line block ×3, first 2 shown]
	v_add_nc_u32_e32 v0, 0x80, v0
	v_add_co_u32 v4, s0, 0x4000, v4
	v_add_co_ci_u32_e64 v5, null, 0, v5, s0
	s_waitcnt vmcnt(3)
	v_subrev_nc_u32_e32 v1, s2, v1
	s_waitcnt vmcnt(1)
	v_subrev_nc_u32_e32 v97, s2, v96
	v_lshlrev_b32_e32 v83, 2, v1
	v_subrev_nc_u32_e32 v1, s2, v95
	v_ashrrev_i32_e32 v84, 31, v83
	v_lshlrev_b64 v[83:84], 3, v[83:84]
	v_add_co_u32 v87, vcc_lo, s6, v83
	v_add_co_ci_u32_e64 v88, null, s7, v84, vcc_lo
	s_clause 0x1
	global_load_dwordx4 v[83:86], v[87:88], off
	global_load_dwordx4 v[87:90], v[87:88], off offset:16
	s_waitcnt vmcnt(1)
	v_fma_f64 v[31:32], v[31:32], v[83:84], v[13:14]
	v_fma_f64 v[33:34], v[33:34], v[83:84], v[15:16]
	;; [unrolled: 1-line block ×4, first 2 shown]
	s_clause 0x1
	global_load_dwordx4 v[13:16], v[91:92], off
	global_load_dwordx4 v[27:30], v[91:92], off offset:16
	v_fma_f64 v[83:84], v[23:24], v[85:86], v[31:32]
	v_lshlrev_b32_e32 v23, 2, v1
	v_fma_f64 v[95:96], v[25:26], v[85:86], v[33:34]
	v_lshlrev_b32_e32 v25, 2, v97
	v_fma_f64 v[11:12], v[17:18], v[85:86], v[11:12]
	v_fma_f64 v[6:7], v[19:20], v[85:86], v[6:7]
	v_ashrrev_i32_e32 v24, 31, v23
	v_subrev_nc_u32_e32 v1, s2, v99
	v_ashrrev_i32_e32 v26, 31, v25
	v_lshlrev_b64 v[23:24], 3, v[23:24]
	v_lshlrev_b64 v[25:26], 3, v[25:26]
	v_add_co_u32 v23, vcc_lo, s6, v23
	v_add_co_ci_u32_e64 v24, null, s7, v24, vcc_lo
	v_add_co_u32 v97, vcc_lo, s6, v25
	v_add_co_ci_u32_e64 v98, null, s7, v26, vcc_lo
	s_clause 0x2
	global_load_dwordx4 v[17:20], v[23:24], off
	global_load_dwordx4 v[23:26], v[23:24], off offset:16
	global_load_dwordx4 v[31:34], v[97:98], off
	s_waitcnt vmcnt(5)
	v_fma_f64 v[83:84], v[47:48], v[87:88], v[83:84]
	v_fma_f64 v[85:86], v[49:50], v[87:88], v[95:96]
	global_load_dwordx4 v[47:50], v[91:92], off offset:32
	v_fma_f64 v[11:12], v[43:44], v[87:88], v[11:12]
	v_fma_f64 v[6:7], v[45:46], v[87:88], v[6:7]
	global_load_dwordx4 v[43:46], v[91:92], off offset:48
	;; [unrolled: 3-line block ×4, first 2 shown]
	global_load_dwordx4 v[83:86], v[97:98], off offset:16
	s_waitcnt vmcnt(7)
	v_fma_f64 v[97:98], v[59:60], v[17:18], v[87:88]
	v_fma_f64 v[95:96], v[61:62], v[17:18], v[95:96]
	s_clause 0x1
	global_load_dwordx4 v[59:62], v[91:92], off offset:112
	global_load_dwordx4 v[87:90], v[91:92], off offset:96
	v_fma_f64 v[11:12], v[63:64], v[17:18], v[11:12]
	v_fma_f64 v[6:7], v[65:66], v[17:18], v[6:7]
	v_lshlrev_b32_e32 v17, 2, v1
	global_load_dwordx4 v[63:66], v[93:94], off
	v_ashrrev_i32_e32 v18, 31, v17
	v_lshlrev_b64 v[17:18], 3, v[17:18]
	v_add_co_u32 v91, vcc_lo, s6, v17
	v_add_co_ci_u32_e64 v92, null, s7, v18, vcc_lo
	v_fma_f64 v[55:56], v[55:56], v[19:20], v[97:98]
	v_fma_f64 v[57:58], v[57:58], v[19:20], v[95:96]
	v_fma_f64 v[11:12], v[51:52], v[19:20], v[11:12]
	v_fma_f64 v[6:7], v[53:54], v[19:20], v[6:7]
	global_load_dwordx4 v[17:20], v[93:94], off offset:16
	global_load_dwordx4 v[51:54], v[91:92], off
	v_cmp_ge_i32_e32 vcc_lo, v0, v22
	s_or_b32 s8, vcc_lo, s8
	s_waitcnt vmcnt(11)
	v_fma_f64 v[79:80], v[79:80], v[23:24], v[55:56]
	v_fma_f64 v[81:82], v[81:82], v[23:24], v[57:58]
	global_load_dwordx4 v[55:58], v[93:94], off offset:32
	v_fma_f64 v[11:12], v[75:76], v[23:24], v[11:12]
	v_fma_f64 v[6:7], v[77:78], v[23:24], v[6:7]
	global_load_dwordx4 v[75:78], v[93:94], off offset:48
	;; [unrolled: 3-line block ×4, first 2 shown]
	global_load_dwordx4 v[67:70], v[91:92], off offset:16
	s_clause 0x1
	global_load_dwordx4 v[79:82], v[93:94], off offset:96
	global_load_dwordx4 v[91:94], v[93:94], off offset:112
	s_waitcnt vmcnt(17)
	v_fma_f64 v[13:14], v[13:14], v[31:32], v[95:96]
	v_fma_f64 v[15:16], v[15:16], v[31:32], v[97:98]
	;; [unrolled: 1-line block ×4, first 2 shown]
	s_waitcnt vmcnt(16)
	v_fma_f64 v[13:14], v[47:48], v[33:34], v[13:14]
	v_fma_f64 v[15:16], v[49:50], v[33:34], v[15:16]
	s_waitcnt vmcnt(15)
	v_fma_f64 v[11:12], v[43:44], v[33:34], v[11:12]
	v_fma_f64 v[6:7], v[45:46], v[33:34], v[6:7]
	;; [unrolled: 3-line block ×3, first 2 shown]
	v_fma_f64 v[11:12], v[39:40], v[83:84], v[11:12]
	v_fma_f64 v[6:7], v[41:42], v[83:84], v[6:7]
	s_waitcnt vmcnt(11)
	v_fma_f64 v[11:12], v[59:60], v[85:86], v[11:12]
	s_waitcnt vmcnt(10)
	v_fma_f64 v[13:14], v[87:88], v[85:86], v[13:14]
	v_fma_f64 v[15:16], v[89:90], v[85:86], v[15:16]
	;; [unrolled: 1-line block ×3, first 2 shown]
	s_waitcnt vmcnt(7)
	v_fma_f64 v[13:14], v[63:64], v[51:52], v[13:14]
	v_fma_f64 v[15:16], v[65:66], v[51:52], v[15:16]
	;; [unrolled: 1-line block ×4, first 2 shown]
	s_waitcnt vmcnt(6)
	v_fma_f64 v[13:14], v[55:56], v[53:54], v[13:14]
	v_fma_f64 v[15:16], v[57:58], v[53:54], v[15:16]
	s_waitcnt vmcnt(5)
	v_fma_f64 v[11:12], v[75:76], v[53:54], v[11:12]
	v_fma_f64 v[6:7], v[77:78], v[53:54], v[6:7]
	;; [unrolled: 3-line block ×3, first 2 shown]
	v_fma_f64 v[11:12], v[23:24], v[67:68], v[11:12]
	v_fma_f64 v[6:7], v[25:26], v[67:68], v[6:7]
	s_waitcnt vmcnt(1)
	v_fma_f64 v[13:14], v[79:80], v[69:70], v[13:14]
	v_fma_f64 v[15:16], v[81:82], v[69:70], v[15:16]
	s_waitcnt vmcnt(0)
	v_fma_f64 v[11:12], v[91:92], v[69:70], v[11:12]
	v_fma_f64 v[6:7], v[93:94], v[69:70], v[6:7]
	s_andn2_b32 exec_lo, exec_lo, s8
	s_cbranch_execnz .LBB8_33
; %bb.34:
	s_or_b32 exec_lo, exec_lo, s8
.LBB8_35:
	s_or_b32 exec_lo, exec_lo, s3
.LBB8_36:
	s_or_b32 exec_lo, exec_lo, s1
.LBB8_37:
	v_mbcnt_lo_u32_b32 v24, -1, 0
	v_xor_b32_e32 v0, 16, v24
	v_cmp_gt_i32_e32 vcc_lo, 32, v0
	v_cndmask_b32_e32 v0, v24, v0, vcc_lo
	v_lshlrev_b32_e32 v20, 2, v0
	ds_bpermute_b32 v0, v20, v13
	ds_bpermute_b32 v1, v20, v14
	;; [unrolled: 1-line block ×8, first 2 shown]
	s_waitcnt lgkmcnt(6)
	v_add_f64 v[0:1], v[13:14], v[0:1]
	v_xor_b32_e32 v13, 8, v24
	s_waitcnt lgkmcnt(4)
	v_add_f64 v[4:5], v[15:16], v[4:5]
	s_waitcnt lgkmcnt(2)
	v_add_f64 v[11:12], v[11:12], v[17:18]
	;; [unrolled: 2-line block ×3, first 2 shown]
	v_cmp_gt_i32_e32 vcc_lo, 32, v13
	v_cndmask_b32_e32 v13, v24, v13, vcc_lo
	v_lshlrev_b32_e32 v20, 2, v13
	ds_bpermute_b32 v13, v20, v0
	ds_bpermute_b32 v14, v20, v1
	ds_bpermute_b32 v15, v20, v4
	ds_bpermute_b32 v16, v20, v5
	ds_bpermute_b32 v17, v20, v11
	ds_bpermute_b32 v18, v20, v12
	ds_bpermute_b32 v19, v20, v6
	ds_bpermute_b32 v20, v20, v7
	s_waitcnt lgkmcnt(6)
	v_add_f64 v[0:1], v[0:1], v[13:14]
	v_xor_b32_e32 v13, 4, v24
	s_waitcnt lgkmcnt(4)
	v_add_f64 v[4:5], v[4:5], v[15:16]
	s_waitcnt lgkmcnt(2)
	v_add_f64 v[11:12], v[11:12], v[17:18]
	;; [unrolled: 2-line block ×3, first 2 shown]
	v_cmp_gt_i32_e32 vcc_lo, 32, v13
	v_cndmask_b32_e32 v13, v24, v13, vcc_lo
	v_lshlrev_b32_e32 v20, 2, v13
	ds_bpermute_b32 v13, v20, v0
	ds_bpermute_b32 v14, v20, v1
	;; [unrolled: 1-line block ×8, first 2 shown]
	s_waitcnt lgkmcnt(6)
	v_add_f64 v[0:1], v[0:1], v[13:14]
	s_waitcnt lgkmcnt(4)
	v_add_f64 v[4:5], v[4:5], v[15:16]
	;; [unrolled: 2-line block ×4, first 2 shown]
	v_xor_b32_e32 v6, 2, v24
	v_cmp_gt_i32_e32 vcc_lo, 32, v6
	v_cndmask_b32_e32 v6, v24, v6, vcc_lo
	v_lshlrev_b32_e32 v11, 2, v6
	ds_bpermute_b32 v6, v11, v0
	ds_bpermute_b32 v7, v11, v1
	;; [unrolled: 1-line block ×8, first 2 shown]
	s_waitcnt lgkmcnt(6)
	v_add_f64 v[11:12], v[0:1], v[6:7]
	s_waitcnt lgkmcnt(4)
	v_add_f64 v[6:7], v[4:5], v[17:18]
	;; [unrolled: 2-line block ×3, first 2 shown]
	v_xor_b32_e32 v13, 1, v24
	s_waitcnt lgkmcnt(0)
	v_add_f64 v[4:5], v[15:16], v[22:23]
	v_cmp_gt_i32_e32 vcc_lo, 32, v13
	v_cndmask_b32_e32 v13, v24, v13, vcc_lo
	v_cmp_eq_u32_e32 vcc_lo, 31, v21
	v_lshlrev_b32_e32 v14, 2, v13
	ds_bpermute_b32 v19, v14, v11
	ds_bpermute_b32 v20, v14, v12
	;; [unrolled: 1-line block ×8, first 2 shown]
	s_and_b32 exec_lo, exec_lo, vcc_lo
	s_cbranch_execz .LBB8_10
; %bb.38:
	s_waitcnt lgkmcnt(6)
	v_add_f64 v[11:12], v[11:12], v[19:20]
	s_waitcnt lgkmcnt(4)
	v_add_f64 v[6:7], v[6:7], v[17:18]
	;; [unrolled: 2-line block ×4, first 2 shown]
	s_load_dwordx2 s[0:1], s[4:5], 0x50
	v_lshlrev_b32_e32 v10, 2, v10
	s_mov_b32 s2, exec_lo
	v_mul_f64 v[4:5], v[2:3], v[11:12]
	v_mul_f64 v[6:7], v[2:3], v[6:7]
	;; [unrolled: 1-line block ×4, first 2 shown]
	v_cmpx_eq_f64_e32 0, v[8:9]
	s_xor_b32 s2, exec_lo, s2
	s_cbranch_execz .LBB8_40
; %bb.39:
	v_ashrrev_i32_e32 v11, 31, v10
	v_lshlrev_b64 v[8:9], 3, v[10:11]
                                        ; implicit-def: $vgpr10
	s_waitcnt lgkmcnt(0)
	v_add_co_u32 v8, vcc_lo, s0, v8
	v_add_co_ci_u32_e64 v9, null, s1, v9, vcc_lo
	global_store_dwordx4 v[8:9], v[4:7], off
	global_store_dwordx4 v[8:9], v[0:3], off offset:16
                                        ; implicit-def: $vgpr8_vgpr9
                                        ; implicit-def: $vgpr4_vgpr5
                                        ; implicit-def: $vgpr0_vgpr1
.LBB8_40:
	s_andn2_saveexec_b32 s2, s2
	s_cbranch_execz .LBB8_10
; %bb.41:
	v_ashrrev_i32_e32 v11, 31, v10
	v_lshlrev_b64 v[10:11], 3, v[10:11]
	s_waitcnt lgkmcnt(0)
	v_add_co_u32 v18, vcc_lo, s0, v10
	v_add_co_ci_u32_e64 v19, null, s1, v11, vcc_lo
	s_clause 0x1
	global_load_dwordx4 v[10:13], v[18:19], off
	global_load_dwordx4 v[14:17], v[18:19], off offset:16
	s_waitcnt vmcnt(1)
	v_fma_f64 v[4:5], v[8:9], v[10:11], v[4:5]
	v_fma_f64 v[6:7], v[8:9], v[12:13], v[6:7]
	s_waitcnt vmcnt(0)
	v_fma_f64 v[0:1], v[8:9], v[14:15], v[0:1]
	v_fma_f64 v[2:3], v[8:9], v[16:17], v[2:3]
	global_store_dwordx4 v[18:19], v[4:7], off
	global_store_dwordx4 v[18:19], v[0:3], off offset:16
	s_endpgm
	.section	.rodata,"a",@progbits
	.p2align	6, 0x0
	.amdhsa_kernel _ZN9rocsparseL18bsrxmvn_4x4_kernelILj128ELj32EdiidddEEvT3_20rocsparse_direction_NS_24const_host_device_scalarIT1_EES1_PKS1_PKT2_SA_S7_PKT4_PKT5_S5_PT6_21rocsparse_index_base_b
		.amdhsa_group_segment_fixed_size 0
		.amdhsa_private_segment_fixed_size 0
		.amdhsa_kernarg_size 96
		.amdhsa_user_sgpr_count 6
		.amdhsa_user_sgpr_private_segment_buffer 1
		.amdhsa_user_sgpr_dispatch_ptr 0
		.amdhsa_user_sgpr_queue_ptr 0
		.amdhsa_user_sgpr_kernarg_segment_ptr 1
		.amdhsa_user_sgpr_dispatch_id 0
		.amdhsa_user_sgpr_flat_scratch_init 0
		.amdhsa_user_sgpr_private_segment_size 0
		.amdhsa_wavefront_size32 1
		.amdhsa_uses_dynamic_stack 0
		.amdhsa_system_sgpr_private_segment_wavefront_offset 0
		.amdhsa_system_sgpr_workgroup_id_x 1
		.amdhsa_system_sgpr_workgroup_id_y 0
		.amdhsa_system_sgpr_workgroup_id_z 0
		.amdhsa_system_sgpr_workgroup_info 0
		.amdhsa_system_vgpr_workitem_id 0
		.amdhsa_next_free_vgpr 122
		.amdhsa_next_free_sgpr 16
		.amdhsa_reserve_vcc 1
		.amdhsa_reserve_flat_scratch 0
		.amdhsa_float_round_mode_32 0
		.amdhsa_float_round_mode_16_64 0
		.amdhsa_float_denorm_mode_32 3
		.amdhsa_float_denorm_mode_16_64 3
		.amdhsa_dx10_clamp 1
		.amdhsa_ieee_mode 1
		.amdhsa_fp16_overflow 0
		.amdhsa_workgroup_processor_mode 1
		.amdhsa_memory_ordered 1
		.amdhsa_forward_progress 1
		.amdhsa_shared_vgpr_count 0
		.amdhsa_exception_fp_ieee_invalid_op 0
		.amdhsa_exception_fp_denorm_src 0
		.amdhsa_exception_fp_ieee_div_zero 0
		.amdhsa_exception_fp_ieee_overflow 0
		.amdhsa_exception_fp_ieee_underflow 0
		.amdhsa_exception_fp_ieee_inexact 0
		.amdhsa_exception_int_div_zero 0
	.end_amdhsa_kernel
	.section	.text._ZN9rocsparseL18bsrxmvn_4x4_kernelILj128ELj32EdiidddEEvT3_20rocsparse_direction_NS_24const_host_device_scalarIT1_EES1_PKS1_PKT2_SA_S7_PKT4_PKT5_S5_PT6_21rocsparse_index_base_b,"axG",@progbits,_ZN9rocsparseL18bsrxmvn_4x4_kernelILj128ELj32EdiidddEEvT3_20rocsparse_direction_NS_24const_host_device_scalarIT1_EES1_PKS1_PKT2_SA_S7_PKT4_PKT5_S5_PT6_21rocsparse_index_base_b,comdat
.Lfunc_end8:
	.size	_ZN9rocsparseL18bsrxmvn_4x4_kernelILj128ELj32EdiidddEEvT3_20rocsparse_direction_NS_24const_host_device_scalarIT1_EES1_PKS1_PKT2_SA_S7_PKT4_PKT5_S5_PT6_21rocsparse_index_base_b, .Lfunc_end8-_ZN9rocsparseL18bsrxmvn_4x4_kernelILj128ELj32EdiidddEEvT3_20rocsparse_direction_NS_24const_host_device_scalarIT1_EES1_PKS1_PKT2_SA_S7_PKT4_PKT5_S5_PT6_21rocsparse_index_base_b
                                        ; -- End function
	.set _ZN9rocsparseL18bsrxmvn_4x4_kernelILj128ELj32EdiidddEEvT3_20rocsparse_direction_NS_24const_host_device_scalarIT1_EES1_PKS1_PKT2_SA_S7_PKT4_PKT5_S5_PT6_21rocsparse_index_base_b.num_vgpr, 122
	.set _ZN9rocsparseL18bsrxmvn_4x4_kernelILj128ELj32EdiidddEEvT3_20rocsparse_direction_NS_24const_host_device_scalarIT1_EES1_PKS1_PKT2_SA_S7_PKT4_PKT5_S5_PT6_21rocsparse_index_base_b.num_agpr, 0
	.set _ZN9rocsparseL18bsrxmvn_4x4_kernelILj128ELj32EdiidddEEvT3_20rocsparse_direction_NS_24const_host_device_scalarIT1_EES1_PKS1_PKT2_SA_S7_PKT4_PKT5_S5_PT6_21rocsparse_index_base_b.numbered_sgpr, 16
	.set _ZN9rocsparseL18bsrxmvn_4x4_kernelILj128ELj32EdiidddEEvT3_20rocsparse_direction_NS_24const_host_device_scalarIT1_EES1_PKS1_PKT2_SA_S7_PKT4_PKT5_S5_PT6_21rocsparse_index_base_b.num_named_barrier, 0
	.set _ZN9rocsparseL18bsrxmvn_4x4_kernelILj128ELj32EdiidddEEvT3_20rocsparse_direction_NS_24const_host_device_scalarIT1_EES1_PKS1_PKT2_SA_S7_PKT4_PKT5_S5_PT6_21rocsparse_index_base_b.private_seg_size, 0
	.set _ZN9rocsparseL18bsrxmvn_4x4_kernelILj128ELj32EdiidddEEvT3_20rocsparse_direction_NS_24const_host_device_scalarIT1_EES1_PKS1_PKT2_SA_S7_PKT4_PKT5_S5_PT6_21rocsparse_index_base_b.uses_vcc, 1
	.set _ZN9rocsparseL18bsrxmvn_4x4_kernelILj128ELj32EdiidddEEvT3_20rocsparse_direction_NS_24const_host_device_scalarIT1_EES1_PKS1_PKT2_SA_S7_PKT4_PKT5_S5_PT6_21rocsparse_index_base_b.uses_flat_scratch, 0
	.set _ZN9rocsparseL18bsrxmvn_4x4_kernelILj128ELj32EdiidddEEvT3_20rocsparse_direction_NS_24const_host_device_scalarIT1_EES1_PKS1_PKT2_SA_S7_PKT4_PKT5_S5_PT6_21rocsparse_index_base_b.has_dyn_sized_stack, 0
	.set _ZN9rocsparseL18bsrxmvn_4x4_kernelILj128ELj32EdiidddEEvT3_20rocsparse_direction_NS_24const_host_device_scalarIT1_EES1_PKS1_PKT2_SA_S7_PKT4_PKT5_S5_PT6_21rocsparse_index_base_b.has_recursion, 0
	.set _ZN9rocsparseL18bsrxmvn_4x4_kernelILj128ELj32EdiidddEEvT3_20rocsparse_direction_NS_24const_host_device_scalarIT1_EES1_PKS1_PKT2_SA_S7_PKT4_PKT5_S5_PT6_21rocsparse_index_base_b.has_indirect_call, 0
	.section	.AMDGPU.csdata,"",@progbits
; Kernel info:
; codeLenInByte = 5024
; TotalNumSgprs: 18
; NumVgprs: 122
; ScratchSize: 0
; MemoryBound: 1
; FloatMode: 240
; IeeeMode: 1
; LDSByteSize: 0 bytes/workgroup (compile time only)
; SGPRBlocks: 0
; VGPRBlocks: 15
; NumSGPRsForWavesPerEU: 18
; NumVGPRsForWavesPerEU: 122
; Occupancy: 8
; WaveLimiterHint : 1
; COMPUTE_PGM_RSRC2:SCRATCH_EN: 0
; COMPUTE_PGM_RSRC2:USER_SGPR: 6
; COMPUTE_PGM_RSRC2:TRAP_HANDLER: 0
; COMPUTE_PGM_RSRC2:TGID_X_EN: 1
; COMPUTE_PGM_RSRC2:TGID_Y_EN: 0
; COMPUTE_PGM_RSRC2:TGID_Z_EN: 0
; COMPUTE_PGM_RSRC2:TIDIG_COMP_CNT: 0
	.section	.text._ZN9rocsparseL18bsrxmvn_4x4_kernelILj128ELj64EdiidddEEvT3_20rocsparse_direction_NS_24const_host_device_scalarIT1_EES1_PKS1_PKT2_SA_S7_PKT4_PKT5_S5_PT6_21rocsparse_index_base_b,"axG",@progbits,_ZN9rocsparseL18bsrxmvn_4x4_kernelILj128ELj64EdiidddEEvT3_20rocsparse_direction_NS_24const_host_device_scalarIT1_EES1_PKS1_PKT2_SA_S7_PKT4_PKT5_S5_PT6_21rocsparse_index_base_b,comdat
	.globl	_ZN9rocsparseL18bsrxmvn_4x4_kernelILj128ELj64EdiidddEEvT3_20rocsparse_direction_NS_24const_host_device_scalarIT1_EES1_PKS1_PKT2_SA_S7_PKT4_PKT5_S5_PT6_21rocsparse_index_base_b ; -- Begin function _ZN9rocsparseL18bsrxmvn_4x4_kernelILj128ELj64EdiidddEEvT3_20rocsparse_direction_NS_24const_host_device_scalarIT1_EES1_PKS1_PKT2_SA_S7_PKT4_PKT5_S5_PT6_21rocsparse_index_base_b
	.p2align	8
	.type	_ZN9rocsparseL18bsrxmvn_4x4_kernelILj128ELj64EdiidddEEvT3_20rocsparse_direction_NS_24const_host_device_scalarIT1_EES1_PKS1_PKT2_SA_S7_PKT4_PKT5_S5_PT6_21rocsparse_index_base_b,@function
_ZN9rocsparseL18bsrxmvn_4x4_kernelILj128ELj64EdiidddEEvT3_20rocsparse_direction_NS_24const_host_device_scalarIT1_EES1_PKS1_PKT2_SA_S7_PKT4_PKT5_S5_PT6_21rocsparse_index_base_b: ; @_ZN9rocsparseL18bsrxmvn_4x4_kernelILj128ELj64EdiidddEEvT3_20rocsparse_direction_NS_24const_host_device_scalarIT1_EES1_PKS1_PKT2_SA_S7_PKT4_PKT5_S5_PT6_21rocsparse_index_base_b
; %bb.0:
	s_clause 0x2
	s_load_dwordx2 s[2:3], s[4:5], 0x58
	s_load_dwordx2 s[8:9], s[4:5], 0x8
	;; [unrolled: 1-line block ×3, first 2 shown]
	s_waitcnt lgkmcnt(0)
	s_bitcmp1_b32 s3, 0
	v_mov_b32_e32 v2, s8
	v_mov_b32_e32 v3, s9
	s_cselect_b32 s3, -1, 0
	s_and_b32 vcc_lo, exec_lo, s3
	s_xor_b32 s3, s3, -1
	s_cbranch_vccnz .LBB9_2
; %bb.1:
	v_mov_b32_e32 v1, s8
	v_mov_b32_e32 v2, s9
	flat_load_dwordx2 v[2:3], v[1:2]
.LBB9_2:
	v_mov_b32_e32 v9, s1
	v_mov_b32_e32 v8, s0
	s_andn2_b32 vcc_lo, exec_lo, s3
	s_cbranch_vccnz .LBB9_4
; %bb.3:
	v_mov_b32_e32 v5, s1
	v_mov_b32_e32 v4, s0
	flat_load_dwordx2 v[8:9], v[4:5]
.LBB9_4:
	s_waitcnt vmcnt(0) lgkmcnt(0)
	v_cmp_neq_f64_e32 vcc_lo, 0, v[2:3]
	v_cmp_neq_f64_e64 s0, 1.0, v[8:9]
	s_or_b32 s0, vcc_lo, s0
	s_and_saveexec_b32 s1, s0
	s_cbranch_execz .LBB9_10
; %bb.5:
	s_clause 0x1
	s_load_dwordx2 s[8:9], s[4:5], 0x18
	s_load_dwordx2 s[0:1], s[4:5], 0x0
	v_lshrrev_b32_e32 v1, 6, v0
	v_lshl_or_b32 v10, s6, 1, v1
	s_waitcnt lgkmcnt(0)
	s_cmp_lg_u64 s[8:9], 0
	s_cbranch_scc0 .LBB9_11
; %bb.6:
	s_load_dword s3, s[4:5], 0x10
	s_mov_b32 s6, 0
                                        ; implicit-def: $vgpr1
	s_waitcnt lgkmcnt(0)
	v_cmp_gt_i32_e32 vcc_lo, s3, v10
	s_mov_b32 s3, 0
	s_and_saveexec_b32 s7, vcc_lo
	s_xor_b32 s7, exec_lo, s7
	s_cbranch_execz .LBB9_8
; %bb.7:
	v_ashrrev_i32_e32 v11, 31, v10
	s_mov_b32 s3, exec_lo
	v_lshlrev_b64 v[4:5], 2, v[10:11]
	v_add_co_u32 v4, vcc_lo, s8, v4
	v_add_co_ci_u32_e64 v5, null, s9, v5, vcc_lo
	global_load_dword v1, v[4:5], off
	s_waitcnt vmcnt(0)
	v_subrev_nc_u32_e32 v1, s2, v1
.LBB9_8:
	s_or_b32 exec_lo, exec_lo, s7
	s_and_b32 vcc_lo, exec_lo, s6
	s_cbranch_vccz .LBB9_12
.LBB9_9:
	v_cmp_gt_i32_e32 vcc_lo, s0, v10
	s_andn2_b32 s0, s3, exec_lo
	s_and_b32 s3, vcc_lo, exec_lo
	s_or_b32 s3, s0, s3
	s_and_b32 exec_lo, exec_lo, s3
	s_cbranch_execnz .LBB9_13
.LBB9_10:
	s_endpgm
.LBB9_11:
	s_mov_b32 s3, 0
                                        ; implicit-def: $vgpr1
	s_cbranch_execnz .LBB9_9
.LBB9_12:
	v_mov_b32_e32 v10, v1
	s_and_b32 exec_lo, exec_lo, s3
	s_cbranch_execz .LBB9_10
.LBB9_13:
	s_load_dwordx8 s[8:15], s[4:5], 0x20
	v_ashrrev_i32_e32 v11, 31, v10
	v_and_b32_e32 v21, 63, v0
	s_load_dwordx2 s[6:7], s[4:5], 0x40
	v_lshlrev_b64 v[4:5], 2, v[10:11]
	s_waitcnt lgkmcnt(0)
	v_add_co_u32 v6, vcc_lo, s8, v4
	v_add_co_ci_u32_e64 v7, null, s9, v5, vcc_lo
	v_add_co_u32 v1, vcc_lo, s10, v4
	v_add_co_ci_u32_e64 v4, null, s11, v5, vcc_lo
	global_load_dword v23, v[6:7], off
	v_add_co_u32 v6, vcc_lo, v6, 4
	v_add_co_ci_u32_e64 v5, null, 0, v7, vcc_lo
	s_cmp_eq_u64 s[10:11], 0
	s_cselect_b32 vcc_lo, -1, 0
	s_cmp_eq_u32 s1, 1
	v_cndmask_b32_e32 v5, v4, v5, vcc_lo
	v_cndmask_b32_e32 v4, v1, v6, vcc_lo
	global_load_dword v6, v[4:5], off
	s_waitcnt vmcnt(1)
	v_subrev_nc_u32_e32 v0, s2, v23
	v_add_nc_u32_e32 v0, v0, v21
	v_ashrrev_i32_e32 v1, 31, v0
	s_waitcnt vmcnt(0)
	v_subrev_nc_u32_e32 v22, s2, v6
	v_lshlrev_b64 v[4:5], 7, v[0:1]
	v_cmp_lt_i32_e64 s0, v0, v22
	v_add_co_u32 v4, vcc_lo, s14, v4
	v_add_co_ci_u32_e64 v5, null, s15, v5, vcc_lo
	s_cbranch_scc1 .LBB9_25
; %bb.14:
	v_mov_b32_e32 v6, 0
	v_mov_b32_e32 v11, 0
	v_mov_b32_e32 v15, 0
	v_mov_b32_e32 v13, 0
	v_mov_b32_e32 v7, 0
	v_mov_b32_e32 v12, 0
	v_mov_b32_e32 v16, 0
	v_mov_b32_e32 v14, 0
	s_and_saveexec_b32 s3, s0
	s_cbranch_execz .LBB9_24
; %bb.15:
	v_add_nc_u32_e32 v1, v23, v21
	v_not_b32_e32 v6, v23
	v_mov_b32_e32 v13, 0
	v_mov_b32_e32 v15, 0
	;; [unrolled: 1-line block ×3, first 2 shown]
	v_subrev_nc_u32_e32 v1, s2, v1
	v_mov_b32_e32 v14, 0
	v_mov_b32_e32 v16, 0
	;; [unrolled: 1-line block ×4, first 2 shown]
	v_add_nc_u32_e32 v1, 64, v1
	v_max_i32_e32 v1, v1, v22
	v_add3_u32 v1, s2, v1, v6
	v_mov_b32_e32 v6, 0
	v_mov_b32_e32 v7, 0
	v_sub_nc_u32_e32 v1, v1, v21
	v_and_b32_e32 v17, 0xc0, v1
	v_cmp_ne_u32_e32 vcc_lo, 0xc0, v17
	v_mov_b32_e32 v18, v5
	v_mov_b32_e32 v17, v4
	s_and_saveexec_b32 s1, vcc_lo
	s_cbranch_execz .LBB9_19
; %bb.16:
	v_lshrrev_b32_e32 v6, 6, v1
	v_mov_b32_e32 v18, v5
	v_mov_b32_e32 v15, 0
	;; [unrolled: 1-line block ×4, first 2 shown]
	v_add_nc_u32_e32 v11, 1, v6
	v_mov_b32_e32 v6, 0
	v_mov_b32_e32 v7, 0
	;; [unrolled: 1-line block ×4, first 2 shown]
	v_and_b32_e32 v19, 3, v11
	v_mov_b32_e32 v11, 0
	v_mov_b32_e32 v12, 0
	s_mov_b32 s8, 0
	v_sub_nc_u32_e32 v24, 0, v19
	v_mov_b32_e32 v19, v0
.LBB9_17:                               ; =>This Inner Loop Header: Depth=1
	v_ashrrev_i32_e32 v20, 31, v19
	v_add_co_u32 v24, s9, v24, 1
	s_or_b32 s8, s9, s8
	v_lshlrev_b64 v[25:26], 2, v[19:20]
	v_add_nc_u32_e32 v19, 64, v19
	v_add_co_u32 v25, vcc_lo, s12, v25
	v_add_co_ci_u32_e64 v26, null, s13, v26, vcc_lo
	global_load_dword v20, v[25:26], off
	s_clause 0x6
	global_load_dwordx4 v[25:28], v[17:18], off offset:48
	global_load_dwordx4 v[29:32], v[17:18], off offset:32
	;; [unrolled: 1-line block ×3, first 2 shown]
	global_load_dwordx4 v[37:40], v[17:18], off
	global_load_dwordx4 v[41:44], v[17:18], off offset:112
	global_load_dwordx4 v[45:48], v[17:18], off offset:96
	;; [unrolled: 1-line block ×3, first 2 shown]
	s_waitcnt vmcnt(7)
	v_subrev_nc_u32_e32 v20, s2, v20
	v_lshlrev_b32_e32 v53, 2, v20
	v_ashrrev_i32_e32 v54, 31, v53
	v_lshlrev_b64 v[53:54], 3, v[53:54]
	v_add_co_u32 v61, vcc_lo, s6, v53
	v_add_co_ci_u32_e64 v62, null, s7, v54, vcc_lo
	global_load_dwordx4 v[53:56], v[17:18], off offset:64
	s_clause 0x1
	global_load_dwordx4 v[57:60], v[61:62], off
	global_load_dwordx4 v[61:64], v[61:62], off offset:16
	v_add_co_u32 v17, vcc_lo, 0x2000, v17
	v_add_co_ci_u32_e64 v18, null, 0, v18, vcc_lo
	s_waitcnt vmcnt(1)
	v_fma_f64 v[13:14], v[37:38], v[57:58], v[13:14]
	v_fma_f64 v[15:16], v[29:30], v[57:58], v[15:16]
	;; [unrolled: 1-line block ×8, first 2 shown]
	s_waitcnt vmcnt(0)
	v_fma_f64 v[13:14], v[33:34], v[61:62], v[13:14]
	v_fma_f64 v[15:16], v[25:26], v[61:62], v[15:16]
	;; [unrolled: 1-line block ×8, first 2 shown]
	s_andn2_b32 exec_lo, exec_lo, s8
	s_cbranch_execnz .LBB9_17
; %bb.18:
	s_or_b32 exec_lo, exec_lo, s8
.LBB9_19:
	s_or_b32 exec_lo, exec_lo, s1
	s_mov_b32 s8, exec_lo
	v_cmpx_lt_u32_e32 0xbf, v1
	s_cbranch_execz .LBB9_23
; %bb.20:
	s_mov_b32 s9, 0
.LBB9_21:                               ; =>This Inner Loop Header: Depth=1
	v_ashrrev_i32_e32 v20, 31, v19
	v_add_co_u32 v84, vcc_lo, 0x2000, v17
	v_add_co_ci_u32_e64 v85, null, 0, v18, vcc_lo
	v_lshlrev_b64 v[104:105], 2, v[19:20]
	v_add_co_u32 v112, vcc_lo, 0x4000, v17
	v_add_co_ci_u32_e64 v113, null, 0, v18, vcc_lo
	v_add_co_u32 v114, vcc_lo, 0x6000, v17
	v_add_co_ci_u32_e64 v115, null, 0, v18, vcc_lo
	;; [unrolled: 2-line block ×3, first 2 shown]
	s_clause 0x13
	global_load_dwordx4 v[24:27], v[17:18], off offset:48
	global_load_dwordx4 v[28:31], v[17:18], off offset:32
	;; [unrolled: 1-line block ×3, first 2 shown]
	global_load_dwordx4 v[36:39], v[17:18], off
	global_load_dwordx4 v[40:43], v[17:18], off offset:112
	global_load_dwordx4 v[44:47], v[17:18], off offset:96
	;; [unrolled: 1-line block ×6, first 2 shown]
	global_load_dwordx4 v[64:67], v[84:85], off
	global_load_dwordx4 v[68:71], v[84:85], off offset:16
	global_load_dwordx4 v[72:75], v[84:85], off offset:112
	;; [unrolled: 1-line block ×7, first 2 shown]
	global_load_dwordx4 v[96:99], v[112:113], off
	global_load_dwordx4 v[100:103], v[112:113], off offset:16
	s_clause 0x3
	global_load_dword v1, v[104:105], off
	global_load_dword v20, v[104:105], off offset:256
	global_load_dword v120, v[104:105], off offset:512
	;; [unrolled: 1-line block ×3, first 2 shown]
	v_add_nc_u32_e32 v19, 0x100, v19
	v_add_co_u32 v17, s1, 0x8000, v17
	v_add_co_ci_u32_e64 v18, null, 0, v18, s1
	s_waitcnt vmcnt(3)
	v_subrev_nc_u32_e32 v1, s2, v1
	v_lshlrev_b32_e32 v104, 2, v1
	s_waitcnt vmcnt(2)
	v_subrev_nc_u32_e32 v1, s2, v20
	v_ashrrev_i32_e32 v105, 31, v104
	v_lshlrev_b64 v[104:105], 3, v[104:105]
	v_add_co_u32 v108, vcc_lo, s6, v104
	v_add_co_ci_u32_e64 v109, null, s7, v105, vcc_lo
	s_clause 0x1
	global_load_dwordx4 v[104:107], v[108:109], off
	global_load_dwordx4 v[108:111], v[108:109], off offset:16
	s_waitcnt vmcnt(1)
	v_fma_f64 v[13:14], v[36:37], v[104:105], v[13:14]
	v_fma_f64 v[11:12], v[52:53], v[104:105], v[11:12]
	v_fma_f64 v[6:7], v[44:45], v[104:105], v[6:7]
	v_lshlrev_b32_e32 v52, 2, v1
	v_subrev_nc_u32_e32 v1, s2, v120
	v_ashrrev_i32_e32 v53, 31, v52
	v_lshlrev_b64 v[52:53], 3, v[52:53]
	v_fma_f64 v[116:117], v[38:39], v[106:107], v[13:14]
	v_fma_f64 v[13:14], v[28:29], v[104:105], v[15:16]
	v_fma_f64 v[11:12], v[54:55], v[106:107], v[11:12]
	v_fma_f64 v[6:7], v[46:47], v[106:107], v[6:7]
	v_add_co_u32 v104, vcc_lo, s6, v52
	v_add_co_ci_u32_e64 v105, null, s7, v53, vcc_lo
	s_clause 0x2
	global_load_dwordx4 v[36:39], v[112:113], off offset:112
	global_load_dwordx4 v[52:55], v[114:115], off
	global_load_dwordx4 v[44:47], v[112:113], off offset:64
	s_waitcnt vmcnt(3)
	v_fma_f64 v[32:33], v[32:33], v[108:109], v[116:117]
	v_fma_f64 v[118:119], v[30:31], v[106:107], v[13:14]
	;; [unrolled: 1-line block ×4, first 2 shown]
	v_lshlrev_b32_e32 v106, 2, v1
	s_clause 0x1
	global_load_dwordx4 v[13:16], v[112:113], off offset:96
	global_load_dwordx4 v[28:31], v[112:113], off offset:80
	v_subrev_nc_u32_e32 v1, s2, v121
	v_ashrrev_i32_e32 v107, 31, v106
	v_fma_f64 v[112:113], v[34:35], v[110:111], v[32:33]
	v_fma_f64 v[24:25], v[24:25], v[108:109], v[118:119]
	global_load_dwordx4 v[32:35], v[114:115], off offset:48
	v_fma_f64 v[11:12], v[50:51], v[110:111], v[11:12]
	global_load_dwordx4 v[48:51], v[114:115], off offset:112
	v_lshlrev_b64 v[118:119], 3, v[106:107]
	v_fma_f64 v[6:7], v[42:43], v[110:111], v[6:7]
	v_add_co_u32 v108, vcc_lo, s6, v118
	v_add_co_ci_u32_e64 v109, null, s7, v119, vcc_lo
	v_fma_f64 v[116:117], v[26:27], v[110:111], v[24:25]
	global_load_dwordx4 v[24:27], v[114:115], off offset:32
	s_clause 0x1
	global_load_dwordx4 v[40:43], v[104:105], off
	global_load_dwordx4 v[104:107], v[104:105], off offset:16
	s_waitcnt vmcnt(1)
	v_fma_f64 v[64:65], v[64:65], v[40:41], v[112:113]
	v_fma_f64 v[60:61], v[60:61], v[40:41], v[116:117]
	;; [unrolled: 1-line block ×4, first 2 shown]
	v_lshlrev_b32_e32 v40, 2, v1
	v_ashrrev_i32_e32 v41, 31, v40
	v_lshlrev_b64 v[40:41], 3, v[40:41]
	v_add_co_u32 v118, vcc_lo, s6, v40
	v_fma_f64 v[112:113], v[66:67], v[42:43], v[64:65]
	s_clause 0x1
	global_load_dwordx4 v[64:67], v[108:109], off
	global_load_dwordx4 v[108:111], v[108:109], off offset:16
	v_add_co_ci_u32_e64 v119, null, s7, v41, vcc_lo
	v_fma_f64 v[116:117], v[62:63], v[42:43], v[60:61]
	global_load_dwordx4 v[60:63], v[114:115], off offset:96
	v_fma_f64 v[11:12], v[86:87], v[42:43], v[11:12]
	global_load_dwordx4 v[84:87], v[114:115], off offset:64
	v_fma_f64 v[6:7], v[78:79], v[42:43], v[6:7]
	global_load_dwordx4 v[40:43], v[118:119], off
	v_cmp_ge_i32_e32 vcc_lo, v19, v22
	s_or_b32 s9, vcc_lo, s9
	s_waitcnt vmcnt(5)
	v_fma_f64 v[68:69], v[68:69], v[104:105], v[112:113]
	v_fma_f64 v[56:57], v[56:57], v[104:105], v[116:117]
	;; [unrolled: 1-line block ×5, first 2 shown]
	s_clause 0x1
	global_load_dwordx4 v[68:71], v[114:115], off offset:80
	global_load_dwordx4 v[76:79], v[114:115], off offset:16
	v_fma_f64 v[114:115], v[58:59], v[106:107], v[56:57]
	global_load_dwordx4 v[56:59], v[118:119], off offset:16
	v_fma_f64 v[11:12], v[82:83], v[106:107], v[11:12]
	v_fma_f64 v[6:7], v[74:75], v[106:107], v[6:7]
	s_waitcnt vmcnt(7)
	v_fma_f64 v[72:73], v[96:97], v[64:65], v[112:113]
	v_fma_f64 v[74:75], v[92:93], v[64:65], v[114:115]
	v_fma_f64 v[11:12], v[44:45], v[64:65], v[11:12]
	v_fma_f64 v[6:7], v[13:14], v[64:65], v[6:7]
	v_fma_f64 v[13:14], v[98:99], v[66:67], v[72:73]
	v_fma_f64 v[44:45], v[94:95], v[66:67], v[74:75]
	v_fma_f64 v[11:12], v[46:47], v[66:67], v[11:12]
	v_fma_f64 v[6:7], v[15:16], v[66:67], v[6:7]
	s_waitcnt vmcnt(6)
	v_fma_f64 v[13:14], v[100:101], v[108:109], v[13:14]
	v_fma_f64 v[15:16], v[88:89], v[108:109], v[44:45]
	v_fma_f64 v[11:12], v[28:29], v[108:109], v[11:12]
	v_fma_f64 v[6:7], v[36:37], v[108:109], v[6:7]
	v_fma_f64 v[13:14], v[102:103], v[110:111], v[13:14]
	v_fma_f64 v[15:16], v[90:91], v[110:111], v[15:16]
	v_fma_f64 v[11:12], v[30:31], v[110:111], v[11:12]
	v_fma_f64 v[6:7], v[38:39], v[110:111], v[6:7]
	s_waitcnt vmcnt(3)
	v_fma_f64 v[13:14], v[52:53], v[40:41], v[13:14]
	v_fma_f64 v[15:16], v[24:25], v[40:41], v[15:16]
	v_fma_f64 v[11:12], v[84:85], v[40:41], v[11:12]
	v_fma_f64 v[6:7], v[60:61], v[40:41], v[6:7]
	v_fma_f64 v[13:14], v[54:55], v[42:43], v[13:14]
	v_fma_f64 v[15:16], v[26:27], v[42:43], v[15:16]
	v_fma_f64 v[11:12], v[86:87], v[42:43], v[11:12]
	v_fma_f64 v[6:7], v[62:63], v[42:43], v[6:7]
	s_waitcnt vmcnt(0)
	v_fma_f64 v[13:14], v[76:77], v[56:57], v[13:14]
	v_fma_f64 v[15:16], v[32:33], v[56:57], v[15:16]
	v_fma_f64 v[11:12], v[68:69], v[56:57], v[11:12]
	v_fma_f64 v[6:7], v[48:49], v[56:57], v[6:7]
	v_fma_f64 v[13:14], v[78:79], v[58:59], v[13:14]
	v_fma_f64 v[15:16], v[34:35], v[58:59], v[15:16]
	v_fma_f64 v[11:12], v[70:71], v[58:59], v[11:12]
	v_fma_f64 v[6:7], v[50:51], v[58:59], v[6:7]
	s_andn2_b32 exec_lo, exec_lo, s9
	s_cbranch_execnz .LBB9_21
; %bb.22:
	s_or_b32 exec_lo, exec_lo, s9
.LBB9_23:
	s_or_b32 exec_lo, exec_lo, s8
.LBB9_24:
	s_or_b32 exec_lo, exec_lo, s3
	s_cbranch_execz .LBB9_26
	s_branch .LBB9_37
.LBB9_25:
                                        ; implicit-def: $vgpr6_vgpr7
                                        ; implicit-def: $vgpr11_vgpr12
                                        ; implicit-def: $vgpr15_vgpr16
                                        ; implicit-def: $vgpr13_vgpr14
.LBB9_26:
	v_mov_b32_e32 v6, 0
	v_mov_b32_e32 v11, 0
	;; [unrolled: 1-line block ×8, first 2 shown]
	s_and_saveexec_b32 s1, s0
	s_cbranch_execz .LBB9_36
; %bb.27:
	v_add_nc_u32_e32 v1, v23, v21
	v_not_b32_e32 v6, v23
	v_mov_b32_e32 v13, 0
	v_mov_b32_e32 v15, 0
	;; [unrolled: 1-line block ×3, first 2 shown]
	v_subrev_nc_u32_e32 v1, s2, v1
	v_mov_b32_e32 v14, 0
	v_mov_b32_e32 v16, 0
	;; [unrolled: 1-line block ×3, first 2 shown]
	s_mov_b32 s0, exec_lo
	v_add_nc_u32_e32 v1, 64, v1
	v_max_i32_e32 v1, v1, v22
	v_add3_u32 v1, s2, v1, v6
	v_mov_b32_e32 v6, 0
	v_mov_b32_e32 v7, 0
	v_sub_nc_u32_e32 v17, v1, v21
	v_and_b32_e32 v1, 0xc0, v17
	v_cmpx_ne_u32_e32 0xc0, v1
	s_cbranch_execz .LBB9_31
; %bb.28:
	v_lshrrev_b32_e32 v1, 6, v17
	v_mov_b32_e32 v6, 0
	v_mov_b32_e32 v11, 0
	;; [unrolled: 1-line block ×4, first 2 shown]
	v_add_nc_u32_e32 v1, 1, v1
	v_mov_b32_e32 v7, 0
	v_mov_b32_e32 v12, 0
	;; [unrolled: 1-line block ×4, first 2 shown]
	v_and_b32_e32 v1, 3, v1
	s_mov_b32 s3, 0
	v_sub_nc_u32_e32 v18, 0, v1
.LBB9_29:                               ; =>This Inner Loop Header: Depth=1
	v_ashrrev_i32_e32 v1, 31, v0
	v_add_co_u32 v18, s8, v18, 1
	s_or_b32 s3, s8, s3
	v_lshlrev_b64 v[19:20], 2, v[0:1]
	v_add_nc_u32_e32 v0, 64, v0
	v_add_co_u32 v19, vcc_lo, s12, v19
	v_add_co_ci_u32_e64 v20, null, s13, v20, vcc_lo
	global_load_dword v1, v[19:20], off
	global_load_dwordx4 v[23:26], v[4:5], off offset:16
	s_waitcnt vmcnt(1)
	v_subrev_nc_u32_e32 v1, s2, v1
	v_lshlrev_b32_e32 v19, 2, v1
	v_ashrrev_i32_e32 v20, 31, v19
	v_lshlrev_b64 v[19:20], 3, v[19:20]
	v_add_co_u32 v19, vcc_lo, s6, v19
	v_add_co_ci_u32_e64 v20, null, s7, v20, vcc_lo
	global_load_dwordx4 v[27:30], v[4:5], off
	s_clause 0x1
	global_load_dwordx4 v[31:34], v[19:20], off
	global_load_dwordx4 v[35:38], v[19:20], off offset:16
	s_clause 0x5
	global_load_dwordx4 v[39:42], v[4:5], off offset:32
	global_load_dwordx4 v[43:46], v[4:5], off offset:48
	;; [unrolled: 1-line block ×6, first 2 shown]
	v_add_co_u32 v4, vcc_lo, 0x2000, v4
	v_add_co_ci_u32_e64 v5, null, 0, v5, vcc_lo
	s_waitcnt vmcnt(7)
	v_fma_f64 v[13:14], v[27:28], v[31:32], v[13:14]
	v_fma_f64 v[15:16], v[29:30], v[31:32], v[15:16]
	;; [unrolled: 1-line block ×4, first 2 shown]
	s_waitcnt vmcnt(5)
	v_fma_f64 v[13:14], v[39:40], v[33:34], v[13:14]
	v_fma_f64 v[15:16], v[41:42], v[33:34], v[15:16]
	s_waitcnt vmcnt(4)
	v_fma_f64 v[11:12], v[43:44], v[33:34], v[11:12]
	v_fma_f64 v[6:7], v[45:46], v[33:34], v[6:7]
	;; [unrolled: 3-line block ×6, first 2 shown]
	s_andn2_b32 exec_lo, exec_lo, s3
	s_cbranch_execnz .LBB9_29
; %bb.30:
	s_or_b32 exec_lo, exec_lo, s3
.LBB9_31:
	s_or_b32 exec_lo, exec_lo, s0
	s_mov_b32 s3, exec_lo
	v_cmpx_lt_u32_e32 0xbf, v17
	s_cbranch_execz .LBB9_35
; %bb.32:
	s_mov_b32 s8, 0
.LBB9_33:                               ; =>This Inner Loop Header: Depth=1
	v_ashrrev_i32_e32 v1, 31, v0
	v_add_co_u32 v79, vcc_lo, 0x2000, v4
	v_add_co_ci_u32_e64 v80, null, 0, v5, vcc_lo
	v_lshlrev_b64 v[83:84], 2, v[0:1]
	v_add_co_u32 v91, vcc_lo, 0x4000, v4
	v_add_co_ci_u32_e64 v92, null, 0, v5, vcc_lo
	v_add_co_u32 v93, vcc_lo, 0x6000, v4
	v_add_co_ci_u32_e64 v94, null, 0, v5, vcc_lo
	;; [unrolled: 2-line block ×3, first 2 shown]
	s_clause 0xf
	global_load_dwordx4 v[17:20], v[4:5], off offset:48
	global_load_dwordx4 v[23:26], v[4:5], off offset:32
	;; [unrolled: 1-line block ×3, first 2 shown]
	global_load_dwordx4 v[31:34], v[4:5], off
	global_load_dwordx4 v[35:38], v[4:5], off offset:112
	global_load_dwordx4 v[39:42], v[4:5], off offset:96
	;; [unrolled: 1-line block ×6, first 2 shown]
	global_load_dwordx4 v[59:62], v[79:80], off
	global_load_dwordx4 v[63:66], v[79:80], off offset:16
	global_load_dwordx4 v[67:70], v[79:80], off offset:112
	;; [unrolled: 1-line block ×5, first 2 shown]
	s_clause 0x3
	global_load_dword v1, v[83:84], off
	global_load_dword v95, v[83:84], off offset:256
	global_load_dword v96, v[83:84], off offset:512
	;; [unrolled: 1-line block ×3, first 2 shown]
	v_add_nc_u32_e32 v0, 0x100, v0
	v_add_co_u32 v4, s0, 0x8000, v4
	v_add_co_ci_u32_e64 v5, null, 0, v5, s0
	s_waitcnt vmcnt(3)
	v_subrev_nc_u32_e32 v1, s2, v1
	s_waitcnt vmcnt(1)
	v_subrev_nc_u32_e32 v97, s2, v96
	v_lshlrev_b32_e32 v83, 2, v1
	v_subrev_nc_u32_e32 v1, s2, v95
	v_ashrrev_i32_e32 v84, 31, v83
	v_lshlrev_b64 v[83:84], 3, v[83:84]
	v_add_co_u32 v87, vcc_lo, s6, v83
	v_add_co_ci_u32_e64 v88, null, s7, v84, vcc_lo
	s_clause 0x1
	global_load_dwordx4 v[83:86], v[87:88], off
	global_load_dwordx4 v[87:90], v[87:88], off offset:16
	s_waitcnt vmcnt(1)
	v_fma_f64 v[31:32], v[31:32], v[83:84], v[13:14]
	v_fma_f64 v[33:34], v[33:34], v[83:84], v[15:16]
	;; [unrolled: 1-line block ×4, first 2 shown]
	s_clause 0x1
	global_load_dwordx4 v[13:16], v[91:92], off
	global_load_dwordx4 v[27:30], v[91:92], off offset:16
	v_fma_f64 v[83:84], v[23:24], v[85:86], v[31:32]
	v_lshlrev_b32_e32 v23, 2, v1
	v_fma_f64 v[95:96], v[25:26], v[85:86], v[33:34]
	v_lshlrev_b32_e32 v25, 2, v97
	v_fma_f64 v[11:12], v[17:18], v[85:86], v[11:12]
	v_fma_f64 v[6:7], v[19:20], v[85:86], v[6:7]
	v_ashrrev_i32_e32 v24, 31, v23
	v_subrev_nc_u32_e32 v1, s2, v99
	v_ashrrev_i32_e32 v26, 31, v25
	v_lshlrev_b64 v[23:24], 3, v[23:24]
	v_lshlrev_b64 v[25:26], 3, v[25:26]
	v_add_co_u32 v23, vcc_lo, s6, v23
	v_add_co_ci_u32_e64 v24, null, s7, v24, vcc_lo
	v_add_co_u32 v97, vcc_lo, s6, v25
	v_add_co_ci_u32_e64 v98, null, s7, v26, vcc_lo
	s_clause 0x2
	global_load_dwordx4 v[17:20], v[23:24], off
	global_load_dwordx4 v[23:26], v[23:24], off offset:16
	global_load_dwordx4 v[31:34], v[97:98], off
	s_waitcnt vmcnt(5)
	v_fma_f64 v[83:84], v[47:48], v[87:88], v[83:84]
	v_fma_f64 v[85:86], v[49:50], v[87:88], v[95:96]
	global_load_dwordx4 v[47:50], v[91:92], off offset:32
	v_fma_f64 v[11:12], v[43:44], v[87:88], v[11:12]
	v_fma_f64 v[6:7], v[45:46], v[87:88], v[6:7]
	global_load_dwordx4 v[43:46], v[91:92], off offset:48
	;; [unrolled: 3-line block ×4, first 2 shown]
	global_load_dwordx4 v[83:86], v[97:98], off offset:16
	s_waitcnt vmcnt(7)
	v_fma_f64 v[97:98], v[59:60], v[17:18], v[87:88]
	v_fma_f64 v[95:96], v[61:62], v[17:18], v[95:96]
	s_clause 0x1
	global_load_dwordx4 v[59:62], v[91:92], off offset:112
	global_load_dwordx4 v[87:90], v[91:92], off offset:96
	v_fma_f64 v[11:12], v[63:64], v[17:18], v[11:12]
	v_fma_f64 v[6:7], v[65:66], v[17:18], v[6:7]
	v_lshlrev_b32_e32 v17, 2, v1
	global_load_dwordx4 v[63:66], v[93:94], off
	v_ashrrev_i32_e32 v18, 31, v17
	v_lshlrev_b64 v[17:18], 3, v[17:18]
	v_add_co_u32 v91, vcc_lo, s6, v17
	v_add_co_ci_u32_e64 v92, null, s7, v18, vcc_lo
	v_fma_f64 v[55:56], v[55:56], v[19:20], v[97:98]
	v_fma_f64 v[57:58], v[57:58], v[19:20], v[95:96]
	;; [unrolled: 1-line block ×4, first 2 shown]
	global_load_dwordx4 v[17:20], v[93:94], off offset:16
	global_load_dwordx4 v[51:54], v[91:92], off
	v_cmp_ge_i32_e32 vcc_lo, v0, v22
	s_or_b32 s8, vcc_lo, s8
	s_waitcnt vmcnt(11)
	v_fma_f64 v[79:80], v[79:80], v[23:24], v[55:56]
	v_fma_f64 v[81:82], v[81:82], v[23:24], v[57:58]
	global_load_dwordx4 v[55:58], v[93:94], off offset:32
	v_fma_f64 v[11:12], v[75:76], v[23:24], v[11:12]
	v_fma_f64 v[6:7], v[77:78], v[23:24], v[6:7]
	global_load_dwordx4 v[75:78], v[93:94], off offset:48
	;; [unrolled: 3-line block ×4, first 2 shown]
	global_load_dwordx4 v[67:70], v[91:92], off offset:16
	s_clause 0x1
	global_load_dwordx4 v[79:82], v[93:94], off offset:96
	global_load_dwordx4 v[91:94], v[93:94], off offset:112
	s_waitcnt vmcnt(17)
	v_fma_f64 v[13:14], v[13:14], v[31:32], v[95:96]
	v_fma_f64 v[15:16], v[15:16], v[31:32], v[97:98]
	;; [unrolled: 1-line block ×4, first 2 shown]
	s_waitcnt vmcnt(16)
	v_fma_f64 v[13:14], v[47:48], v[33:34], v[13:14]
	v_fma_f64 v[15:16], v[49:50], v[33:34], v[15:16]
	s_waitcnt vmcnt(15)
	v_fma_f64 v[11:12], v[43:44], v[33:34], v[11:12]
	v_fma_f64 v[6:7], v[45:46], v[33:34], v[6:7]
	;; [unrolled: 3-line block ×3, first 2 shown]
	v_fma_f64 v[11:12], v[39:40], v[83:84], v[11:12]
	v_fma_f64 v[6:7], v[41:42], v[83:84], v[6:7]
	s_waitcnt vmcnt(11)
	v_fma_f64 v[11:12], v[59:60], v[85:86], v[11:12]
	s_waitcnt vmcnt(10)
	v_fma_f64 v[13:14], v[87:88], v[85:86], v[13:14]
	v_fma_f64 v[15:16], v[89:90], v[85:86], v[15:16]
	;; [unrolled: 1-line block ×3, first 2 shown]
	s_waitcnt vmcnt(7)
	v_fma_f64 v[13:14], v[63:64], v[51:52], v[13:14]
	v_fma_f64 v[15:16], v[65:66], v[51:52], v[15:16]
	v_fma_f64 v[11:12], v[17:18], v[51:52], v[11:12]
	v_fma_f64 v[6:7], v[19:20], v[51:52], v[6:7]
	s_waitcnt vmcnt(6)
	v_fma_f64 v[13:14], v[55:56], v[53:54], v[13:14]
	v_fma_f64 v[15:16], v[57:58], v[53:54], v[15:16]
	s_waitcnt vmcnt(5)
	v_fma_f64 v[11:12], v[75:76], v[53:54], v[11:12]
	v_fma_f64 v[6:7], v[77:78], v[53:54], v[6:7]
	;; [unrolled: 3-line block ×3, first 2 shown]
	v_fma_f64 v[11:12], v[23:24], v[67:68], v[11:12]
	v_fma_f64 v[6:7], v[25:26], v[67:68], v[6:7]
	s_waitcnt vmcnt(1)
	v_fma_f64 v[13:14], v[79:80], v[69:70], v[13:14]
	v_fma_f64 v[15:16], v[81:82], v[69:70], v[15:16]
	s_waitcnt vmcnt(0)
	v_fma_f64 v[11:12], v[91:92], v[69:70], v[11:12]
	v_fma_f64 v[6:7], v[93:94], v[69:70], v[6:7]
	s_andn2_b32 exec_lo, exec_lo, s8
	s_cbranch_execnz .LBB9_33
; %bb.34:
	s_or_b32 exec_lo, exec_lo, s8
.LBB9_35:
	s_or_b32 exec_lo, exec_lo, s3
.LBB9_36:
	s_or_b32 exec_lo, exec_lo, s1
.LBB9_37:
	v_mbcnt_lo_u32_b32 v24, -1, 0
	v_or_b32_e32 v0, 32, v24
	v_cmp_gt_i32_e32 vcc_lo, 32, v0
	v_cndmask_b32_e32 v0, v24, v0, vcc_lo
	v_lshlrev_b32_e32 v20, 2, v0
	ds_bpermute_b32 v0, v20, v13
	ds_bpermute_b32 v1, v20, v14
	ds_bpermute_b32 v4, v20, v15
	ds_bpermute_b32 v5, v20, v16
	ds_bpermute_b32 v17, v20, v11
	ds_bpermute_b32 v18, v20, v12
	ds_bpermute_b32 v19, v20, v6
	ds_bpermute_b32 v20, v20, v7
	s_waitcnt lgkmcnt(6)
	v_add_f64 v[0:1], v[13:14], v[0:1]
	v_xor_b32_e32 v13, 16, v24
	s_waitcnt lgkmcnt(4)
	v_add_f64 v[4:5], v[15:16], v[4:5]
	s_waitcnt lgkmcnt(2)
	v_add_f64 v[11:12], v[11:12], v[17:18]
	s_waitcnt lgkmcnt(0)
	v_add_f64 v[6:7], v[6:7], v[19:20]
	v_cmp_gt_i32_e32 vcc_lo, 32, v13
	v_cndmask_b32_e32 v13, v24, v13, vcc_lo
	v_lshlrev_b32_e32 v20, 2, v13
	ds_bpermute_b32 v13, v20, v0
	ds_bpermute_b32 v14, v20, v1
	ds_bpermute_b32 v15, v20, v4
	ds_bpermute_b32 v16, v20, v5
	ds_bpermute_b32 v17, v20, v11
	ds_bpermute_b32 v18, v20, v12
	ds_bpermute_b32 v19, v20, v6
	ds_bpermute_b32 v20, v20, v7
	s_waitcnt lgkmcnt(6)
	v_add_f64 v[0:1], v[0:1], v[13:14]
	v_xor_b32_e32 v13, 8, v24
	s_waitcnt lgkmcnt(4)
	v_add_f64 v[4:5], v[4:5], v[15:16]
	s_waitcnt lgkmcnt(2)
	v_add_f64 v[11:12], v[11:12], v[17:18]
	s_waitcnt lgkmcnt(0)
	v_add_f64 v[6:7], v[6:7], v[19:20]
	;; [unrolled: 20-line block ×3, first 2 shown]
	v_cmp_gt_i32_e32 vcc_lo, 32, v13
	v_cndmask_b32_e32 v13, v24, v13, vcc_lo
	v_lshlrev_b32_e32 v20, 2, v13
	ds_bpermute_b32 v13, v20, v0
	ds_bpermute_b32 v14, v20, v1
	;; [unrolled: 1-line block ×8, first 2 shown]
	s_waitcnt lgkmcnt(6)
	v_add_f64 v[0:1], v[0:1], v[13:14]
	s_waitcnt lgkmcnt(4)
	v_add_f64 v[4:5], v[4:5], v[15:16]
	s_waitcnt lgkmcnt(2)
	v_add_f64 v[13:14], v[11:12], v[17:18]
	s_waitcnt lgkmcnt(0)
	v_add_f64 v[15:16], v[6:7], v[19:20]
	v_xor_b32_e32 v6, 2, v24
	v_cmp_gt_i32_e32 vcc_lo, 32, v6
	v_cndmask_b32_e32 v6, v24, v6, vcc_lo
	v_lshlrev_b32_e32 v11, 2, v6
	ds_bpermute_b32 v6, v11, v0
	ds_bpermute_b32 v7, v11, v1
	;; [unrolled: 1-line block ×8, first 2 shown]
	s_waitcnt lgkmcnt(6)
	v_add_f64 v[11:12], v[0:1], v[6:7]
	s_waitcnt lgkmcnt(4)
	v_add_f64 v[6:7], v[4:5], v[17:18]
	;; [unrolled: 2-line block ×3, first 2 shown]
	v_xor_b32_e32 v13, 1, v24
	s_waitcnt lgkmcnt(0)
	v_add_f64 v[4:5], v[15:16], v[22:23]
	v_cmp_gt_i32_e32 vcc_lo, 32, v13
	v_cndmask_b32_e32 v13, v24, v13, vcc_lo
	v_cmp_eq_u32_e32 vcc_lo, 63, v21
	v_lshlrev_b32_e32 v14, 2, v13
	ds_bpermute_b32 v19, v14, v11
	ds_bpermute_b32 v20, v14, v12
	;; [unrolled: 1-line block ×8, first 2 shown]
	s_and_b32 exec_lo, exec_lo, vcc_lo
	s_cbranch_execz .LBB9_10
; %bb.38:
	s_waitcnt lgkmcnt(6)
	v_add_f64 v[11:12], v[11:12], v[19:20]
	s_waitcnt lgkmcnt(4)
	v_add_f64 v[6:7], v[6:7], v[17:18]
	s_waitcnt lgkmcnt(2)
	v_add_f64 v[0:1], v[0:1], v[15:16]
	s_waitcnt lgkmcnt(0)
	v_add_f64 v[13:14], v[4:5], v[13:14]
	s_load_dwordx2 s[0:1], s[4:5], 0x50
	v_lshlrev_b32_e32 v10, 2, v10
	s_mov_b32 s2, exec_lo
	v_mul_f64 v[4:5], v[2:3], v[11:12]
	v_mul_f64 v[6:7], v[2:3], v[6:7]
	;; [unrolled: 1-line block ×4, first 2 shown]
	v_cmpx_eq_f64_e32 0, v[8:9]
	s_xor_b32 s2, exec_lo, s2
	s_cbranch_execz .LBB9_40
; %bb.39:
	v_ashrrev_i32_e32 v11, 31, v10
	v_lshlrev_b64 v[8:9], 3, v[10:11]
                                        ; implicit-def: $vgpr10
	s_waitcnt lgkmcnt(0)
	v_add_co_u32 v8, vcc_lo, s0, v8
	v_add_co_ci_u32_e64 v9, null, s1, v9, vcc_lo
	global_store_dwordx4 v[8:9], v[4:7], off
	global_store_dwordx4 v[8:9], v[0:3], off offset:16
                                        ; implicit-def: $vgpr8_vgpr9
                                        ; implicit-def: $vgpr4_vgpr5
                                        ; implicit-def: $vgpr0_vgpr1
.LBB9_40:
	s_andn2_saveexec_b32 s2, s2
	s_cbranch_execz .LBB9_10
; %bb.41:
	v_ashrrev_i32_e32 v11, 31, v10
	v_lshlrev_b64 v[10:11], 3, v[10:11]
	s_waitcnt lgkmcnt(0)
	v_add_co_u32 v18, vcc_lo, s0, v10
	v_add_co_ci_u32_e64 v19, null, s1, v11, vcc_lo
	s_clause 0x1
	global_load_dwordx4 v[10:13], v[18:19], off
	global_load_dwordx4 v[14:17], v[18:19], off offset:16
	s_waitcnt vmcnt(1)
	v_fma_f64 v[4:5], v[8:9], v[10:11], v[4:5]
	v_fma_f64 v[6:7], v[8:9], v[12:13], v[6:7]
	s_waitcnt vmcnt(0)
	v_fma_f64 v[0:1], v[8:9], v[14:15], v[0:1]
	v_fma_f64 v[2:3], v[8:9], v[16:17], v[2:3]
	global_store_dwordx4 v[18:19], v[4:7], off
	global_store_dwordx4 v[18:19], v[0:3], off offset:16
	s_endpgm
	.section	.rodata,"a",@progbits
	.p2align	6, 0x0
	.amdhsa_kernel _ZN9rocsparseL18bsrxmvn_4x4_kernelILj128ELj64EdiidddEEvT3_20rocsparse_direction_NS_24const_host_device_scalarIT1_EES1_PKS1_PKT2_SA_S7_PKT4_PKT5_S5_PT6_21rocsparse_index_base_b
		.amdhsa_group_segment_fixed_size 0
		.amdhsa_private_segment_fixed_size 0
		.amdhsa_kernarg_size 96
		.amdhsa_user_sgpr_count 6
		.amdhsa_user_sgpr_private_segment_buffer 1
		.amdhsa_user_sgpr_dispatch_ptr 0
		.amdhsa_user_sgpr_queue_ptr 0
		.amdhsa_user_sgpr_kernarg_segment_ptr 1
		.amdhsa_user_sgpr_dispatch_id 0
		.amdhsa_user_sgpr_flat_scratch_init 0
		.amdhsa_user_sgpr_private_segment_size 0
		.amdhsa_wavefront_size32 1
		.amdhsa_uses_dynamic_stack 0
		.amdhsa_system_sgpr_private_segment_wavefront_offset 0
		.amdhsa_system_sgpr_workgroup_id_x 1
		.amdhsa_system_sgpr_workgroup_id_y 0
		.amdhsa_system_sgpr_workgroup_id_z 0
		.amdhsa_system_sgpr_workgroup_info 0
		.amdhsa_system_vgpr_workitem_id 0
		.amdhsa_next_free_vgpr 122
		.amdhsa_next_free_sgpr 16
		.amdhsa_reserve_vcc 1
		.amdhsa_reserve_flat_scratch 0
		.amdhsa_float_round_mode_32 0
		.amdhsa_float_round_mode_16_64 0
		.amdhsa_float_denorm_mode_32 3
		.amdhsa_float_denorm_mode_16_64 3
		.amdhsa_dx10_clamp 1
		.amdhsa_ieee_mode 1
		.amdhsa_fp16_overflow 0
		.amdhsa_workgroup_processor_mode 1
		.amdhsa_memory_ordered 1
		.amdhsa_forward_progress 1
		.amdhsa_shared_vgpr_count 0
		.amdhsa_exception_fp_ieee_invalid_op 0
		.amdhsa_exception_fp_denorm_src 0
		.amdhsa_exception_fp_ieee_div_zero 0
		.amdhsa_exception_fp_ieee_overflow 0
		.amdhsa_exception_fp_ieee_underflow 0
		.amdhsa_exception_fp_ieee_inexact 0
		.amdhsa_exception_int_div_zero 0
	.end_amdhsa_kernel
	.section	.text._ZN9rocsparseL18bsrxmvn_4x4_kernelILj128ELj64EdiidddEEvT3_20rocsparse_direction_NS_24const_host_device_scalarIT1_EES1_PKS1_PKT2_SA_S7_PKT4_PKT5_S5_PT6_21rocsparse_index_base_b,"axG",@progbits,_ZN9rocsparseL18bsrxmvn_4x4_kernelILj128ELj64EdiidddEEvT3_20rocsparse_direction_NS_24const_host_device_scalarIT1_EES1_PKS1_PKT2_SA_S7_PKT4_PKT5_S5_PT6_21rocsparse_index_base_b,comdat
.Lfunc_end9:
	.size	_ZN9rocsparseL18bsrxmvn_4x4_kernelILj128ELj64EdiidddEEvT3_20rocsparse_direction_NS_24const_host_device_scalarIT1_EES1_PKS1_PKT2_SA_S7_PKT4_PKT5_S5_PT6_21rocsparse_index_base_b, .Lfunc_end9-_ZN9rocsparseL18bsrxmvn_4x4_kernelILj128ELj64EdiidddEEvT3_20rocsparse_direction_NS_24const_host_device_scalarIT1_EES1_PKS1_PKT2_SA_S7_PKT4_PKT5_S5_PT6_21rocsparse_index_base_b
                                        ; -- End function
	.set _ZN9rocsparseL18bsrxmvn_4x4_kernelILj128ELj64EdiidddEEvT3_20rocsparse_direction_NS_24const_host_device_scalarIT1_EES1_PKS1_PKT2_SA_S7_PKT4_PKT5_S5_PT6_21rocsparse_index_base_b.num_vgpr, 122
	.set _ZN9rocsparseL18bsrxmvn_4x4_kernelILj128ELj64EdiidddEEvT3_20rocsparse_direction_NS_24const_host_device_scalarIT1_EES1_PKS1_PKT2_SA_S7_PKT4_PKT5_S5_PT6_21rocsparse_index_base_b.num_agpr, 0
	.set _ZN9rocsparseL18bsrxmvn_4x4_kernelILj128ELj64EdiidddEEvT3_20rocsparse_direction_NS_24const_host_device_scalarIT1_EES1_PKS1_PKT2_SA_S7_PKT4_PKT5_S5_PT6_21rocsparse_index_base_b.numbered_sgpr, 16
	.set _ZN9rocsparseL18bsrxmvn_4x4_kernelILj128ELj64EdiidddEEvT3_20rocsparse_direction_NS_24const_host_device_scalarIT1_EES1_PKS1_PKT2_SA_S7_PKT4_PKT5_S5_PT6_21rocsparse_index_base_b.num_named_barrier, 0
	.set _ZN9rocsparseL18bsrxmvn_4x4_kernelILj128ELj64EdiidddEEvT3_20rocsparse_direction_NS_24const_host_device_scalarIT1_EES1_PKS1_PKT2_SA_S7_PKT4_PKT5_S5_PT6_21rocsparse_index_base_b.private_seg_size, 0
	.set _ZN9rocsparseL18bsrxmvn_4x4_kernelILj128ELj64EdiidddEEvT3_20rocsparse_direction_NS_24const_host_device_scalarIT1_EES1_PKS1_PKT2_SA_S7_PKT4_PKT5_S5_PT6_21rocsparse_index_base_b.uses_vcc, 1
	.set _ZN9rocsparseL18bsrxmvn_4x4_kernelILj128ELj64EdiidddEEvT3_20rocsparse_direction_NS_24const_host_device_scalarIT1_EES1_PKS1_PKT2_SA_S7_PKT4_PKT5_S5_PT6_21rocsparse_index_base_b.uses_flat_scratch, 0
	.set _ZN9rocsparseL18bsrxmvn_4x4_kernelILj128ELj64EdiidddEEvT3_20rocsparse_direction_NS_24const_host_device_scalarIT1_EES1_PKS1_PKT2_SA_S7_PKT4_PKT5_S5_PT6_21rocsparse_index_base_b.has_dyn_sized_stack, 0
	.set _ZN9rocsparseL18bsrxmvn_4x4_kernelILj128ELj64EdiidddEEvT3_20rocsparse_direction_NS_24const_host_device_scalarIT1_EES1_PKS1_PKT2_SA_S7_PKT4_PKT5_S5_PT6_21rocsparse_index_base_b.has_recursion, 0
	.set _ZN9rocsparseL18bsrxmvn_4x4_kernelILj128ELj64EdiidddEEvT3_20rocsparse_direction_NS_24const_host_device_scalarIT1_EES1_PKS1_PKT2_SA_S7_PKT4_PKT5_S5_PT6_21rocsparse_index_base_b.has_indirect_call, 0
	.section	.AMDGPU.csdata,"",@progbits
; Kernel info:
; codeLenInByte = 5152
; TotalNumSgprs: 18
; NumVgprs: 122
; ScratchSize: 0
; MemoryBound: 1
; FloatMode: 240
; IeeeMode: 1
; LDSByteSize: 0 bytes/workgroup (compile time only)
; SGPRBlocks: 0
; VGPRBlocks: 15
; NumSGPRsForWavesPerEU: 18
; NumVGPRsForWavesPerEU: 122
; Occupancy: 8
; WaveLimiterHint : 1
; COMPUTE_PGM_RSRC2:SCRATCH_EN: 0
; COMPUTE_PGM_RSRC2:USER_SGPR: 6
; COMPUTE_PGM_RSRC2:TRAP_HANDLER: 0
; COMPUTE_PGM_RSRC2:TGID_X_EN: 1
; COMPUTE_PGM_RSRC2:TGID_Y_EN: 0
; COMPUTE_PGM_RSRC2:TGID_Z_EN: 0
; COMPUTE_PGM_RSRC2:TIDIG_COMP_CNT: 0
	.section	.text._ZN9rocsparseL18bsrxmvn_4x4_kernelILj128ELj4E21rocsparse_complex_numIfEiiS2_S2_S2_EEvT3_20rocsparse_direction_NS_24const_host_device_scalarIT1_EES3_PKS3_PKT2_SC_S9_PKT4_PKT5_S7_PT6_21rocsparse_index_base_b,"axG",@progbits,_ZN9rocsparseL18bsrxmvn_4x4_kernelILj128ELj4E21rocsparse_complex_numIfEiiS2_S2_S2_EEvT3_20rocsparse_direction_NS_24const_host_device_scalarIT1_EES3_PKS3_PKT2_SC_S9_PKT4_PKT5_S7_PT6_21rocsparse_index_base_b,comdat
	.globl	_ZN9rocsparseL18bsrxmvn_4x4_kernelILj128ELj4E21rocsparse_complex_numIfEiiS2_S2_S2_EEvT3_20rocsparse_direction_NS_24const_host_device_scalarIT1_EES3_PKS3_PKT2_SC_S9_PKT4_PKT5_S7_PT6_21rocsparse_index_base_b ; -- Begin function _ZN9rocsparseL18bsrxmvn_4x4_kernelILj128ELj4E21rocsparse_complex_numIfEiiS2_S2_S2_EEvT3_20rocsparse_direction_NS_24const_host_device_scalarIT1_EES3_PKS3_PKT2_SC_S9_PKT4_PKT5_S7_PT6_21rocsparse_index_base_b
	.p2align	8
	.type	_ZN9rocsparseL18bsrxmvn_4x4_kernelILj128ELj4E21rocsparse_complex_numIfEiiS2_S2_S2_EEvT3_20rocsparse_direction_NS_24const_host_device_scalarIT1_EES3_PKS3_PKT2_SC_S9_PKT4_PKT5_S7_PT6_21rocsparse_index_base_b,@function
_ZN9rocsparseL18bsrxmvn_4x4_kernelILj128ELj4E21rocsparse_complex_numIfEiiS2_S2_S2_EEvT3_20rocsparse_direction_NS_24const_host_device_scalarIT1_EES3_PKS3_PKT2_SC_S9_PKT4_PKT5_S7_PT6_21rocsparse_index_base_b: ; @_ZN9rocsparseL18bsrxmvn_4x4_kernelILj128ELj4E21rocsparse_complex_numIfEiiS2_S2_S2_EEvT3_20rocsparse_direction_NS_24const_host_device_scalarIT1_EES3_PKS3_PKT2_SC_S9_PKT4_PKT5_S7_PT6_21rocsparse_index_base_b
; %bb.0:
	s_clause 0x2
	s_load_dwordx2 s[2:3], s[4:5], 0x58
	s_load_dwordx2 s[0:1], s[4:5], 0x8
	s_load_dwordx2 s[8:9], s[4:5], 0x48
	s_add_u32 s7, s4, 8
	s_addc_u32 s10, s5, 0
	s_add_u32 s11, s4, 0x48
	s_addc_u32 s12, s5, 0
	s_waitcnt lgkmcnt(0)
	s_bitcmp1_b32 s3, 0
	s_cselect_b32 s0, s7, s0
	s_cselect_b32 s1, s10, s1
	v_mov_b32_e32 v1, s0
	v_mov_b32_e32 v2, s1
	s_cselect_b32 s0, s11, s8
	s_cselect_b32 s1, s12, s9
	flat_load_dwordx2 v[86:87], v[1:2]
	v_mov_b32_e32 v1, s0
	v_mov_b32_e32 v2, s1
	flat_load_dwordx2 v[84:85], v[1:2]
	s_waitcnt vmcnt(1) lgkmcnt(1)
	v_cmp_eq_f32_e32 vcc_lo, 0, v86
	v_cmp_eq_f32_e64 s0, 0, v87
	s_and_b32 s3, vcc_lo, s0
	s_mov_b32 s0, -1
	s_and_saveexec_b32 s1, s3
	s_cbranch_execz .LBB10_2
; %bb.1:
	s_waitcnt vmcnt(0) lgkmcnt(0)
	v_cmp_neq_f32_e32 vcc_lo, 1.0, v84
	v_cmp_neq_f32_e64 s0, 0, v85
	s_or_b32 s0, vcc_lo, s0
	s_orn2_b32 s0, s0, exec_lo
.LBB10_2:
	s_or_b32 exec_lo, exec_lo, s1
	s_and_saveexec_b32 s1, s0
	s_cbranch_execz .LBB10_8
; %bb.3:
	s_clause 0x1
	s_load_dwordx2 s[8:9], s[4:5], 0x18
	s_load_dwordx2 s[0:1], s[4:5], 0x0
	v_lshrrev_b32_e32 v1, 2, v0
	v_lshl_or_b32 v88, s6, 5, v1
	s_waitcnt lgkmcnt(0)
	s_cmp_lg_u64 s[8:9], 0
	s_cbranch_scc0 .LBB10_9
; %bb.4:
	s_load_dword s3, s[4:5], 0x10
	s_mov_b32 s6, 0
                                        ; implicit-def: $vgpr1
	s_waitcnt lgkmcnt(0)
	v_cmp_gt_i32_e32 vcc_lo, s3, v88
	s_mov_b32 s3, 0
	s_and_saveexec_b32 s7, vcc_lo
	s_xor_b32 s7, exec_lo, s7
	s_cbranch_execz .LBB10_6
; %bb.5:
	v_ashrrev_i32_e32 v89, 31, v88
	s_mov_b32 s3, exec_lo
	v_lshlrev_b64 v[1:2], 2, v[88:89]
	v_add_co_u32 v1, vcc_lo, s8, v1
	v_add_co_ci_u32_e64 v2, null, s9, v2, vcc_lo
	global_load_dword v1, v[1:2], off
	s_waitcnt vmcnt(0)
	v_subrev_nc_u32_e32 v1, s2, v1
.LBB10_6:
	s_or_b32 exec_lo, exec_lo, s7
	s_and_b32 vcc_lo, exec_lo, s6
	s_cbranch_vccz .LBB10_10
.LBB10_7:
	v_cmp_gt_i32_e32 vcc_lo, s0, v88
	s_andn2_b32 s0, s3, exec_lo
	s_and_b32 s3, vcc_lo, exec_lo
	s_or_b32 s3, s0, s3
	s_and_b32 exec_lo, exec_lo, s3
	s_cbranch_execnz .LBB10_11
.LBB10_8:
	s_endpgm
.LBB10_9:
	s_mov_b32 s3, 0
                                        ; implicit-def: $vgpr1
	s_cbranch_execnz .LBB10_7
.LBB10_10:
	v_mov_b32_e32 v88, v1
	s_and_b32 exec_lo, exec_lo, s3
	s_cbranch_execz .LBB10_8
.LBB10_11:
	s_load_dwordx8 s[8:15], s[4:5], 0x20
	v_ashrrev_i32_e32 v89, 31, v88
	v_and_b32_e32 v97, 3, v0
	s_load_dwordx2 s[6:7], s[4:5], 0x40
	v_lshlrev_b64 v[1:2], 2, v[88:89]
	s_waitcnt lgkmcnt(0)
	v_add_co_u32 v3, vcc_lo, s8, v1
	v_add_co_ci_u32_e64 v4, null, s9, v2, vcc_lo
	v_add_co_u32 v1, vcc_lo, s10, v1
	v_add_co_ci_u32_e64 v2, null, s11, v2, vcc_lo
	global_load_dword v107, v[3:4], off
	v_add_co_u32 v3, vcc_lo, v3, 4
	v_add_co_ci_u32_e64 v4, null, 0, v4, vcc_lo
	s_cmp_eq_u64 s[10:11], 0
	s_cselect_b32 vcc_lo, -1, 0
	s_cmp_eq_u32 s1, 1
	v_cndmask_b32_e32 v2, v2, v4, vcc_lo
	v_cndmask_b32_e32 v1, v1, v3, vcc_lo
	global_load_dword v2, v[1:2], off
	s_waitcnt vmcnt(1)
	v_subrev_nc_u32_e32 v0, s2, v107
	v_add_nc_u32_e32 v89, v0, v97
	v_ashrrev_i32_e32 v90, 31, v89
	s_waitcnt vmcnt(0)
	v_subrev_nc_u32_e32 v99, s2, v2
	v_lshlrev_b64 v[0:1], 7, v[89:90]
	v_cmp_lt_i32_e64 s0, v89, v99
	v_add_co_u32 v91, vcc_lo, s14, v0
	v_add_co_ci_u32_e64 v92, null, s15, v1, vcc_lo
	s_cbranch_scc1 .LBB10_23
; %bb.12:
	v_mov_b32_e32 v98, 0
	v_mov_b32_e32 v105, 0
	;; [unrolled: 1-line block ×8, first 2 shown]
	s_and_saveexec_b32 s1, s0
	s_cbranch_execz .LBB10_22
; %bb.13:
	v_add_nc_u32_e32 v0, v107, v97
	v_not_b32_e32 v1, v107
	v_mov_b32_e32 v94, v92
	v_mov_b32_e32 v100, 0
	;; [unrolled: 1-line block ×3, first 2 shown]
	v_subrev_nc_u32_e32 v0, s2, v0
	v_mov_b32_e32 v102, 0
	v_mov_b32_e32 v104, 0
	;; [unrolled: 1-line block ×4, first 2 shown]
	v_add_nc_u32_e32 v0, 4, v0
	v_mov_b32_e32 v105, 0
	v_mov_b32_e32 v98, 0
	;; [unrolled: 1-line block ×4, first 2 shown]
	v_max_i32_e32 v0, v0, v99
	s_mov_b32 s3, exec_lo
	v_add3_u32 v0, s2, v0, v1
	v_sub_nc_u32_e32 v0, v0, v97
	v_and_b32_e32 v1, 12, v0
	v_cmpx_ne_u32_e32 12, v1
	s_cbranch_execz .LBB10_17
; %bb.14:
	v_lshrrev_b32_e32 v1, 2, v0
	v_mov_b32_e32 v94, v92
	v_mov_b32_e32 v98, 0
	;; [unrolled: 1-line block ×4, first 2 shown]
	v_add_nc_u32_e32 v1, 1, v1
	v_mov_b32_e32 v105, 0
	v_mov_b32_e32 v103, 0
	;; [unrolled: 1-line block ×4, first 2 shown]
	v_and_b32_e32 v1, 3, v1
	v_mov_b32_e32 v102, 0
	v_mov_b32_e32 v106, 0
	;; [unrolled: 1-line block ×3, first 2 shown]
	s_mov_b32 s8, 0
	v_sub_nc_u32_e32 v1, 0, v1
.LBB10_15:                              ; =>This Inner Loop Header: Depth=1
	v_ashrrev_i32_e32 v96, 31, v95
	v_add_co_u32 v1, s9, v1, 1
	s_or_b32 s8, s9, s8
	v_lshlrev_b64 v[2:3], 2, v[95:96]
	v_add_nc_u32_e32 v95, 4, v95
	v_add_co_u32 v2, vcc_lo, s12, v2
	v_add_co_ci_u32_e64 v3, null, s13, v3, vcc_lo
	global_load_dword v34, v[2:3], off
	s_clause 0x7
	global_load_dwordx4 v[2:5], v[93:94], off offset:48
	global_load_dwordx4 v[6:9], v[93:94], off offset:32
	;; [unrolled: 1-line block ×3, first 2 shown]
	global_load_dwordx4 v[14:17], v[93:94], off
	global_load_dwordx4 v[18:21], v[93:94], off offset:112
	global_load_dwordx4 v[22:25], v[93:94], off offset:96
	global_load_dwordx4 v[26:29], v[93:94], off offset:80
	global_load_dwordx4 v[30:33], v[93:94], off offset:64
	s_waitcnt vmcnt(8)
	v_subrev_nc_u32_e32 v34, s2, v34
	v_lshlrev_b32_e32 v34, 2, v34
	v_ashrrev_i32_e32 v35, 31, v34
	v_lshlrev_b64 v[34:35], 3, v[34:35]
	v_add_co_u32 v38, vcc_lo, s6, v34
	v_add_co_ci_u32_e64 v39, null, s7, v35, vcc_lo
	v_add_co_u32 v93, vcc_lo, 0x200, v93
	v_add_co_ci_u32_e64 v94, null, 0, v94, vcc_lo
	s_clause 0x1
	global_load_dwordx4 v[34:37], v[38:39], off
	global_load_dwordx4 v[38:41], v[38:39], off offset:16
	s_waitcnt vmcnt(1)
	v_fmac_f32_e32 v105, v14, v34
	v_fmac_f32_e32 v98, v15, v34
	;; [unrolled: 1-line block ×8, first 2 shown]
	v_fma_f32 v15, -v15, v35, v105
	v_fmac_f32_e32 v98, v14, v35
	v_fma_f32 v7, -v7, v35, v106
	v_fmac_f32_e32 v100, v6, v35
	;; [unrolled: 2-line block ×4, first 2 shown]
	v_fmac_f32_e32 v15, v16, v36
	v_fmac_f32_e32 v98, v17, v36
	;; [unrolled: 1-line block ×8, first 2 shown]
	v_fma_f32 v15, -v17, v37, v15
	v_fmac_f32_e32 v98, v16, v37
	v_fma_f32 v7, -v9, v37, v7
	v_fmac_f32_e32 v100, v8, v37
	;; [unrolled: 2-line block ×4, first 2 shown]
	s_waitcnt vmcnt(0)
	v_fmac_f32_e32 v15, v10, v38
	v_fmac_f32_e32 v98, v11, v38
	;; [unrolled: 1-line block ×8, first 2 shown]
	v_fma_f32 v9, -v11, v39, v15
	v_fmac_f32_e32 v98, v10, v39
	v_fma_f32 v3, -v3, v39, v7
	v_fmac_f32_e32 v100, v2, v39
	;; [unrolled: 2-line block ×4, first 2 shown]
	v_fmac_f32_e32 v9, v12, v40
	v_fmac_f32_e32 v98, v13, v40
	;; [unrolled: 1-line block ×8, first 2 shown]
	v_fma_f32 v105, -v13, v41, v9
	v_fmac_f32_e32 v98, v12, v41
	v_fma_f32 v106, -v5, v41, v3
	v_fmac_f32_e32 v100, v4, v41
	v_fma_f32 v104, -v29, v41, v2
	v_fmac_f32_e32 v102, v28, v41
	v_fma_f32 v103, -v21, v41, v6
	v_fmac_f32_e32 v101, v20, v41
	s_andn2_b32 exec_lo, exec_lo, s8
	s_cbranch_execnz .LBB10_15
; %bb.16:
	s_or_b32 exec_lo, exec_lo, s8
.LBB10_17:
	s_or_b32 exec_lo, exec_lo, s3
	s_mov_b32 s3, exec_lo
	v_cmpx_lt_u32_e32 11, v0
	s_cbranch_execz .LBB10_21
; %bb.18:
	s_mov_b32 s8, 0
.LBB10_19:                              ; =>This Inner Loop Header: Depth=1
	v_ashrrev_i32_e32 v96, 31, v95
	s_clause 0x14
	global_load_dwordx4 v[36:39], v[93:94], off offset:48
	global_load_dwordx4 v[56:59], v[93:94], off offset:32
	;; [unrolled: 1-line block ×3, first 2 shown]
	global_load_dwordx4 v[64:67], v[93:94], off
	global_load_dwordx4 v[20:23], v[93:94], off offset:112
	global_load_dwordx4 v[76:79], v[93:94], off offset:96
	;; [unrolled: 1-line block ×17, first 2 shown]
	v_lshlrev_b64 v[108:109], 2, v[95:96]
	v_add_nc_u32_e32 v95, 16, v95
	v_add_co_u32 v108, vcc_lo, s12, v108
	v_add_co_ci_u32_e64 v109, null, s13, v109, vcc_lo
	s_clause 0x3
	global_load_dword v90, v[108:109], off
	global_load_dword v96, v[108:109], off offset:16
	global_load_dword v116, v[108:109], off offset:32
	;; [unrolled: 1-line block ×3, first 2 shown]
	s_waitcnt vmcnt(3)
	v_subrev_nc_u32_e32 v90, s2, v90
	s_waitcnt vmcnt(2)
	v_subrev_nc_u32_e32 v96, s2, v96
	v_lshlrev_b32_e32 v108, 2, v90
	v_ashrrev_i32_e32 v109, 31, v108
	v_lshlrev_b64 v[108:109], 3, v[108:109]
	v_add_co_u32 v112, vcc_lo, s6, v108
	v_add_co_ci_u32_e64 v113, null, s7, v109, vcc_lo
	s_clause 0x1
	global_load_dwordx4 v[108:111], v[112:113], off
	global_load_dwordx4 v[112:115], v[112:113], off offset:16
	s_waitcnt vmcnt(1)
	v_fmac_f32_e32 v103, v76, v108
	v_fmac_f32_e32 v101, v77, v108
	;; [unrolled: 1-line block ×5, first 2 shown]
	v_fma_f32 v77, -v77, v109, v103
	v_fmac_f32_e32 v100, v57, v108
	v_fmac_f32_e32 v104, v80, v108
	;; [unrolled: 1-line block ×5, first 2 shown]
	v_fma_f32 v65, -v65, v109, v105
	v_fmac_f32_e32 v98, v64, v109
	v_fma_f32 v57, -v57, v109, v106
	v_fmac_f32_e32 v100, v56, v109
	;; [unrolled: 2-line block ×3, first 2 shown]
	v_fmac_f32_e32 v101, v79, v110
	v_fma_f32 v108, -v79, v111, v77
	v_fmac_f32_e32 v65, v66, v110
	v_fmac_f32_e32 v98, v67, v110
	;; [unrolled: 1-line block ×7, first 2 shown]
	s_waitcnt vmcnt(0)
	v_fmac_f32_e32 v108, v20, v112
	v_fma_f32 v90, -v67, v111, v65
	v_fmac_f32_e32 v98, v66, v111
	v_fma_f32 v118, -v59, v111, v57
	;; [unrolled: 2-line block ×3, first 2 shown]
	v_fmac_f32_e32 v102, v82, v111
	v_fmac_f32_e32 v101, v21, v112
	v_fma_f32 v21, -v21, v113, v108
	v_fmac_f32_e32 v90, v40, v112
	v_fmac_f32_e32 v98, v41, v112
	;; [unrolled: 1-line block ×8, first 2 shown]
	v_lshlrev_b32_e32 v20, 2, v96
	v_fma_f32 v41, -v41, v113, v90
	v_fmac_f32_e32 v98, v40, v113
	v_fma_f32 v37, -v37, v113, v118
	v_fmac_f32_e32 v100, v36, v113
	;; [unrolled: 2-line block ×3, first 2 shown]
	v_fma_f32 v113, -v23, v115, v21
	v_ashrrev_i32_e32 v21, 31, v20
	v_fmac_f32_e32 v41, v42, v114
	v_fmac_f32_e32 v98, v43, v114
	;; [unrolled: 1-line block ×4, first 2 shown]
	v_lshlrev_b64 v[20:21], 3, v[20:21]
	v_fmac_f32_e32 v73, v74, v114
	v_fmac_f32_e32 v102, v75, v114
	;; [unrolled: 1-line block ×3, first 2 shown]
	s_clause 0x2
	global_load_dwordx4 v[64:67], v[93:94], off offset:1120
	global_load_dwordx4 v[56:59], v[93:94], off offset:1104
	;; [unrolled: 1-line block ×3, first 2 shown]
	v_add_co_u32 v108, vcc_lo, s6, v20
	v_add_co_ci_u32_e64 v109, null, s7, v21, vcc_lo
	s_clause 0x1
	global_load_dwordx4 v[76:79], v[93:94], off offset:1584
	global_load_dwordx4 v[103:106], v[93:94], off offset:1568
	v_fma_f32 v90, -v43, v115, v41
	v_fmac_f32_e32 v98, v42, v115
	global_load_dwordx4 v[40:43], v[93:94], off offset:1552
	v_fma_f32 v118, -v39, v115, v37
	v_fmac_f32_e32 v100, v38, v115
	;; [unrolled: 3-line block ×3, first 2 shown]
	global_load_dwordx4 v[72:75], v[93:94], off offset:1648
	v_fmac_f32_e32 v101, v22, v115
	s_clause 0x1
	global_load_dwordx4 v[20:23], v[108:109], off
	global_load_dwordx4 v[108:111], v[108:109], off offset:16
	v_subrev_nc_u32_e32 v112, s2, v116
	v_subrev_nc_u32_e32 v115, s2, v117
	v_lshlrev_b32_e32 v112, 2, v112
	s_waitcnt vmcnt(1)
	v_fmac_f32_e32 v113, v16, v20
	v_fmac_f32_e32 v101, v17, v20
	;; [unrolled: 1-line block ×5, first 2 shown]
	v_fma_f32 v17, -v17, v21, v113
	v_fmac_f32_e32 v101, v16, v21
	v_lshlrev_b32_e32 v16, 2, v115
	v_ashrrev_i32_e32 v113, 31, v112
	v_fmac_f32_e32 v100, v25, v20
	v_fmac_f32_e32 v17, v18, v22
	;; [unrolled: 1-line block ×5, first 2 shown]
	v_fma_f32 v29, -v29, v21, v90
	v_fma_f32 v116, -v19, v23, v17
	v_fmac_f32_e32 v101, v18, v23
	v_ashrrev_i32_e32 v17, 31, v16
	v_lshlrev_b64 v[18:19], 3, v[112:113]
	v_fmac_f32_e32 v98, v28, v21
	v_fma_f32 v25, -v25, v21, v118
	v_fmac_f32_e32 v100, v24, v21
	v_fma_f32 v45, -v45, v21, v119
	v_fmac_f32_e32 v102, v44, v21
	v_lshlrev_b64 v[16:17], 3, v[16:17]
	v_add_co_u32 v20, vcc_lo, s6, v18
	v_fmac_f32_e32 v29, v30, v22
	v_fmac_f32_e32 v98, v31, v22
	v_fmac_f32_e32 v25, v26, v22
	v_fmac_f32_e32 v100, v27, v22
	v_fmac_f32_e32 v45, v46, v22
	v_fmac_f32_e32 v102, v47, v22
	v_add_co_ci_u32_e64 v21, null, s7, v19, vcc_lo
	v_add_co_u32 v112, vcc_lo, s6, v16
	v_fma_f32 v90, -v31, v23, v29
	v_fmac_f32_e32 v98, v30, v23
	global_load_dwordx4 v[28:31], v[93:94], off offset:1632
	v_fma_f32 v96, -v27, v23, v25
	v_fmac_f32_e32 v100, v26, v23
	global_load_dwordx4 v[24:27], v[93:94], off offset:1600
	;; [unrolled: 3-line block ×3, first 2 shown]
	v_add_co_ci_u32_e64 v113, null, s7, v17, vcc_lo
	s_clause 0x1
	global_load_dwordx4 v[16:19], v[20:21], off
	global_load_dwordx4 v[20:23], v[20:21], off offset:16
	s_waitcnt vmcnt(5)
	v_fmac_f32_e32 v90, v4, v108
	v_fmac_f32_e32 v98, v5, v108
	;; [unrolled: 1-line block ×5, first 2 shown]
	v_fma_f32 v5, -v5, v109, v90
	v_fmac_f32_e32 v98, v4, v109
	v_fma_f32 v1, -v1, v109, v96
	v_fmac_f32_e32 v100, v0, v109
	v_fmac_f32_e32 v102, v13, v108
	;; [unrolled: 1-line block ×7, first 2 shown]
	v_fma_f32 v90, -v7, v111, v5
	v_fmac_f32_e32 v98, v6, v111
	global_load_dwordx4 v[4:7], v[112:113], off
	v_fma_f32 v96, -v3, v111, v1
	v_fmac_f32_e32 v100, v2, v111
	global_load_dwordx4 v[0:3], v[112:113], off offset:16
	v_fmac_f32_e32 v101, v9, v108
	v_fma_f32 v13, -v13, v109, v114
	v_fmac_f32_e32 v102, v12, v109
	v_fma_f32 v9, -v9, v109, v116
	v_add_co_u32 v93, vcc_lo, 0x800, v93
	v_fmac_f32_e32 v101, v8, v109
	v_fmac_f32_e32 v13, v14, v110
	;; [unrolled: 1-line block ×4, first 2 shown]
	v_add_co_ci_u32_e64 v94, null, 0, v94, vcc_lo
	v_fmac_f32_e32 v101, v11, v110
	v_fma_f32 v8, -v15, v111, v13
	v_fmac_f32_e32 v102, v14, v111
	v_fma_f32 v9, -v11, v111, v9
	v_cmp_ge_i32_e32 vcc_lo, v95, v99
	v_fmac_f32_e32 v101, v10, v111
	s_or_b32 s8, vcc_lo, s8
	s_waitcnt vmcnt(3)
	v_fmac_f32_e32 v90, v68, v16
	v_fmac_f32_e32 v98, v69, v16
	v_fmac_f32_e32 v96, v60, v16
	v_fmac_f32_e32 v100, v61, v16
	v_fmac_f32_e32 v8, v80, v16
	v_fmac_f32_e32 v102, v81, v16
	v_fmac_f32_e32 v9, v64, v16
	v_fmac_f32_e32 v101, v65, v16
	v_fma_f32 v10, -v69, v17, v90
	v_fmac_f32_e32 v98, v68, v17
	v_fma_f32 v11, -v61, v17, v96
	v_fmac_f32_e32 v100, v60, v17
	v_fma_f32 v8, -v81, v17, v8
	v_fmac_f32_e32 v102, v80, v17
	v_fma_f32 v9, -v65, v17, v9
	v_fmac_f32_e32 v101, v64, v17
	v_fmac_f32_e32 v10, v70, v18
	v_fmac_f32_e32 v98, v71, v18
	v_fmac_f32_e32 v11, v62, v18
	v_fmac_f32_e32 v100, v63, v18
	v_fmac_f32_e32 v8, v82, v18
	v_fmac_f32_e32 v102, v83, v18
	v_fmac_f32_e32 v9, v66, v18
	v_fmac_f32_e32 v101, v67, v18
	v_fma_f32 v10, -v71, v19, v10
	v_fmac_f32_e32 v98, v70, v19
	v_fma_f32 v11, -v63, v19, v11
	v_fmac_f32_e32 v100, v62, v19
	v_fma_f32 v8, -v83, v19, v8
	v_fmac_f32_e32 v102, v82, v19
	v_fma_f32 v9, -v67, v19, v9
	v_fmac_f32_e32 v101, v66, v19
	s_waitcnt vmcnt(2)
	v_fmac_f32_e32 v10, v48, v20
	v_fmac_f32_e32 v98, v49, v20
	v_fmac_f32_e32 v11, v32, v20
	v_fmac_f32_e32 v100, v33, v20
	v_fmac_f32_e32 v8, v56, v20
	v_fmac_f32_e32 v102, v57, v20
	v_fmac_f32_e32 v9, v52, v20
	v_fmac_f32_e32 v101, v53, v20
	v_fma_f32 v10, -v49, v21, v10
	v_fmac_f32_e32 v98, v48, v21
	v_fma_f32 v11, -v33, v21, v11
	v_fmac_f32_e32 v100, v32, v21
	v_fma_f32 v8, -v57, v21, v8
	v_fmac_f32_e32 v102, v56, v21
	v_fma_f32 v9, -v53, v21, v9
	v_fmac_f32_e32 v101, v52, v21
	v_fmac_f32_e32 v10, v50, v22
	v_fmac_f32_e32 v98, v51, v22
	v_fmac_f32_e32 v11, v34, v22
	v_fmac_f32_e32 v100, v35, v22
	v_fmac_f32_e32 v8, v58, v22
	v_fmac_f32_e32 v102, v59, v22
	v_fmac_f32_e32 v9, v54, v22
	v_fmac_f32_e32 v101, v55, v22
	v_fma_f32 v10, -v51, v23, v10
	v_fmac_f32_e32 v98, v50, v23
	v_fma_f32 v11, -v35, v23, v11
	v_fmac_f32_e32 v100, v34, v23
	v_fma_f32 v8, -v59, v23, v8
	v_fmac_f32_e32 v102, v58, v23
	v_fma_f32 v9, -v55, v23, v9
	v_fmac_f32_e32 v101, v54, v23
	;; [unrolled: 33-line block ×4, first 2 shown]
	s_andn2_b32 exec_lo, exec_lo, s8
	s_cbranch_execnz .LBB10_19
; %bb.20:
	s_or_b32 exec_lo, exec_lo, s8
.LBB10_21:
	s_or_b32 exec_lo, exec_lo, s3
.LBB10_22:
	s_or_b32 exec_lo, exec_lo, s1
	s_cbranch_execz .LBB10_24
	s_branch .LBB10_35
.LBB10_23:
                                        ; implicit-def: $vgpr98
                                        ; implicit-def: $vgpr105
                                        ; implicit-def: $vgpr103
                                        ; implicit-def: $vgpr101
                                        ; implicit-def: $vgpr104
                                        ; implicit-def: $vgpr102
                                        ; implicit-def: $vgpr106
                                        ; implicit-def: $vgpr100
.LBB10_24:
	v_mov_b32_e32 v98, 0
	v_mov_b32_e32 v105, 0
	;; [unrolled: 1-line block ×8, first 2 shown]
	s_and_saveexec_b32 s1, s0
	s_cbranch_execz .LBB10_34
; %bb.25:
	v_add_nc_u32_e32 v0, v107, v97
	v_not_b32_e32 v1, v107
	v_mov_b32_e32 v100, 0
	v_mov_b32_e32 v106, 0
	;; [unrolled: 1-line block ×3, first 2 shown]
	v_subrev_nc_u32_e32 v0, s2, v0
	v_mov_b32_e32 v104, 0
	v_mov_b32_e32 v101, 0
	v_mov_b32_e32 v103, 0
	v_mov_b32_e32 v105, 0
	v_add_nc_u32_e32 v0, 4, v0
	v_mov_b32_e32 v98, 0
	s_mov_b32 s0, exec_lo
	v_max_i32_e32 v0, v0, v99
	v_add3_u32 v0, s2, v0, v1
	v_sub_nc_u32_e32 v0, v0, v97
	v_and_b32_e32 v1, 12, v0
	v_cmpx_ne_u32_e32 12, v1
	s_cbranch_execz .LBB10_29
; %bb.26:
	v_lshrrev_b32_e32 v1, 2, v0
	v_mov_b32_e32 v98, 0
	v_mov_b32_e32 v105, 0
	;; [unrolled: 1-line block ×4, first 2 shown]
	v_add_nc_u32_e32 v1, 1, v1
	v_mov_b32_e32 v104, 0
	v_mov_b32_e32 v102, 0
	;; [unrolled: 1-line block ×4, first 2 shown]
	v_and_b32_e32 v1, 3, v1
	s_mov_b32 s3, 0
	v_sub_nc_u32_e32 v1, 0, v1
.LBB10_27:                              ; =>This Inner Loop Header: Depth=1
	v_ashrrev_i32_e32 v90, 31, v89
	v_add_co_u32 v1, s8, v1, 1
	s_or_b32 s3, s8, s3
	v_lshlrev_b64 v[2:3], 2, v[89:90]
	v_add_nc_u32_e32 v89, 4, v89
	v_add_co_u32 v2, vcc_lo, s12, v2
	v_add_co_ci_u32_e64 v3, null, s13, v3, vcc_lo
	global_load_dword v14, v[2:3], off
	s_clause 0x2
	global_load_dwordx4 v[2:5], v[91:92], off offset:32
	global_load_dwordx4 v[6:9], v[91:92], off offset:16
	global_load_dwordx4 v[10:13], v[91:92], off
	s_waitcnt vmcnt(3)
	v_subrev_nc_u32_e32 v14, s2, v14
	v_lshlrev_b32_e32 v14, 2, v14
	v_ashrrev_i32_e32 v15, 31, v14
	v_lshlrev_b64 v[14:15], 3, v[14:15]
	v_add_co_u32 v18, vcc_lo, s6, v14
	v_add_co_ci_u32_e64 v19, null, s7, v15, vcc_lo
	s_clause 0x1
	global_load_dwordx4 v[14:17], v[18:19], off
	global_load_dwordx4 v[18:21], v[18:19], off offset:16
	s_clause 0x4
	global_load_dwordx4 v[22:25], v[91:92], off offset:48
	global_load_dwordx4 v[26:29], v[91:92], off offset:64
	;; [unrolled: 1-line block ×5, first 2 shown]
	v_add_co_u32 v91, vcc_lo, 0x200, v91
	v_add_co_ci_u32_e64 v92, null, 0, v92, vcc_lo
	s_waitcnt vmcnt(6)
	v_fmac_f32_e32 v105, v10, v14
	v_fmac_f32_e32 v98, v11, v14
	v_fmac_f32_e32 v106, v12, v14
	v_fmac_f32_e32 v100, v13, v14
	v_fmac_f32_e32 v104, v6, v14
	v_fmac_f32_e32 v102, v7, v14
	v_fmac_f32_e32 v103, v8, v14
	v_fmac_f32_e32 v101, v9, v14
	v_fma_f32 v11, -v11, v15, v105
	v_fmac_f32_e32 v98, v10, v15
	v_fma_f32 v10, -v13, v15, v106
	v_fmac_f32_e32 v100, v12, v15
	;; [unrolled: 2-line block ×4, first 2 shown]
	v_fmac_f32_e32 v11, v2, v16
	v_fmac_f32_e32 v98, v3, v16
	;; [unrolled: 1-line block ×4, first 2 shown]
	s_waitcnt vmcnt(4)
	v_fmac_f32_e32 v7, v22, v16
	v_fmac_f32_e32 v102, v23, v16
	;; [unrolled: 1-line block ×4, first 2 shown]
	v_fma_f32 v3, -v3, v17, v11
	v_fmac_f32_e32 v98, v2, v17
	v_fma_f32 v2, -v5, v17, v10
	v_fmac_f32_e32 v100, v4, v17
	v_fma_f32 v4, -v23, v17, v7
	v_fmac_f32_e32 v102, v22, v17
	v_fma_f32 v5, -v25, v17, v6
	v_fmac_f32_e32 v101, v24, v17
	s_waitcnt vmcnt(3)
	v_fmac_f32_e32 v3, v26, v18
	v_fmac_f32_e32 v98, v27, v18
	v_fmac_f32_e32 v2, v28, v18
	v_fmac_f32_e32 v100, v29, v18
	s_waitcnt vmcnt(2)
	v_fmac_f32_e32 v4, v30, v18
	v_fmac_f32_e32 v102, v31, v18
	;; [unrolled: 1-line block ×4, first 2 shown]
	v_fma_f32 v3, -v27, v19, v3
	v_fmac_f32_e32 v98, v26, v19
	v_fma_f32 v2, -v29, v19, v2
	v_fmac_f32_e32 v100, v28, v19
	;; [unrolled: 2-line block ×4, first 2 shown]
	s_waitcnt vmcnt(1)
	v_fmac_f32_e32 v3, v34, v20
	v_fmac_f32_e32 v98, v35, v20
	;; [unrolled: 1-line block ×4, first 2 shown]
	s_waitcnt vmcnt(0)
	v_fmac_f32_e32 v4, v38, v20
	v_fmac_f32_e32 v102, v39, v20
	;; [unrolled: 1-line block ×4, first 2 shown]
	v_fma_f32 v105, -v35, v21, v3
	v_fmac_f32_e32 v98, v34, v21
	v_fma_f32 v106, -v37, v21, v2
	v_fmac_f32_e32 v100, v36, v21
	;; [unrolled: 2-line block ×4, first 2 shown]
	s_andn2_b32 exec_lo, exec_lo, s3
	s_cbranch_execnz .LBB10_27
; %bb.28:
	s_or_b32 exec_lo, exec_lo, s3
.LBB10_29:
	s_or_b32 exec_lo, exec_lo, s0
	s_mov_b32 s0, exec_lo
	v_cmpx_lt_u32_e32 11, v0
	s_cbranch_execz .LBB10_33
; %bb.30:
	s_mov_b32 s3, 0
.LBB10_31:                              ; =>This Inner Loop Header: Depth=1
	v_ashrrev_i32_e32 v90, 31, v89
	s_clause 0x10
	global_load_dwordx4 v[20:23], v[91:92], off offset:48
	global_load_dwordx4 v[24:27], v[91:92], off offset:32
	;; [unrolled: 1-line block ×3, first 2 shown]
	global_load_dwordx4 v[32:35], v[91:92], off
	global_load_dwordx4 v[4:7], v[91:92], off offset:112
	global_load_dwordx4 v[12:15], v[91:92], off offset:96
	;; [unrolled: 1-line block ×13, first 2 shown]
	v_lshlrev_b64 v[68:69], 2, v[89:90]
	v_add_nc_u32_e32 v89, 16, v89
	v_add_co_u32 v68, vcc_lo, s12, v68
	v_add_co_ci_u32_e64 v69, null, s13, v69, vcc_lo
	s_clause 0x3
	global_load_dword v70, v[68:69], off
	global_load_dword v76, v[68:69], off offset:16
	global_load_dword v77, v[68:69], off offset:32
	;; [unrolled: 1-line block ×3, first 2 shown]
	s_waitcnt vmcnt(3)
	v_subrev_nc_u32_e32 v68, s2, v70
	v_lshlrev_b32_e32 v68, 2, v68
	v_ashrrev_i32_e32 v69, 31, v68
	v_lshlrev_b64 v[68:69], 3, v[68:69]
	v_add_co_u32 v72, vcc_lo, s6, v68
	v_add_co_ci_u32_e64 v73, null, s7, v69, vcc_lo
	s_clause 0x1
	global_load_dwordx4 v[68:71], v[72:73], off
	global_load_dwordx4 v[72:75], v[72:73], off offset:16
	s_waitcnt vmcnt(1)
	v_fmac_f32_e32 v102, v29, v68
	v_fmac_f32_e32 v105, v32, v68
	;; [unrolled: 1-line block ×9, first 2 shown]
	v_fma_f32 v79, -v33, v69, v105
	v_fmac_f32_e32 v98, v32, v69
	v_fma_f32 v80, -v35, v69, v106
	v_fmac_f32_e32 v100, v34, v69
	v_fma_f32 v68, -v29, v69, v104
	v_fma_f32 v81, -v31, v69, v103
	v_fmac_f32_e32 v101, v30, v69
	v_fmac_f32_e32 v102, v21, v70
	;; [unrolled: 1-line block ×10, first 2 shown]
	v_fma_f32 v79, -v25, v71, v79
	v_fmac_f32_e32 v98, v24, v71
	v_fma_f32 v80, -v27, v71, v80
	v_fmac_f32_e32 v100, v26, v71
	v_fma_f32 v82, -v21, v71, v68
	v_fma_f32 v81, -v23, v71, v81
	v_fmac_f32_e32 v101, v22, v71
	s_waitcnt vmcnt(0)
	v_fmac_f32_e32 v102, v37, v72
	v_fmac_f32_e32 v79, v40, v72
	;; [unrolled: 1-line block ×9, first 2 shown]
	v_fma_f32 v79, -v41, v73, v79
	v_fmac_f32_e32 v98, v40, v73
	v_fma_f32 v80, -v43, v73, v80
	v_fmac_f32_e32 v100, v42, v73
	v_fma_f32 v72, -v37, v73, v82
	v_fma_f32 v81, -v39, v73, v81
	v_fmac_f32_e32 v101, v38, v73
	v_subrev_nc_u32_e32 v73, s2, v76
	v_fmac_f32_e32 v102, v5, v74
	v_fmac_f32_e32 v72, v4, v74
	v_fmac_f32_e32 v79, v12, v74
	v_fmac_f32_e32 v98, v13, v74
	v_fmac_f32_e32 v80, v14, v74
	v_fmac_f32_e32 v102, v4, v75
	v_lshlrev_b32_e32 v4, 2, v73
	v_fma_f32 v76, -v5, v75, v72
	v_fmac_f32_e32 v100, v15, v74
	v_fmac_f32_e32 v81, v6, v74
	;; [unrolled: 1-line block ×3, first 2 shown]
	v_ashrrev_i32_e32 v5, 31, v4
	s_clause 0x4
	global_load_dwordx4 v[32:35], v[91:92], off offset:1056
	global_load_dwordx4 v[28:31], v[91:92], off offset:1040
	;; [unrolled: 1-line block ×5, first 2 shown]
	v_lshlrev_b64 v[4:5], 3, v[4:5]
	s_clause 0x1
	global_load_dwordx4 v[40:43], v[91:92], off offset:1104
	global_load_dwordx4 v[36:39], v[91:92], off offset:1088
	v_fma_f32 v79, -v13, v75, v79
	v_fmac_f32_e32 v98, v12, v75
	v_fma_f32 v80, -v15, v75, v80
	v_add_co_u32 v72, vcc_lo, s6, v4
	v_add_co_ci_u32_e64 v73, null, s7, v5, vcc_lo
	v_fmac_f32_e32 v100, v14, v75
	global_load_dwordx4 v[12:15], v[91:92], off offset:1584
	v_fma_f32 v81, -v7, v75, v81
	v_fmac_f32_e32 v101, v6, v75
	s_clause 0x1
	global_load_dwordx4 v[4:7], v[72:73], off
	global_load_dwordx4 v[72:75], v[72:73], off offset:16
	s_waitcnt vmcnt(1)
	v_fmac_f32_e32 v98, v49, v4
	v_fmac_f32_e32 v76, v44, v4
	v_fmac_f32_e32 v81, v46, v4
	v_fmac_f32_e32 v79, v48, v4
	v_fmac_f32_e32 v80, v50, v4
	v_fmac_f32_e32 v100, v51, v4
	v_fmac_f32_e32 v98, v48, v5
	v_fmac_f32_e32 v102, v45, v4
	v_fmac_f32_e32 v101, v47, v4
	v_fma_f32 v4, -v45, v5, v76
	v_fma_f32 v76, -v47, v5, v81
	;; [unrolled: 1-line block ×4, first 2 shown]
	v_fmac_f32_e32 v100, v50, v5
	v_fmac_f32_e32 v98, v17, v6
	;; [unrolled: 1-line block ×7, first 2 shown]
	v_fma_f32 v82, -v11, v7, v76
	v_subrev_nc_u32_e32 v76, s2, v77
	v_fma_f32 v79, -v17, v7, v79
	v_fma_f32 v80, -v19, v7, v80
	v_fmac_f32_e32 v100, v18, v7
	v_subrev_nc_u32_e32 v77, s2, v78
	v_lshlrev_b32_e32 v76, 2, v76
	s_waitcnt vmcnt(0)
	v_fmac_f32_e32 v98, v61, v72
	v_fmac_f32_e32 v102, v44, v5
	;; [unrolled: 1-line block ×7, first 2 shown]
	v_lshlrev_b32_e32 v60, 2, v77
	v_ashrrev_i32_e32 v77, 31, v76
	v_fmac_f32_e32 v4, v8, v6
	v_fmac_f32_e32 v102, v9, v6
	;; [unrolled: 1-line block ×3, first 2 shown]
	v_fma_f32 v78, -v61, v73, v79
	v_fma_f32 v79, -v63, v73, v80
	v_fmac_f32_e32 v100, v62, v73
	v_ashrrev_i32_e32 v61, 31, v60
	v_lshlrev_b64 v[62:63], 3, v[76:77]
	v_fma_f32 v81, -v9, v7, v4
	v_fmac_f32_e32 v102, v8, v7
	v_fmac_f32_e32 v101, v10, v7
	v_lshlrev_b64 v[60:61], 3, v[60:61]
	v_fmac_f32_e32 v82, v58, v72
	v_add_co_u32 v62, vcc_lo, s6, v62
	v_add_co_ci_u32_e64 v63, null, s7, v63, vcc_lo
	v_fmac_f32_e32 v81, v56, v72
	v_fmac_f32_e32 v102, v57, v72
	;; [unrolled: 1-line block ×3, first 2 shown]
	v_add_co_u32 v76, vcc_lo, s6, v60
	s_clause 0x4
	global_load_dwordx4 v[48:51], v[91:92], off offset:1568
	global_load_dwordx4 v[44:47], v[91:92], off offset:1552
	;; [unrolled: 1-line block ×5, first 2 shown]
	v_add_co_ci_u32_e64 v77, null, s7, v61, vcc_lo
	v_fma_f32 v72, -v57, v73, v81
	v_fmac_f32_e32 v102, v56, v73
	v_fma_f32 v80, -v59, v73, v82
	v_fmac_f32_e32 v101, v58, v73
	s_clause 0x1
	global_load_dwordx4 v[56:59], v[62:63], off
	global_load_dwordx4 v[60:63], v[62:63], off offset:16
	v_fmac_f32_e32 v78, v52, v74
	v_fmac_f32_e32 v98, v53, v74
	;; [unrolled: 1-line block ×5, first 2 shown]
	v_fma_f32 v78, -v53, v75, v78
	v_fmac_f32_e32 v98, v52, v75
	v_fma_f32 v79, -v55, v75, v79
	v_fmac_f32_e32 v100, v54, v75
	global_load_dwordx4 v[52:55], v[76:77], off
	v_fmac_f32_e32 v102, v1, v74
	v_fmac_f32_e32 v80, v2, v74
	;; [unrolled: 1-line block ×3, first 2 shown]
	v_fma_f32 v81, -v1, v75, v72
	v_fmac_f32_e32 v102, v0, v75
	v_fma_f32 v80, -v3, v75, v80
	v_fmac_f32_e32 v101, v2, v75
	global_load_dwordx4 v[0:3], v[91:92], off offset:1632
	global_load_dwordx4 v[72:75], v[76:77], off offset:16
	s_waitcnt vmcnt(4)
	v_fmac_f32_e32 v78, v24, v56
	v_fmac_f32_e32 v98, v25, v56
	;; [unrolled: 1-line block ×5, first 2 shown]
	v_fma_f32 v76, -v25, v57, v78
	v_fmac_f32_e32 v98, v24, v57
	v_fma_f32 v77, -v27, v57, v79
	v_fmac_f32_e32 v100, v26, v57
	global_load_dwordx4 v[24:27], v[91:92], off offset:1648
	v_fmac_f32_e32 v102, v29, v56
	v_fmac_f32_e32 v80, v30, v56
	;; [unrolled: 1-line block ×3, first 2 shown]
	v_fma_f32 v29, -v29, v57, v81
	v_fmac_f32_e32 v76, v32, v58
	v_fmac_f32_e32 v102, v28, v57
	v_fma_f32 v28, -v31, v57, v80
	v_fmac_f32_e32 v101, v30, v57
	v_fmac_f32_e32 v98, v33, v58
	v_fmac_f32_e32 v77, v34, v58
	v_fmac_f32_e32 v100, v35, v58
	v_fmac_f32_e32 v29, v64, v58
	v_fmac_f32_e32 v102, v65, v58
	v_fmac_f32_e32 v28, v66, v58
	v_fmac_f32_e32 v101, v67, v58
	v_fma_f32 v30, -v33, v59, v76
	v_fmac_f32_e32 v98, v32, v59
	v_fma_f32 v31, -v35, v59, v77
	v_fmac_f32_e32 v100, v34, v59
	v_fma_f32 v29, -v65, v59, v29
	v_fmac_f32_e32 v102, v64, v59
	v_fma_f32 v28, -v67, v59, v28
	v_fmac_f32_e32 v101, v66, v59
	s_waitcnt vmcnt(4)
	v_fmac_f32_e32 v30, v36, v60
	v_fmac_f32_e32 v98, v37, v60
	v_fmac_f32_e32 v31, v38, v60
	v_fmac_f32_e32 v100, v39, v60
	v_fmac_f32_e32 v29, v40, v60
	v_fmac_f32_e32 v102, v41, v60
	v_fmac_f32_e32 v28, v42, v60
	v_fmac_f32_e32 v101, v43, v60
	v_fma_f32 v30, -v37, v61, v30
	v_fmac_f32_e32 v98, v36, v61
	v_fma_f32 v31, -v39, v61, v31
	v_fmac_f32_e32 v100, v38, v61
	v_fma_f32 v29, -v41, v61, v29
	v_fmac_f32_e32 v102, v40, v61
	v_fma_f32 v28, -v43, v61, v28
	v_fmac_f32_e32 v101, v42, v61
	v_fmac_f32_e32 v30, v68, v62
	v_fmac_f32_e32 v98, v69, v62
	v_fmac_f32_e32 v31, v70, v62
	v_fmac_f32_e32 v100, v71, v62
	v_fmac_f32_e32 v29, v20, v62
	v_fmac_f32_e32 v102, v21, v62
	v_fmac_f32_e32 v28, v22, v62
	v_fmac_f32_e32 v101, v23, v62
	v_fma_f32 v30, -v69, v63, v30
	v_fmac_f32_e32 v98, v68, v63
	v_fma_f32 v31, -v71, v63, v31
	v_fmac_f32_e32 v100, v70, v63
	v_fma_f32 v21, -v21, v63, v29
	v_fmac_f32_e32 v102, v20, v63
	v_fma_f32 v20, -v23, v63, v28
	v_fmac_f32_e32 v101, v22, v63
	s_waitcnt vmcnt(3)
	v_fmac_f32_e32 v30, v16, v52
	v_fmac_f32_e32 v98, v17, v52
	v_fmac_f32_e32 v31, v18, v52
	v_fmac_f32_e32 v100, v19, v52
	v_fmac_f32_e32 v21, v44, v52
	v_fmac_f32_e32 v102, v45, v52
	v_fmac_f32_e32 v20, v46, v52
	v_fmac_f32_e32 v101, v47, v52
	v_fma_f32 v17, -v17, v53, v30
	v_fmac_f32_e32 v98, v16, v53
	v_fma_f32 v16, -v19, v53, v31
	v_fmac_f32_e32 v100, v18, v53
	v_fma_f32 v18, -v45, v53, v21
	v_fmac_f32_e32 v102, v44, v53
	v_fma_f32 v19, -v47, v53, v20
	v_fmac_f32_e32 v101, v46, v53
	;; [unrolled: 33-line block ×3, first 2 shown]
	v_fmac_f32_e32 v5, v0, v74
	v_fmac_f32_e32 v98, v1, v74
	;; [unrolled: 1-line block ×4, first 2 shown]
	v_add_co_u32 v91, vcc_lo, 0x800, v91
	v_add_co_ci_u32_e64 v92, null, 0, v92, vcc_lo
	v_cmp_ge_i32_e32 vcc_lo, v89, v99
	v_fma_f32 v105, -v1, v75, v5
	v_fmac_f32_e32 v98, v0, v75
	v_fma_f32 v106, -v3, v75, v4
	v_fmac_f32_e32 v100, v2, v75
	s_or_b32 s3, vcc_lo, s3
	s_waitcnt vmcnt(0)
	v_fmac_f32_e32 v6, v24, v74
	v_fmac_f32_e32 v102, v25, v74
	;; [unrolled: 1-line block ×4, first 2 shown]
	v_fma_f32 v104, -v25, v75, v6
	v_fmac_f32_e32 v102, v24, v75
	v_fma_f32 v103, -v27, v75, v7
	v_fmac_f32_e32 v101, v26, v75
	s_andn2_b32 exec_lo, exec_lo, s3
	s_cbranch_execnz .LBB10_31
; %bb.32:
	s_or_b32 exec_lo, exec_lo, s3
.LBB10_33:
	s_or_b32 exec_lo, exec_lo, s0
.LBB10_34:
	s_or_b32 exec_lo, exec_lo, s1
.LBB10_35:
	v_mbcnt_lo_u32_b32 v0, -1, 0
	v_xor_b32_e32 v1, 2, v0
	v_cmp_gt_i32_e32 vcc_lo, 32, v1
	v_cndmask_b32_e32 v1, v0, v1, vcc_lo
	v_lshlrev_b32_e32 v1, 2, v1
	ds_bpermute_b32 v2, v1, v105
	ds_bpermute_b32 v3, v1, v98
	;; [unrolled: 1-line block ×8, first 2 shown]
	v_xor_b32_e32 v1, 1, v0
	v_cmp_gt_i32_e32 vcc_lo, 32, v1
	v_cndmask_b32_e32 v0, v0, v1, vcc_lo
	v_cmp_eq_u32_e32 vcc_lo, 3, v97
	s_waitcnt lgkmcnt(6)
	v_add_f32_e32 v1, v98, v3
	v_lshlrev_b32_e32 v15, 2, v0
	v_add_f32_e32 v0, v105, v2
	s_waitcnt lgkmcnt(5)
	v_add_f32_e32 v2, v106, v4
	s_waitcnt lgkmcnt(4)
	;; [unrolled: 2-line block ×6, first 2 shown]
	v_add_f32_e32 v7, v101, v9
	ds_bpermute_b32 v8, v15, v0
	ds_bpermute_b32 v9, v15, v1
	;; [unrolled: 1-line block ×8, first 2 shown]
	s_and_b32 exec_lo, exec_lo, vcc_lo
	s_cbranch_execz .LBB10_8
; %bb.36:
	s_load_dwordx2 s[2:3], s[4:5], 0x50
	s_waitcnt lgkmcnt(0)
	v_add_f32_e32 v8, v0, v8
	v_add_f32_e32 v0, v1, v9
	;; [unrolled: 1-line block ×8, first 2 shown]
	v_mul_f32_e64 v4, v0, -v87
	v_mul_f32_e32 v5, v86, v0
	v_mul_f32_e64 v6, v1, -v87
	v_mul_f32_e32 v7, v86, v1
	;; [unrolled: 2-line block ×4, first 2 shown]
	v_cmp_eq_f32_e32 vcc_lo, 0, v84
	v_cmp_eq_f32_e64 s0, 0, v85
	v_fmac_f32_e32 v4, v86, v8
	v_fmac_f32_e32 v5, v87, v8
	v_lshlrev_b32_e32 v8, 2, v88
	v_fmac_f32_e32 v6, v86, v9
	v_fmac_f32_e32 v7, v87, v9
	;; [unrolled: 1-line block ×6, first 2 shown]
	s_and_b32 s0, vcc_lo, s0
	s_and_saveexec_b32 s1, s0
	s_xor_b32 s0, exec_lo, s1
	s_cbranch_execz .LBB10_38
; %bb.37:
	v_ashrrev_i32_e32 v9, 31, v8
                                        ; implicit-def: $vgpr84_vgpr85
	v_lshlrev_b64 v[8:9], 3, v[8:9]
	v_add_co_u32 v8, vcc_lo, s2, v8
	v_add_co_ci_u32_e64 v9, null, s3, v9, vcc_lo
	global_store_dwordx4 v[8:9], v[4:7], off
	global_store_dwordx4 v[8:9], v[0:3], off offset:16
                                        ; implicit-def: $vgpr4
                                        ; implicit-def: $vgpr8
                                        ; implicit-def: $vgpr0
.LBB10_38:
	s_andn2_saveexec_b32 s0, s0
	s_cbranch_execz .LBB10_8
; %bb.39:
	v_ashrrev_i32_e32 v9, 31, v8
	v_lshlrev_b64 v[8:9], 3, v[8:9]
	v_add_co_u32 v16, vcc_lo, s2, v8
	v_add_co_ci_u32_e64 v17, null, s3, v9, vcc_lo
	s_clause 0x1
	global_load_dwordx4 v[8:11], v[16:17], off
	global_load_dwordx4 v[12:15], v[16:17], off offset:16
	s_waitcnt vmcnt(1)
	v_fmac_f32_e32 v4, v84, v8
	v_fmac_f32_e32 v5, v85, v8
	;; [unrolled: 1-line block ×4, first 2 shown]
	s_waitcnt vmcnt(0)
	v_fmac_f32_e32 v0, v84, v12
	v_fmac_f32_e32 v1, v85, v12
	;; [unrolled: 1-line block ×4, first 2 shown]
	v_fma_f32 v4, -v85, v9, v4
	v_fmac_f32_e32 v5, v84, v9
	v_fma_f32 v6, -v85, v11, v6
	v_fmac_f32_e32 v7, v84, v11
	;; [unrolled: 2-line block ×4, first 2 shown]
	global_store_dwordx4 v[16:17], v[4:7], off
	global_store_dwordx4 v[16:17], v[0:3], off offset:16
	s_endpgm
	.section	.rodata,"a",@progbits
	.p2align	6, 0x0
	.amdhsa_kernel _ZN9rocsparseL18bsrxmvn_4x4_kernelILj128ELj4E21rocsparse_complex_numIfEiiS2_S2_S2_EEvT3_20rocsparse_direction_NS_24const_host_device_scalarIT1_EES3_PKS3_PKT2_SC_S9_PKT4_PKT5_S7_PT6_21rocsparse_index_base_b
		.amdhsa_group_segment_fixed_size 0
		.amdhsa_private_segment_fixed_size 0
		.amdhsa_kernarg_size 96
		.amdhsa_user_sgpr_count 6
		.amdhsa_user_sgpr_private_segment_buffer 1
		.amdhsa_user_sgpr_dispatch_ptr 0
		.amdhsa_user_sgpr_queue_ptr 0
		.amdhsa_user_sgpr_kernarg_segment_ptr 1
		.amdhsa_user_sgpr_dispatch_id 0
		.amdhsa_user_sgpr_flat_scratch_init 0
		.amdhsa_user_sgpr_private_segment_size 0
		.amdhsa_wavefront_size32 1
		.amdhsa_uses_dynamic_stack 0
		.amdhsa_system_sgpr_private_segment_wavefront_offset 0
		.amdhsa_system_sgpr_workgroup_id_x 1
		.amdhsa_system_sgpr_workgroup_id_y 0
		.amdhsa_system_sgpr_workgroup_id_z 0
		.amdhsa_system_sgpr_workgroup_info 0
		.amdhsa_system_vgpr_workitem_id 0
		.amdhsa_next_free_vgpr 120
		.amdhsa_next_free_sgpr 16
		.amdhsa_reserve_vcc 1
		.amdhsa_reserve_flat_scratch 0
		.amdhsa_float_round_mode_32 0
		.amdhsa_float_round_mode_16_64 0
		.amdhsa_float_denorm_mode_32 3
		.amdhsa_float_denorm_mode_16_64 3
		.amdhsa_dx10_clamp 1
		.amdhsa_ieee_mode 1
		.amdhsa_fp16_overflow 0
		.amdhsa_workgroup_processor_mode 1
		.amdhsa_memory_ordered 1
		.amdhsa_forward_progress 1
		.amdhsa_shared_vgpr_count 0
		.amdhsa_exception_fp_ieee_invalid_op 0
		.amdhsa_exception_fp_denorm_src 0
		.amdhsa_exception_fp_ieee_div_zero 0
		.amdhsa_exception_fp_ieee_overflow 0
		.amdhsa_exception_fp_ieee_underflow 0
		.amdhsa_exception_fp_ieee_inexact 0
		.amdhsa_exception_int_div_zero 0
	.end_amdhsa_kernel
	.section	.text._ZN9rocsparseL18bsrxmvn_4x4_kernelILj128ELj4E21rocsparse_complex_numIfEiiS2_S2_S2_EEvT3_20rocsparse_direction_NS_24const_host_device_scalarIT1_EES3_PKS3_PKT2_SC_S9_PKT4_PKT5_S7_PT6_21rocsparse_index_base_b,"axG",@progbits,_ZN9rocsparseL18bsrxmvn_4x4_kernelILj128ELj4E21rocsparse_complex_numIfEiiS2_S2_S2_EEvT3_20rocsparse_direction_NS_24const_host_device_scalarIT1_EES3_PKS3_PKT2_SC_S9_PKT4_PKT5_S7_PT6_21rocsparse_index_base_b,comdat
.Lfunc_end10:
	.size	_ZN9rocsparseL18bsrxmvn_4x4_kernelILj128ELj4E21rocsparse_complex_numIfEiiS2_S2_S2_EEvT3_20rocsparse_direction_NS_24const_host_device_scalarIT1_EES3_PKS3_PKT2_SC_S9_PKT4_PKT5_S7_PT6_21rocsparse_index_base_b, .Lfunc_end10-_ZN9rocsparseL18bsrxmvn_4x4_kernelILj128ELj4E21rocsparse_complex_numIfEiiS2_S2_S2_EEvT3_20rocsparse_direction_NS_24const_host_device_scalarIT1_EES3_PKS3_PKT2_SC_S9_PKT4_PKT5_S7_PT6_21rocsparse_index_base_b
                                        ; -- End function
	.set _ZN9rocsparseL18bsrxmvn_4x4_kernelILj128ELj4E21rocsparse_complex_numIfEiiS2_S2_S2_EEvT3_20rocsparse_direction_NS_24const_host_device_scalarIT1_EES3_PKS3_PKT2_SC_S9_PKT4_PKT5_S7_PT6_21rocsparse_index_base_b.num_vgpr, 120
	.set _ZN9rocsparseL18bsrxmvn_4x4_kernelILj128ELj4E21rocsparse_complex_numIfEiiS2_S2_S2_EEvT3_20rocsparse_direction_NS_24const_host_device_scalarIT1_EES3_PKS3_PKT2_SC_S9_PKT4_PKT5_S7_PT6_21rocsparse_index_base_b.num_agpr, 0
	.set _ZN9rocsparseL18bsrxmvn_4x4_kernelILj128ELj4E21rocsparse_complex_numIfEiiS2_S2_S2_EEvT3_20rocsparse_direction_NS_24const_host_device_scalarIT1_EES3_PKS3_PKT2_SC_S9_PKT4_PKT5_S7_PT6_21rocsparse_index_base_b.numbered_sgpr, 16
	.set _ZN9rocsparseL18bsrxmvn_4x4_kernelILj128ELj4E21rocsparse_complex_numIfEiiS2_S2_S2_EEvT3_20rocsparse_direction_NS_24const_host_device_scalarIT1_EES3_PKS3_PKT2_SC_S9_PKT4_PKT5_S7_PT6_21rocsparse_index_base_b.num_named_barrier, 0
	.set _ZN9rocsparseL18bsrxmvn_4x4_kernelILj128ELj4E21rocsparse_complex_numIfEiiS2_S2_S2_EEvT3_20rocsparse_direction_NS_24const_host_device_scalarIT1_EES3_PKS3_PKT2_SC_S9_PKT4_PKT5_S7_PT6_21rocsparse_index_base_b.private_seg_size, 0
	.set _ZN9rocsparseL18bsrxmvn_4x4_kernelILj128ELj4E21rocsparse_complex_numIfEiiS2_S2_S2_EEvT3_20rocsparse_direction_NS_24const_host_device_scalarIT1_EES3_PKS3_PKT2_SC_S9_PKT4_PKT5_S7_PT6_21rocsparse_index_base_b.uses_vcc, 1
	.set _ZN9rocsparseL18bsrxmvn_4x4_kernelILj128ELj4E21rocsparse_complex_numIfEiiS2_S2_S2_EEvT3_20rocsparse_direction_NS_24const_host_device_scalarIT1_EES3_PKS3_PKT2_SC_S9_PKT4_PKT5_S7_PT6_21rocsparse_index_base_b.uses_flat_scratch, 0
	.set _ZN9rocsparseL18bsrxmvn_4x4_kernelILj128ELj4E21rocsparse_complex_numIfEiiS2_S2_S2_EEvT3_20rocsparse_direction_NS_24const_host_device_scalarIT1_EES3_PKS3_PKT2_SC_S9_PKT4_PKT5_S7_PT6_21rocsparse_index_base_b.has_dyn_sized_stack, 0
	.set _ZN9rocsparseL18bsrxmvn_4x4_kernelILj128ELj4E21rocsparse_complex_numIfEiiS2_S2_S2_EEvT3_20rocsparse_direction_NS_24const_host_device_scalarIT1_EES3_PKS3_PKT2_SC_S9_PKT4_PKT5_S7_PT6_21rocsparse_index_base_b.has_recursion, 0
	.set _ZN9rocsparseL18bsrxmvn_4x4_kernelILj128ELj4E21rocsparse_complex_numIfEiiS2_S2_S2_EEvT3_20rocsparse_direction_NS_24const_host_device_scalarIT1_EES3_PKS3_PKT2_SC_S9_PKT4_PKT5_S7_PT6_21rocsparse_index_base_b.has_indirect_call, 0
	.section	.AMDGPU.csdata,"",@progbits
; Kernel info:
; codeLenInByte = 6512
; TotalNumSgprs: 18
; NumVgprs: 120
; ScratchSize: 0
; MemoryBound: 0
; FloatMode: 240
; IeeeMode: 1
; LDSByteSize: 0 bytes/workgroup (compile time only)
; SGPRBlocks: 0
; VGPRBlocks: 14
; NumSGPRsForWavesPerEU: 18
; NumVGPRsForWavesPerEU: 120
; Occupancy: 8
; WaveLimiterHint : 1
; COMPUTE_PGM_RSRC2:SCRATCH_EN: 0
; COMPUTE_PGM_RSRC2:USER_SGPR: 6
; COMPUTE_PGM_RSRC2:TRAP_HANDLER: 0
; COMPUTE_PGM_RSRC2:TGID_X_EN: 1
; COMPUTE_PGM_RSRC2:TGID_Y_EN: 0
; COMPUTE_PGM_RSRC2:TGID_Z_EN: 0
; COMPUTE_PGM_RSRC2:TIDIG_COMP_CNT: 0
	.section	.text._ZN9rocsparseL18bsrxmvn_4x4_kernelILj128ELj8E21rocsparse_complex_numIfEiiS2_S2_S2_EEvT3_20rocsparse_direction_NS_24const_host_device_scalarIT1_EES3_PKS3_PKT2_SC_S9_PKT4_PKT5_S7_PT6_21rocsparse_index_base_b,"axG",@progbits,_ZN9rocsparseL18bsrxmvn_4x4_kernelILj128ELj8E21rocsparse_complex_numIfEiiS2_S2_S2_EEvT3_20rocsparse_direction_NS_24const_host_device_scalarIT1_EES3_PKS3_PKT2_SC_S9_PKT4_PKT5_S7_PT6_21rocsparse_index_base_b,comdat
	.globl	_ZN9rocsparseL18bsrxmvn_4x4_kernelILj128ELj8E21rocsparse_complex_numIfEiiS2_S2_S2_EEvT3_20rocsparse_direction_NS_24const_host_device_scalarIT1_EES3_PKS3_PKT2_SC_S9_PKT4_PKT5_S7_PT6_21rocsparse_index_base_b ; -- Begin function _ZN9rocsparseL18bsrxmvn_4x4_kernelILj128ELj8E21rocsparse_complex_numIfEiiS2_S2_S2_EEvT3_20rocsparse_direction_NS_24const_host_device_scalarIT1_EES3_PKS3_PKT2_SC_S9_PKT4_PKT5_S7_PT6_21rocsparse_index_base_b
	.p2align	8
	.type	_ZN9rocsparseL18bsrxmvn_4x4_kernelILj128ELj8E21rocsparse_complex_numIfEiiS2_S2_S2_EEvT3_20rocsparse_direction_NS_24const_host_device_scalarIT1_EES3_PKS3_PKT2_SC_S9_PKT4_PKT5_S7_PT6_21rocsparse_index_base_b,@function
_ZN9rocsparseL18bsrxmvn_4x4_kernelILj128ELj8E21rocsparse_complex_numIfEiiS2_S2_S2_EEvT3_20rocsparse_direction_NS_24const_host_device_scalarIT1_EES3_PKS3_PKT2_SC_S9_PKT4_PKT5_S7_PT6_21rocsparse_index_base_b: ; @_ZN9rocsparseL18bsrxmvn_4x4_kernelILj128ELj8E21rocsparse_complex_numIfEiiS2_S2_S2_EEvT3_20rocsparse_direction_NS_24const_host_device_scalarIT1_EES3_PKS3_PKT2_SC_S9_PKT4_PKT5_S7_PT6_21rocsparse_index_base_b
; %bb.0:
	s_clause 0x2
	s_load_dwordx2 s[2:3], s[4:5], 0x58
	s_load_dwordx2 s[0:1], s[4:5], 0x8
	;; [unrolled: 1-line block ×3, first 2 shown]
	s_add_u32 s7, s4, 8
	s_addc_u32 s10, s5, 0
	s_add_u32 s11, s4, 0x48
	s_addc_u32 s12, s5, 0
	s_waitcnt lgkmcnt(0)
	s_bitcmp1_b32 s3, 0
	s_cselect_b32 s0, s7, s0
	s_cselect_b32 s1, s10, s1
	v_mov_b32_e32 v1, s0
	v_mov_b32_e32 v2, s1
	s_cselect_b32 s0, s11, s8
	s_cselect_b32 s1, s12, s9
	flat_load_dwordx2 v[74:75], v[1:2]
	v_mov_b32_e32 v1, s0
	v_mov_b32_e32 v2, s1
	flat_load_dwordx2 v[72:73], v[1:2]
	s_waitcnt vmcnt(1) lgkmcnt(1)
	v_cmp_eq_f32_e32 vcc_lo, 0, v74
	v_cmp_eq_f32_e64 s0, 0, v75
	s_and_b32 s3, vcc_lo, s0
	s_mov_b32 s0, -1
	s_and_saveexec_b32 s1, s3
	s_cbranch_execz .LBB11_2
; %bb.1:
	s_waitcnt vmcnt(0) lgkmcnt(0)
	v_cmp_neq_f32_e32 vcc_lo, 1.0, v72
	v_cmp_neq_f32_e64 s0, 0, v73
	s_or_b32 s0, vcc_lo, s0
	s_orn2_b32 s0, s0, exec_lo
.LBB11_2:
	s_or_b32 exec_lo, exec_lo, s1
	s_and_saveexec_b32 s1, s0
	s_cbranch_execz .LBB11_8
; %bb.3:
	s_clause 0x1
	s_load_dwordx2 s[8:9], s[4:5], 0x18
	s_load_dwordx2 s[0:1], s[4:5], 0x0
	v_lshrrev_b32_e32 v1, 3, v0
	v_lshl_or_b32 v76, s6, 4, v1
	s_waitcnt lgkmcnt(0)
	s_cmp_lg_u64 s[8:9], 0
	s_cbranch_scc0 .LBB11_9
; %bb.4:
	s_load_dword s3, s[4:5], 0x10
	s_mov_b32 s6, 0
                                        ; implicit-def: $vgpr1
	s_waitcnt lgkmcnt(0)
	v_cmp_gt_i32_e32 vcc_lo, s3, v76
	s_mov_b32 s3, 0
	s_and_saveexec_b32 s7, vcc_lo
	s_xor_b32 s7, exec_lo, s7
	s_cbranch_execz .LBB11_6
; %bb.5:
	v_ashrrev_i32_e32 v77, 31, v76
	s_mov_b32 s3, exec_lo
	v_lshlrev_b64 v[1:2], 2, v[76:77]
	v_add_co_u32 v1, vcc_lo, s8, v1
	v_add_co_ci_u32_e64 v2, null, s9, v2, vcc_lo
	global_load_dword v1, v[1:2], off
	s_waitcnt vmcnt(0)
	v_subrev_nc_u32_e32 v1, s2, v1
.LBB11_6:
	s_or_b32 exec_lo, exec_lo, s7
	s_and_b32 vcc_lo, exec_lo, s6
	s_cbranch_vccz .LBB11_10
.LBB11_7:
	v_cmp_gt_i32_e32 vcc_lo, s0, v76
	s_andn2_b32 s0, s3, exec_lo
	s_and_b32 s3, vcc_lo, exec_lo
	s_or_b32 s3, s0, s3
	s_and_b32 exec_lo, exec_lo, s3
	s_cbranch_execnz .LBB11_11
.LBB11_8:
	s_endpgm
.LBB11_9:
	s_mov_b32 s3, 0
                                        ; implicit-def: $vgpr1
	s_cbranch_execnz .LBB11_7
.LBB11_10:
	v_mov_b32_e32 v76, v1
	s_and_b32 exec_lo, exec_lo, s3
	s_cbranch_execz .LBB11_8
.LBB11_11:
	s_load_dwordx8 s[8:15], s[4:5], 0x20
	v_ashrrev_i32_e32 v77, 31, v76
	v_and_b32_e32 v85, 7, v0
	s_load_dwordx2 s[6:7], s[4:5], 0x40
	v_lshlrev_b64 v[1:2], 2, v[76:77]
	s_waitcnt lgkmcnt(0)
	v_add_co_u32 v3, vcc_lo, s8, v1
	v_add_co_ci_u32_e64 v4, null, s9, v2, vcc_lo
	v_add_co_u32 v1, vcc_lo, s10, v1
	v_add_co_ci_u32_e64 v2, null, s11, v2, vcc_lo
	global_load_dword v95, v[3:4], off
	v_add_co_u32 v3, vcc_lo, v3, 4
	v_add_co_ci_u32_e64 v4, null, 0, v4, vcc_lo
	s_cmp_eq_u64 s[10:11], 0
	s_cselect_b32 vcc_lo, -1, 0
	s_cmp_eq_u32 s1, 1
	v_cndmask_b32_e32 v2, v2, v4, vcc_lo
	v_cndmask_b32_e32 v1, v1, v3, vcc_lo
	global_load_dword v2, v[1:2], off
	s_waitcnt vmcnt(1)
	v_subrev_nc_u32_e32 v0, s2, v95
	v_add_nc_u32_e32 v77, v0, v85
	v_ashrrev_i32_e32 v78, 31, v77
	s_waitcnt vmcnt(0)
	v_subrev_nc_u32_e32 v90, s2, v2
	v_lshlrev_b64 v[0:1], 7, v[77:78]
	v_cmp_lt_i32_e64 s0, v77, v90
	v_add_co_u32 v79, vcc_lo, s14, v0
	v_add_co_ci_u32_e64 v80, null, s15, v1, vcc_lo
	s_cbranch_scc1 .LBB11_23
; %bb.12:
	v_mov_b32_e32 v86, 0
	v_mov_b32_e32 v93, 0
	;; [unrolled: 1-line block ×8, first 2 shown]
	s_and_saveexec_b32 s1, s0
	s_cbranch_execz .LBB11_22
; %bb.13:
	v_add_nc_u32_e32 v0, v95, v85
	v_not_b32_e32 v1, v95
	v_mov_b32_e32 v82, v80
	v_mov_b32_e32 v87, 0
	v_mov_b32_e32 v94, 0
	v_subrev_nc_u32_e32 v0, s2, v0
	v_mov_b32_e32 v89, 0
	v_mov_b32_e32 v92, 0
	;; [unrolled: 1-line block ×4, first 2 shown]
	v_add_nc_u32_e32 v0, 8, v0
	v_mov_b32_e32 v93, 0
	v_mov_b32_e32 v86, 0
	;; [unrolled: 1-line block ×4, first 2 shown]
	v_max_i32_e32 v0, v0, v90
	s_mov_b32 s3, exec_lo
	v_add3_u32 v0, s2, v0, v1
	v_sub_nc_u32_e32 v0, v0, v85
	v_and_b32_e32 v1, 24, v0
	v_cmpx_ne_u32_e32 24, v1
	s_cbranch_execz .LBB11_17
; %bb.14:
	v_lshrrev_b32_e32 v1, 3, v0
	v_mov_b32_e32 v82, v80
	v_mov_b32_e32 v86, 0
	;; [unrolled: 1-line block ×4, first 2 shown]
	v_add_nc_u32_e32 v1, 1, v1
	v_mov_b32_e32 v93, 0
	v_mov_b32_e32 v91, 0
	;; [unrolled: 1-line block ×4, first 2 shown]
	v_and_b32_e32 v1, 3, v1
	v_mov_b32_e32 v89, 0
	v_mov_b32_e32 v94, 0
	v_mov_b32_e32 v87, 0
	s_mov_b32 s8, 0
	v_sub_nc_u32_e32 v1, 0, v1
.LBB11_15:                              ; =>This Inner Loop Header: Depth=1
	v_ashrrev_i32_e32 v84, 31, v83
	v_add_co_u32 v1, s9, v1, 1
	s_or_b32 s8, s9, s8
	v_lshlrev_b64 v[2:3], 2, v[83:84]
	v_add_nc_u32_e32 v83, 8, v83
	v_add_co_u32 v2, vcc_lo, s12, v2
	v_add_co_ci_u32_e64 v3, null, s13, v3, vcc_lo
	global_load_dword v34, v[2:3], off
	s_clause 0x7
	global_load_dwordx4 v[2:5], v[81:82], off offset:48
	global_load_dwordx4 v[6:9], v[81:82], off offset:32
	;; [unrolled: 1-line block ×3, first 2 shown]
	global_load_dwordx4 v[14:17], v[81:82], off
	global_load_dwordx4 v[18:21], v[81:82], off offset:112
	global_load_dwordx4 v[22:25], v[81:82], off offset:96
	;; [unrolled: 1-line block ×4, first 2 shown]
	s_waitcnt vmcnt(8)
	v_subrev_nc_u32_e32 v34, s2, v34
	v_lshlrev_b32_e32 v34, 2, v34
	v_ashrrev_i32_e32 v35, 31, v34
	v_lshlrev_b64 v[34:35], 3, v[34:35]
	v_add_co_u32 v38, vcc_lo, s6, v34
	v_add_co_ci_u32_e64 v39, null, s7, v35, vcc_lo
	v_add_co_u32 v81, vcc_lo, 0x400, v81
	v_add_co_ci_u32_e64 v82, null, 0, v82, vcc_lo
	s_clause 0x1
	global_load_dwordx4 v[34:37], v[38:39], off
	global_load_dwordx4 v[38:41], v[38:39], off offset:16
	s_waitcnt vmcnt(1)
	v_fmac_f32_e32 v93, v14, v34
	v_fmac_f32_e32 v86, v15, v34
	;; [unrolled: 1-line block ×8, first 2 shown]
	v_fma_f32 v15, -v15, v35, v93
	v_fmac_f32_e32 v86, v14, v35
	v_fma_f32 v7, -v7, v35, v94
	v_fmac_f32_e32 v87, v6, v35
	;; [unrolled: 2-line block ×4, first 2 shown]
	v_fmac_f32_e32 v15, v16, v36
	v_fmac_f32_e32 v86, v17, v36
	;; [unrolled: 1-line block ×8, first 2 shown]
	v_fma_f32 v15, -v17, v37, v15
	v_fmac_f32_e32 v86, v16, v37
	v_fma_f32 v7, -v9, v37, v7
	v_fmac_f32_e32 v87, v8, v37
	v_fma_f32 v6, -v33, v37, v6
	v_fmac_f32_e32 v89, v32, v37
	v_fma_f32 v8, -v25, v37, v14
	v_fmac_f32_e32 v88, v24, v37
	s_waitcnt vmcnt(0)
	v_fmac_f32_e32 v15, v10, v38
	v_fmac_f32_e32 v86, v11, v38
	;; [unrolled: 1-line block ×8, first 2 shown]
	v_fma_f32 v9, -v11, v39, v15
	v_fmac_f32_e32 v86, v10, v39
	v_fma_f32 v3, -v3, v39, v7
	v_fmac_f32_e32 v87, v2, v39
	;; [unrolled: 2-line block ×4, first 2 shown]
	v_fmac_f32_e32 v9, v12, v40
	v_fmac_f32_e32 v86, v13, v40
	;; [unrolled: 1-line block ×8, first 2 shown]
	v_fma_f32 v93, -v13, v41, v9
	v_fmac_f32_e32 v86, v12, v41
	v_fma_f32 v94, -v5, v41, v3
	v_fmac_f32_e32 v87, v4, v41
	;; [unrolled: 2-line block ×4, first 2 shown]
	s_andn2_b32 exec_lo, exec_lo, s8
	s_cbranch_execnz .LBB11_15
; %bb.16:
	s_or_b32 exec_lo, exec_lo, s8
.LBB11_17:
	s_or_b32 exec_lo, exec_lo, s3
	s_mov_b32 s3, exec_lo
	v_cmpx_lt_u32_e32 23, v0
	s_cbranch_execz .LBB11_21
; %bb.18:
	s_mov_b32 s8, 0
.LBB11_19:                              ; =>This Inner Loop Header: Depth=1
	v_ashrrev_i32_e32 v84, 31, v83
	v_add_co_u32 v112, vcc_lo, 0x800, v81
	v_add_co_ci_u32_e64 v113, null, 0, v82, vcc_lo
	v_lshlrev_b64 v[104:105], 2, v[83:84]
	s_clause 0x13
	global_load_dwordx4 v[8:11], v[81:82], off offset:48
	global_load_dwordx4 v[24:27], v[81:82], off offset:32
	;; [unrolled: 1-line block ×3, first 2 shown]
	global_load_dwordx4 v[32:35], v[81:82], off
	global_load_dwordx4 v[28:31], v[81:82], off offset:112
	global_load_dwordx4 v[48:51], v[81:82], off offset:96
	;; [unrolled: 1-line block ×14, first 2 shown]
	global_load_dwordx4 v[64:67], v[112:113], off
	global_load_dwordx4 v[44:47], v[112:113], off offset:16
	v_add_nc_u32_e32 v83, 32, v83
	v_add_co_u32 v104, vcc_lo, s12, v104
	v_add_co_ci_u32_e64 v105, null, s13, v105, vcc_lo
	s_clause 0x3
	global_load_dword v78, v[104:105], off
	global_load_dword v84, v[104:105], off offset:32
	global_load_dword v114, v[104:105], off offset:64
	;; [unrolled: 1-line block ×3, first 2 shown]
	s_waitcnt vmcnt(3)
	v_subrev_nc_u32_e32 v78, s2, v78
	s_waitcnt vmcnt(2)
	v_subrev_nc_u32_e32 v84, s2, v84
	v_lshlrev_b32_e32 v104, 2, v78
	v_ashrrev_i32_e32 v105, 31, v104
	v_lshlrev_b64 v[104:105], 3, v[104:105]
	v_add_co_u32 v108, vcc_lo, s6, v104
	v_add_co_ci_u32_e64 v109, null, s7, v105, vcc_lo
	s_clause 0x1
	global_load_dwordx4 v[104:107], v[108:109], off
	global_load_dwordx4 v[108:111], v[108:109], off offset:16
	s_waitcnt vmcnt(1)
	v_fmac_f32_e32 v93, v32, v104
	v_fmac_f32_e32 v86, v33, v104
	;; [unrolled: 1-line block ×8, first 2 shown]
	v_fma_f32 v33, -v33, v105, v93
	v_fmac_f32_e32 v86, v32, v105
	v_fma_f32 v25, -v25, v105, v94
	v_fmac_f32_e32 v87, v24, v105
	;; [unrolled: 2-line block ×4, first 2 shown]
	v_fmac_f32_e32 v33, v34, v106
	v_fmac_f32_e32 v86, v35, v106
	;; [unrolled: 1-line block ×8, first 2 shown]
	v_lshlrev_b32_e32 v91, 2, v84
	v_fma_f32 v78, -v35, v107, v33
	v_fmac_f32_e32 v86, v34, v107
	v_fma_f32 v93, -v27, v107, v25
	v_fmac_f32_e32 v87, v26, v107
	;; [unrolled: 2-line block ×4, first 2 shown]
	v_ashrrev_i32_e32 v92, 31, v91
	s_waitcnt vmcnt(0)
	v_fmac_f32_e32 v78, v12, v108
	v_fmac_f32_e32 v86, v13, v108
	;; [unrolled: 1-line block ×8, first 2 shown]
	v_lshlrev_b64 v[91:92], 3, v[91:92]
	v_fma_f32 v13, -v13, v109, v78
	v_fmac_f32_e32 v86, v12, v109
	v_fma_f32 v9, -v9, v109, v93
	v_fmac_f32_e32 v87, v8, v109
	;; [unrolled: 2-line block ×4, first 2 shown]
	v_add_co_u32 v91, vcc_lo, s6, v91
	v_add_co_ci_u32_e64 v92, null, s7, v92, vcc_lo
	v_fmac_f32_e32 v13, v14, v110
	v_fmac_f32_e32 v86, v15, v110
	;; [unrolled: 1-line block ×8, first 2 shown]
	s_clause 0x4
	global_load_dwordx4 v[32:35], v[112:113], off offset:112
	global_load_dwordx4 v[24:27], v[112:113], off offset:96
	;; [unrolled: 1-line block ×5, first 2 shown]
	v_fma_f32 v78, -v15, v111, v13
	v_fmac_f32_e32 v86, v14, v111
	global_load_dwordx4 v[12:15], v[112:113], off offset:1056
	v_fma_f32 v84, -v11, v111, v9
	v_fmac_f32_e32 v87, v10, v111
	global_load_dwordx4 v[8:11], v[112:113], off offset:1040
	;; [unrolled: 3-line block ×3, first 2 shown]
	v_fma_f32 v116, -v31, v111, v29
	v_fmac_f32_e32 v88, v30, v111
	s_clause 0x1
	global_load_dwordx4 v[28:31], v[91:92], off
	global_load_dwordx4 v[91:94], v[91:92], off offset:16
	s_waitcnt vmcnt(1)
	v_fmac_f32_e32 v78, v20, v28
	v_fmac_f32_e32 v86, v21, v28
	;; [unrolled: 1-line block ×6, first 2 shown]
	v_fma_f32 v21, -v21, v29, v78
	v_fmac_f32_e32 v86, v20, v29
	v_fma_f32 v17, -v17, v29, v84
	v_fmac_f32_e32 v87, v16, v29
	;; [unrolled: 2-line block ×3, first 2 shown]
	v_fmac_f32_e32 v21, v22, v30
	v_fmac_f32_e32 v86, v23, v30
	;; [unrolled: 1-line block ×7, first 2 shown]
	v_fma_f32 v78, -v23, v31, v21
	v_fmac_f32_e32 v86, v22, v31
	global_load_dwordx4 v[20:23], v[112:113], off offset:1136
	v_fma_f32 v84, -v19, v31, v17
	v_fmac_f32_e32 v87, v18, v31
	global_load_dwordx4 v[16:19], v[112:113], off offset:1120
	v_fma_f32 v117, -v103, v31, v101
	v_fmac_f32_e32 v89, v102, v31
	s_clause 0x1
	global_load_dwordx4 v[100:103], v[112:113], off offset:1088
	global_load_dwordx4 v[108:111], v[112:113], off offset:1104
	v_subrev_nc_u32_e32 v112, s2, v114
	v_fmac_f32_e32 v88, v97, v28
	v_fma_f32 v28, -v97, v29, v116
	v_subrev_nc_u32_e32 v113, s2, v115
	s_waitcnt vmcnt(4)
	v_fmac_f32_e32 v78, v4, v91
	v_lshlrev_b32_e32 v112, 2, v112
	v_fmac_f32_e32 v88, v96, v29
	v_fmac_f32_e32 v28, v98, v30
	;; [unrolled: 1-line block ×3, first 2 shown]
	v_fma_f32 v5, -v5, v92, v78
	v_fmac_f32_e32 v84, v0, v91
	v_fmac_f32_e32 v88, v99, v30
	v_fma_f32 v114, -v99, v31, v28
	v_lshlrev_b32_e32 v28, 2, v113
	v_ashrrev_i32_e32 v113, 31, v112
	v_fmac_f32_e32 v86, v4, v92
	v_fmac_f32_e32 v88, v98, v31
	;; [unrolled: 1-line block ×3, first 2 shown]
	v_ashrrev_i32_e32 v29, 31, v28
	v_lshlrev_b64 v[30:31], 3, v[112:113]
	v_fmac_f32_e32 v86, v7, v93
	v_fmac_f32_e32 v87, v1, v91
	v_fma_f32 v78, -v7, v94, v5
	v_lshlrev_b64 v[28:29], 3, v[28:29]
	v_fma_f32 v1, -v1, v92, v84
	v_add_co_u32 v96, vcc_lo, s6, v30
	v_add_co_ci_u32_e64 v97, null, s7, v31, vcc_lo
	v_add_co_u32 v112, vcc_lo, s6, v28
	v_add_co_ci_u32_e64 v113, null, s7, v29, vcc_lo
	s_clause 0x1
	global_load_dwordx4 v[28:31], v[96:97], off
	global_load_dwordx4 v[96:99], v[96:97], off offset:16
	v_fmac_f32_e32 v86, v6, v94
	v_fmac_f32_e32 v87, v0, v92
	global_load_dwordx4 v[4:7], v[112:113], off
	v_fmac_f32_e32 v1, v2, v93
	v_fmac_f32_e32 v117, v56, v91
	;; [unrolled: 1-line block ×5, first 2 shown]
	v_fma_f32 v84, -v3, v94, v1
	v_fmac_f32_e32 v88, v53, v91
	v_fma_f32 v57, -v57, v92, v117
	v_fmac_f32_e32 v87, v2, v94
	global_load_dwordx4 v[0:3], v[112:113], off offset:16
	v_fmac_f32_e32 v89, v56, v92
	v_fma_f32 v53, -v53, v92, v114
	v_fmac_f32_e32 v88, v52, v92
	v_fmac_f32_e32 v57, v58, v93
	v_add_co_u32 v81, vcc_lo, 0x1000, v81
	v_fmac_f32_e32 v89, v59, v93
	v_fmac_f32_e32 v53, v54, v93
	;; [unrolled: 1-line block ×3, first 2 shown]
	v_fma_f32 v52, -v59, v94, v57
	v_add_co_ci_u32_e64 v82, null, 0, v82, vcc_lo
	v_fmac_f32_e32 v89, v58, v94
	v_fma_f32 v53, -v55, v94, v53
	v_fmac_f32_e32 v88, v54, v94
	v_cmp_ge_i32_e32 vcc_lo, v83, v90
	s_or_b32 s8, vcc_lo, s8
	s_waitcnt vmcnt(3)
	v_fmac_f32_e32 v78, v64, v28
	v_fmac_f32_e32 v86, v65, v28
	v_fmac_f32_e32 v84, v60, v28
	v_fmac_f32_e32 v87, v61, v28
	v_fmac_f32_e32 v52, v48, v28
	v_fmac_f32_e32 v89, v49, v28
	v_fmac_f32_e32 v53, v24, v28
	v_fmac_f32_e32 v88, v25, v28
	v_fma_f32 v28, -v65, v29, v78
	v_fmac_f32_e32 v86, v64, v29
	v_fma_f32 v54, -v61, v29, v84
	v_fmac_f32_e32 v87, v60, v29
	v_fma_f32 v49, -v49, v29, v52
	v_fmac_f32_e32 v89, v48, v29
	v_fma_f32 v25, -v25, v29, v53
	v_fmac_f32_e32 v88, v24, v29
	v_fmac_f32_e32 v28, v66, v30
	v_fmac_f32_e32 v86, v67, v30
	v_fmac_f32_e32 v54, v62, v30
	v_fmac_f32_e32 v87, v63, v30
	v_fmac_f32_e32 v49, v50, v30
	v_fmac_f32_e32 v89, v51, v30
	v_fmac_f32_e32 v25, v26, v30
	v_fmac_f32_e32 v88, v27, v30
	v_fma_f32 v24, -v67, v31, v28
	v_fmac_f32_e32 v86, v66, v31
	v_fma_f32 v28, -v63, v31, v54
	v_fmac_f32_e32 v87, v62, v31
	v_fma_f32 v29, -v51, v31, v49
	v_fmac_f32_e32 v89, v50, v31
	v_fma_f32 v25, -v27, v31, v25
	v_fmac_f32_e32 v88, v26, v31
	s_waitcnt vmcnt(2)
	v_fmac_f32_e32 v24, v44, v96
	v_fmac_f32_e32 v86, v45, v96
	v_fmac_f32_e32 v28, v36, v96
	v_fmac_f32_e32 v87, v37, v96
	v_fmac_f32_e32 v29, v68, v96
	v_fmac_f32_e32 v89, v69, v96
	v_fmac_f32_e32 v25, v32, v96
	v_fmac_f32_e32 v88, v33, v96
	v_fma_f32 v24, -v45, v97, v24
	v_fmac_f32_e32 v86, v44, v97
	v_fma_f32 v26, -v37, v97, v28
	v_fmac_f32_e32 v87, v36, v97
	v_fma_f32 v27, -v69, v97, v29
	v_fmac_f32_e32 v89, v68, v97
	v_fma_f32 v25, -v33, v97, v25
	v_fmac_f32_e32 v88, v32, v97
	v_fmac_f32_e32 v24, v46, v98
	v_fmac_f32_e32 v86, v47, v98
	v_fmac_f32_e32 v26, v38, v98
	v_fmac_f32_e32 v87, v39, v98
	v_fmac_f32_e32 v27, v70, v98
	v_fmac_f32_e32 v89, v71, v98
	v_fmac_f32_e32 v25, v34, v98
	v_fmac_f32_e32 v88, v35, v98
	v_fma_f32 v24, -v47, v99, v24
	v_fmac_f32_e32 v86, v46, v99
	v_fma_f32 v26, -v39, v99, v26
	v_fmac_f32_e32 v87, v38, v99
	v_fma_f32 v27, -v71, v99, v27
	v_fmac_f32_e32 v89, v70, v99
	v_fma_f32 v25, -v35, v99, v25
	v_fmac_f32_e32 v88, v34, v99
	;; [unrolled: 33-line block ×4, first 2 shown]
	s_andn2_b32 exec_lo, exec_lo, s8
	s_cbranch_execnz .LBB11_19
; %bb.20:
	s_or_b32 exec_lo, exec_lo, s8
.LBB11_21:
	s_or_b32 exec_lo, exec_lo, s3
.LBB11_22:
	s_or_b32 exec_lo, exec_lo, s1
	s_cbranch_execz .LBB11_24
	s_branch .LBB11_35
.LBB11_23:
                                        ; implicit-def: $vgpr86
                                        ; implicit-def: $vgpr93
                                        ; implicit-def: $vgpr91
                                        ; implicit-def: $vgpr88
                                        ; implicit-def: $vgpr92
                                        ; implicit-def: $vgpr89
                                        ; implicit-def: $vgpr94
                                        ; implicit-def: $vgpr87
.LBB11_24:
	v_mov_b32_e32 v86, 0
	v_mov_b32_e32 v93, 0
	;; [unrolled: 1-line block ×8, first 2 shown]
	s_and_saveexec_b32 s1, s0
	s_cbranch_execz .LBB11_34
; %bb.25:
	v_add_nc_u32_e32 v0, v95, v85
	v_not_b32_e32 v1, v95
	v_mov_b32_e32 v87, 0
	v_mov_b32_e32 v94, 0
	;; [unrolled: 1-line block ×3, first 2 shown]
	v_subrev_nc_u32_e32 v0, s2, v0
	v_mov_b32_e32 v92, 0
	v_mov_b32_e32 v88, 0
	;; [unrolled: 1-line block ×4, first 2 shown]
	v_add_nc_u32_e32 v0, 8, v0
	v_mov_b32_e32 v86, 0
	s_mov_b32 s0, exec_lo
	v_max_i32_e32 v0, v0, v90
	v_add3_u32 v0, s2, v0, v1
	v_sub_nc_u32_e32 v0, v0, v85
	v_and_b32_e32 v1, 24, v0
	v_cmpx_ne_u32_e32 24, v1
	s_cbranch_execz .LBB11_29
; %bb.26:
	v_lshrrev_b32_e32 v1, 3, v0
	v_mov_b32_e32 v86, 0
	v_mov_b32_e32 v93, 0
	;; [unrolled: 1-line block ×4, first 2 shown]
	v_add_nc_u32_e32 v1, 1, v1
	v_mov_b32_e32 v92, 0
	v_mov_b32_e32 v89, 0
	;; [unrolled: 1-line block ×4, first 2 shown]
	v_and_b32_e32 v1, 3, v1
	s_mov_b32 s3, 0
	v_sub_nc_u32_e32 v1, 0, v1
.LBB11_27:                              ; =>This Inner Loop Header: Depth=1
	v_ashrrev_i32_e32 v78, 31, v77
	v_add_co_u32 v1, s8, v1, 1
	s_or_b32 s3, s8, s3
	v_lshlrev_b64 v[2:3], 2, v[77:78]
	v_add_nc_u32_e32 v77, 8, v77
	v_add_co_u32 v2, vcc_lo, s12, v2
	v_add_co_ci_u32_e64 v3, null, s13, v3, vcc_lo
	global_load_dword v14, v[2:3], off
	s_clause 0x2
	global_load_dwordx4 v[2:5], v[79:80], off offset:32
	global_load_dwordx4 v[6:9], v[79:80], off offset:16
	global_load_dwordx4 v[10:13], v[79:80], off
	s_waitcnt vmcnt(3)
	v_subrev_nc_u32_e32 v14, s2, v14
	v_lshlrev_b32_e32 v14, 2, v14
	v_ashrrev_i32_e32 v15, 31, v14
	v_lshlrev_b64 v[14:15], 3, v[14:15]
	v_add_co_u32 v18, vcc_lo, s6, v14
	v_add_co_ci_u32_e64 v19, null, s7, v15, vcc_lo
	s_clause 0x1
	global_load_dwordx4 v[14:17], v[18:19], off
	global_load_dwordx4 v[18:21], v[18:19], off offset:16
	s_clause 0x4
	global_load_dwordx4 v[22:25], v[79:80], off offset:48
	global_load_dwordx4 v[26:29], v[79:80], off offset:64
	;; [unrolled: 1-line block ×5, first 2 shown]
	v_add_co_u32 v79, vcc_lo, 0x400, v79
	v_add_co_ci_u32_e64 v80, null, 0, v80, vcc_lo
	s_waitcnt vmcnt(6)
	v_fmac_f32_e32 v93, v10, v14
	v_fmac_f32_e32 v86, v11, v14
	;; [unrolled: 1-line block ×8, first 2 shown]
	v_fma_f32 v11, -v11, v15, v93
	v_fmac_f32_e32 v86, v10, v15
	v_fma_f32 v10, -v13, v15, v94
	v_fmac_f32_e32 v87, v12, v15
	;; [unrolled: 2-line block ×4, first 2 shown]
	v_fmac_f32_e32 v11, v2, v16
	v_fmac_f32_e32 v86, v3, v16
	;; [unrolled: 1-line block ×4, first 2 shown]
	s_waitcnt vmcnt(4)
	v_fmac_f32_e32 v7, v22, v16
	v_fmac_f32_e32 v89, v23, v16
	;; [unrolled: 1-line block ×4, first 2 shown]
	v_fma_f32 v3, -v3, v17, v11
	v_fmac_f32_e32 v86, v2, v17
	v_fma_f32 v2, -v5, v17, v10
	v_fmac_f32_e32 v87, v4, v17
	v_fma_f32 v4, -v23, v17, v7
	v_fmac_f32_e32 v89, v22, v17
	v_fma_f32 v5, -v25, v17, v6
	v_fmac_f32_e32 v88, v24, v17
	s_waitcnt vmcnt(3)
	v_fmac_f32_e32 v3, v26, v18
	v_fmac_f32_e32 v86, v27, v18
	;; [unrolled: 1-line block ×4, first 2 shown]
	s_waitcnt vmcnt(2)
	v_fmac_f32_e32 v4, v30, v18
	v_fmac_f32_e32 v89, v31, v18
	;; [unrolled: 1-line block ×4, first 2 shown]
	v_fma_f32 v3, -v27, v19, v3
	v_fmac_f32_e32 v86, v26, v19
	v_fma_f32 v2, -v29, v19, v2
	v_fmac_f32_e32 v87, v28, v19
	;; [unrolled: 2-line block ×4, first 2 shown]
	s_waitcnt vmcnt(1)
	v_fmac_f32_e32 v3, v34, v20
	v_fmac_f32_e32 v86, v35, v20
	;; [unrolled: 1-line block ×4, first 2 shown]
	s_waitcnt vmcnt(0)
	v_fmac_f32_e32 v4, v38, v20
	v_fmac_f32_e32 v89, v39, v20
	;; [unrolled: 1-line block ×4, first 2 shown]
	v_fma_f32 v93, -v35, v21, v3
	v_fmac_f32_e32 v86, v34, v21
	v_fma_f32 v94, -v37, v21, v2
	v_fmac_f32_e32 v87, v36, v21
	;; [unrolled: 2-line block ×4, first 2 shown]
	s_andn2_b32 exec_lo, exec_lo, s3
	s_cbranch_execnz .LBB11_27
; %bb.28:
	s_or_b32 exec_lo, exec_lo, s3
.LBB11_29:
	s_or_b32 exec_lo, exec_lo, s0
	s_mov_b32 s0, exec_lo
	v_cmpx_lt_u32_e32 23, v0
	s_cbranch_execz .LBB11_33
; %bb.30:
	s_mov_b32 s3, 0
.LBB11_31:                              ; =>This Inner Loop Header: Depth=1
	v_ashrrev_i32_e32 v78, 31, v77
	v_add_co_u32 v95, vcc_lo, 0x800, v79
	v_add_co_ci_u32_e64 v96, null, 0, v80, vcc_lo
	v_lshlrev_b64 v[64:65], 2, v[77:78]
	s_clause 0xf
	global_load_dwordx4 v[12:15], v[79:80], off offset:48
	global_load_dwordx4 v[24:27], v[79:80], off offset:32
	;; [unrolled: 1-line block ×3, first 2 shown]
	global_load_dwordx4 v[32:35], v[79:80], off
	global_load_dwordx4 v[8:11], v[79:80], off offset:112
	global_load_dwordx4 v[20:23], v[79:80], off offset:96
	;; [unrolled: 1-line block ×12, first 2 shown]
	v_add_nc_u32_e32 v77, 32, v77
	v_add_co_u32 v64, vcc_lo, s12, v64
	v_add_co_ci_u32_e64 v65, null, s13, v65, vcc_lo
	s_clause 0x3
	global_load_dword v66, v[64:65], off
	global_load_dword v78, v[64:65], off offset:32
	global_load_dword v83, v[64:65], off offset:64
	;; [unrolled: 1-line block ×3, first 2 shown]
	s_waitcnt vmcnt(3)
	v_subrev_nc_u32_e32 v64, s2, v66
	v_lshlrev_b32_e32 v64, 2, v64
	v_ashrrev_i32_e32 v65, 31, v64
	v_lshlrev_b64 v[64:65], 3, v[64:65]
	v_add_co_u32 v68, vcc_lo, s6, v64
	v_add_co_ci_u32_e64 v69, null, s7, v65, vcc_lo
	s_clause 0x1
	global_load_dwordx4 v[64:67], v[68:69], off
	global_load_dwordx4 v[68:71], v[68:69], off offset:16
	s_waitcnt vmcnt(1)
	v_fmac_f32_e32 v92, v28, v64
	v_fmac_f32_e32 v93, v32, v64
	;; [unrolled: 1-line block ×8, first 2 shown]
	v_fma_f32 v64, -v29, v65, v92
	v_fma_f32 v81, -v33, v65, v93
	v_fmac_f32_e32 v86, v32, v65
	v_fma_f32 v82, -v35, v65, v94
	v_fmac_f32_e32 v87, v34, v65
	v_fmac_f32_e32 v64, v12, v66
	;; [unrolled: 1-line block ×3, first 2 shown]
	v_fma_f32 v91, -v31, v65, v91
	v_fmac_f32_e32 v88, v30, v65
	v_fmac_f32_e32 v81, v24, v66
	v_fma_f32 v94, -v13, v67, v64
	v_subrev_nc_u32_e32 v64, s2, v78
	v_fmac_f32_e32 v86, v25, v66
	v_fmac_f32_e32 v82, v26, v66
	;; [unrolled: 1-line block ×6, first 2 shown]
	v_lshlrev_b32_e32 v64, 2, v64
	v_fma_f32 v92, -v25, v67, v81
	v_fmac_f32_e32 v86, v24, v67
	v_fma_f32 v93, -v27, v67, v82
	v_fmac_f32_e32 v87, v26, v67
	v_fmac_f32_e32 v89, v12, v67
	v_fma_f32 v91, -v15, v67, v91
	v_fmac_f32_e32 v88, v14, v67
	v_ashrrev_i32_e32 v65, 31, v64
	s_waitcnt vmcnt(0)
	v_fmac_f32_e32 v92, v40, v68
	v_fmac_f32_e32 v86, v41, v68
	;; [unrolled: 1-line block ×8, first 2 shown]
	v_lshlrev_b64 v[64:65], 3, v[64:65]
	v_fma_f32 v78, -v41, v69, v92
	v_fmac_f32_e32 v86, v40, v69
	v_fma_f32 v92, -v43, v69, v93
	v_fmac_f32_e32 v87, v42, v69
	;; [unrolled: 2-line block ×4, first 2 shown]
	v_add_co_u32 v81, vcc_lo, s6, v64
	v_add_co_ci_u32_e64 v82, null, s7, v65, vcc_lo
	v_fmac_f32_e32 v78, v20, v70
	v_fmac_f32_e32 v86, v21, v70
	;; [unrolled: 1-line block ×8, first 2 shown]
	s_clause 0x6
	global_load_dwordx4 v[32:35], v[95:96], off
	global_load_dwordx4 v[12:15], v[95:96], off offset:16
	global_load_dwordx4 v[28:31], v[95:96], off offset:48
	;; [unrolled: 1-line block ×6, first 2 shown]
	v_fma_f32 v78, -v21, v71, v78
	v_fmac_f32_e32 v86, v20, v71
	v_fma_f32 v92, -v23, v71, v92
	v_fmac_f32_e32 v87, v22, v71
	global_load_dwordx4 v[20:23], v[95:96], off offset:64
	v_fma_f32 v93, -v9, v71, v68
	v_fmac_f32_e32 v89, v8, v71
	v_fma_f32 v91, -v11, v71, v91
	v_fmac_f32_e32 v88, v10, v71
	s_clause 0x1
	global_load_dwordx4 v[8:11], v[81:82], off
	global_load_dwordx4 v[68:71], v[81:82], off offset:16
	s_waitcnt vmcnt(1)
	v_fmac_f32_e32 v93, v44, v8
	v_fmac_f32_e32 v78, v48, v8
	;; [unrolled: 1-line block ×8, first 2 shown]
	v_fma_f32 v8, -v45, v9, v93
	v_fma_f32 v81, -v51, v9, v92
	;; [unrolled: 1-line block ×3, first 2 shown]
	v_fmac_f32_e32 v86, v48, v9
	v_fmac_f32_e32 v87, v50, v9
	;; [unrolled: 1-line block ×4, first 2 shown]
	v_fma_f32 v82, -v47, v9, v91
	v_fmac_f32_e32 v88, v46, v9
	v_subrev_nc_u32_e32 v9, s2, v84
	v_fma_f32 v92, -v5, v11, v8
	v_subrev_nc_u32_e32 v8, s2, v83
	v_fmac_f32_e32 v78, v16, v10
	v_fmac_f32_e32 v86, v17, v10
	;; [unrolled: 1-line block ×4, first 2 shown]
	v_lshlrev_b32_e32 v8, 2, v8
	v_fmac_f32_e32 v89, v5, v10
	v_fmac_f32_e32 v82, v6, v10
	;; [unrolled: 1-line block ×3, first 2 shown]
	v_lshlrev_b32_e32 v10, 2, v9
	v_ashrrev_i32_e32 v9, 31, v8
	v_fma_f32 v78, -v17, v11, v78
	v_fmac_f32_e32 v86, v16, v11
	v_fma_f32 v91, -v19, v11, v81
	v_fmac_f32_e32 v87, v18, v11
	v_lshlrev_b64 v[8:9], 3, v[8:9]
	v_fma_f32 v93, -v7, v11, v82
	s_waitcnt vmcnt(0)
	v_fmac_f32_e32 v78, v60, v68
	v_fmac_f32_e32 v86, v61, v68
	;; [unrolled: 1-line block ×4, first 2 shown]
	v_add_co_u32 v81, vcc_lo, s6, v8
	v_add_co_ci_u32_e64 v82, null, s7, v9, vcc_lo
	v_fma_f32 v78, -v61, v69, v78
	v_fmac_f32_e32 v86, v60, v69
	v_fma_f32 v91, -v63, v69, v91
	v_fmac_f32_e32 v87, v62, v69
	global_load_dwordx4 v[60:63], v[81:82], off
	v_fmac_f32_e32 v89, v4, v11
	v_fmac_f32_e32 v88, v6, v11
	;; [unrolled: 1-line block ×4, first 2 shown]
	v_ashrrev_i32_e32 v11, 31, v10
	v_fmac_f32_e32 v89, v57, v68
	v_fmac_f32_e32 v88, v59, v68
	v_fma_f32 v68, -v57, v69, v92
	v_fma_f32 v92, -v59, v69, v93
	v_lshlrev_b64 v[10:11], 3, v[10:11]
	v_fmac_f32_e32 v89, v56, v69
	v_fmac_f32_e32 v88, v58, v69
	global_load_dwordx4 v[56:59], v[81:82], off offset:16
	v_fmac_f32_e32 v78, v52, v70
	v_fmac_f32_e32 v86, v53, v70
	v_add_co_u32 v83, vcc_lo, s6, v10
	v_add_co_ci_u32_e64 v84, null, s7, v11, vcc_lo
	v_fmac_f32_e32 v91, v54, v70
	v_fmac_f32_e32 v87, v55, v70
	s_clause 0x1
	global_load_dwordx4 v[16:19], v[95:96], off offset:1040
	global_load_dwordx4 v[4:7], v[95:96], off offset:1024
	v_fma_f32 v78, -v53, v71, v78
	v_fmac_f32_e32 v86, v52, v71
	v_fma_f32 v91, -v55, v71, v91
	v_fmac_f32_e32 v87, v54, v71
	global_load_dwordx4 v[52:55], v[83:84], off
	s_clause 0x1
	global_load_dwordx4 v[48:51], v[95:96], off offset:1072
	global_load_dwordx4 v[44:47], v[95:96], off offset:1056
	v_fmac_f32_e32 v68, v0, v70
	v_fmac_f32_e32 v89, v1, v70
	;; [unrolled: 1-line block ×4, first 2 shown]
	global_load_dwordx4 v[8:11], v[95:96], off offset:1088
	v_fma_f32 v93, -v1, v71, v68
	v_fmac_f32_e32 v89, v0, v71
	v_fma_f32 v92, -v3, v71, v92
	v_fmac_f32_e32 v88, v2, v71
	s_clause 0x1
	global_load_dwordx4 v[0:3], v[95:96], off offset:1104
	global_load_dwordx4 v[68:71], v[95:96], off offset:1120
	;; [unrolled: 1-line block ×3, first 2 shown]
	v_add_co_u32 v79, vcc_lo, 0x1000, v79
	v_add_co_ci_u32_e64 v80, null, 0, v80, vcc_lo
	v_cmp_ge_i32_e32 vcc_lo, v77, v90
	s_or_b32 s3, vcc_lo, s3
	s_waitcnt vmcnt(10)
	v_fmac_f32_e32 v78, v32, v60
	v_fmac_f32_e32 v86, v33, v60
	;; [unrolled: 1-line block ×5, first 2 shown]
	v_fma_f32 v78, -v33, v61, v78
	v_fmac_f32_e32 v86, v32, v61
	v_fma_f32 v91, -v35, v61, v91
	v_fmac_f32_e32 v87, v34, v61
	global_load_dwordx4 v[32:35], v[95:96], off offset:1136
	v_fmac_f32_e32 v89, v13, v60
	v_fmac_f32_e32 v92, v14, v60
	;; [unrolled: 1-line block ×3, first 2 shown]
	v_fma_f32 v13, -v13, v61, v93
	v_fmac_f32_e32 v78, v24, v62
	v_fmac_f32_e32 v89, v12, v61
	v_fma_f32 v12, -v15, v61, v92
	v_fmac_f32_e32 v88, v14, v61
	v_fmac_f32_e32 v86, v25, v62
	;; [unrolled: 1-line block ×8, first 2 shown]
	v_fma_f32 v14, -v25, v63, v78
	v_fmac_f32_e32 v86, v24, v63
	v_fma_f32 v15, -v27, v63, v91
	v_fmac_f32_e32 v87, v26, v63
	;; [unrolled: 2-line block ×4, first 2 shown]
	s_waitcnt vmcnt(10)
	v_fmac_f32_e32 v14, v20, v56
	v_fmac_f32_e32 v86, v21, v56
	;; [unrolled: 1-line block ×8, first 2 shown]
	v_fma_f32 v14, -v21, v57, v14
	v_fmac_f32_e32 v86, v20, v57
	v_fma_f32 v15, -v23, v57, v15
	v_fmac_f32_e32 v87, v22, v57
	;; [unrolled: 2-line block ×4, first 2 shown]
	v_fmac_f32_e32 v14, v40, v58
	v_fmac_f32_e32 v86, v41, v58
	v_fmac_f32_e32 v15, v42, v58
	v_fmac_f32_e32 v87, v43, v58
	v_fmac_f32_e32 v13, v64, v58
	v_fmac_f32_e32 v89, v65, v58
	v_fmac_f32_e32 v12, v66, v58
	v_fmac_f32_e32 v88, v67, v58
	v_fma_f32 v14, -v41, v59, v14
	v_fmac_f32_e32 v86, v40, v59
	v_fma_f32 v15, -v43, v59, v15
	v_fmac_f32_e32 v87, v42, v59
	v_fma_f32 v13, -v65, v59, v13
	v_fmac_f32_e32 v89, v64, v59
	v_fma_f32 v12, -v67, v59, v12
	v_fmac_f32_e32 v88, v66, v59
	s_waitcnt vmcnt(7)
	v_fmac_f32_e32 v14, v4, v52
	v_fmac_f32_e32 v86, v5, v52
	v_fmac_f32_e32 v15, v6, v52
	v_fmac_f32_e32 v87, v7, v52
	v_fmac_f32_e32 v13, v16, v52
	v_fmac_f32_e32 v89, v17, v52
	v_fmac_f32_e32 v12, v18, v52
	v_fmac_f32_e32 v88, v19, v52
	v_fma_f32 v5, -v5, v53, v14
	v_fmac_f32_e32 v86, v4, v53
	v_fma_f32 v4, -v7, v53, v15
	v_fmac_f32_e32 v87, v6, v53
	v_fma_f32 v6, -v17, v53, v13
	v_fmac_f32_e32 v89, v16, v53
	v_fma_f32 v7, -v19, v53, v12
	v_fmac_f32_e32 v88, v18, v53
	s_waitcnt vmcnt(5)
	;; [unrolled: 17-line block ×3, first 2 shown]
	v_fmac_f32_e32 v5, v8, v81
	v_fmac_f32_e32 v86, v9, v81
	v_fmac_f32_e32 v4, v10, v81
	v_fmac_f32_e32 v87, v11, v81
	v_fmac_f32_e32 v6, v0, v81
	v_fmac_f32_e32 v89, v1, v81
	v_fmac_f32_e32 v7, v2, v81
	v_fmac_f32_e32 v88, v3, v81
	v_fma_f32 v5, -v9, v82, v5
	v_fmac_f32_e32 v86, v8, v82
	v_fma_f32 v4, -v11, v82, v4
	v_fmac_f32_e32 v87, v10, v82
	v_fma_f32 v1, -v1, v82, v6
	v_fmac_f32_e32 v89, v0, v82
	v_fma_f32 v0, -v3, v82, v7
	v_fmac_f32_e32 v88, v2, v82
	v_fmac_f32_e32 v5, v68, v83
	v_fmac_f32_e32 v86, v69, v83
	;; [unrolled: 1-line block ×4, first 2 shown]
	v_fma_f32 v93, -v69, v84, v5
	v_fmac_f32_e32 v86, v68, v84
	v_fma_f32 v94, -v71, v84, v4
	v_fmac_f32_e32 v87, v70, v84
	s_waitcnt vmcnt(0)
	v_fmac_f32_e32 v1, v32, v83
	v_fmac_f32_e32 v89, v33, v83
	;; [unrolled: 1-line block ×4, first 2 shown]
	v_fma_f32 v92, -v33, v84, v1
	v_fmac_f32_e32 v89, v32, v84
	v_fma_f32 v91, -v35, v84, v0
	v_fmac_f32_e32 v88, v34, v84
	s_andn2_b32 exec_lo, exec_lo, s3
	s_cbranch_execnz .LBB11_31
; %bb.32:
	s_or_b32 exec_lo, exec_lo, s3
.LBB11_33:
	s_or_b32 exec_lo, exec_lo, s0
.LBB11_34:
	s_or_b32 exec_lo, exec_lo, s1
.LBB11_35:
	v_mbcnt_lo_u32_b32 v0, -1, 0
	v_xor_b32_e32 v1, 4, v0
	v_xor_b32_e32 v9, 2, v0
	;; [unrolled: 1-line block ×3, first 2 shown]
	v_cmp_gt_i32_e32 vcc_lo, 32, v1
	v_cndmask_b32_e32 v1, v0, v1, vcc_lo
	v_cmp_gt_i32_e32 vcc_lo, 32, v9
	v_lshlrev_b32_e32 v1, 2, v1
	v_cndmask_b32_e32 v9, v0, v9, vcc_lo
	v_cmp_gt_i32_e32 vcc_lo, 32, v17
	ds_bpermute_b32 v2, v1, v93
	ds_bpermute_b32 v3, v1, v86
	;; [unrolled: 1-line block ×8, first 2 shown]
	v_lshlrev_b32_e32 v9, 2, v9
	v_cndmask_b32_e32 v0, v0, v17, vcc_lo
	v_cmp_eq_u32_e32 vcc_lo, 7, v85
	v_lshlrev_b32_e32 v17, 2, v0
	s_waitcnt lgkmcnt(7)
	v_add_f32_e32 v2, v93, v2
	s_waitcnt lgkmcnt(6)
	v_add_f32_e32 v3, v86, v3
	s_waitcnt lgkmcnt(5)
	v_add_f32_e32 v4, v94, v4
	s_waitcnt lgkmcnt(4)
	v_add_f32_e32 v5, v87, v5
	s_waitcnt lgkmcnt(3)
	v_add_f32_e32 v6, v92, v6
	s_waitcnt lgkmcnt(2)
	v_add_f32_e32 v7, v89, v7
	s_waitcnt lgkmcnt(1)
	v_add_f32_e32 v8, v91, v8
	s_waitcnt lgkmcnt(0)
	v_add_f32_e32 v10, v88, v1
	ds_bpermute_b32 v1, v9, v2
	ds_bpermute_b32 v11, v9, v3
	;; [unrolled: 1-line block ×8, first 2 shown]
	s_waitcnt lgkmcnt(7)
	v_add_f32_e32 v0, v2, v1
	s_waitcnt lgkmcnt(6)
	v_add_f32_e32 v1, v3, v11
	;; [unrolled: 2-line block ×8, first 2 shown]
	ds_bpermute_b32 v8, v17, v0
	ds_bpermute_b32 v9, v17, v1
	;; [unrolled: 1-line block ×8, first 2 shown]
	s_and_b32 exec_lo, exec_lo, vcc_lo
	s_cbranch_execz .LBB11_8
; %bb.36:
	s_load_dwordx2 s[2:3], s[4:5], 0x50
	s_waitcnt lgkmcnt(0)
	v_add_f32_e32 v8, v0, v8
	v_add_f32_e32 v0, v1, v9
	;; [unrolled: 1-line block ×8, first 2 shown]
	v_mul_f32_e64 v4, v0, -v75
	v_mul_f32_e32 v5, v74, v0
	v_mul_f32_e64 v6, v1, -v75
	v_mul_f32_e32 v7, v74, v1
	;; [unrolled: 2-line block ×4, first 2 shown]
	v_cmp_eq_f32_e32 vcc_lo, 0, v72
	v_cmp_eq_f32_e64 s0, 0, v73
	v_fmac_f32_e32 v4, v74, v8
	v_fmac_f32_e32 v5, v75, v8
	v_lshlrev_b32_e32 v8, 2, v76
	v_fmac_f32_e32 v6, v74, v9
	v_fmac_f32_e32 v7, v75, v9
	v_fmac_f32_e32 v0, v74, v10
	v_fmac_f32_e32 v1, v75, v10
	v_fmac_f32_e32 v2, v74, v11
	v_fmac_f32_e32 v3, v75, v11
	s_and_b32 s0, vcc_lo, s0
	s_and_saveexec_b32 s1, s0
	s_xor_b32 s0, exec_lo, s1
	s_cbranch_execz .LBB11_38
; %bb.37:
	v_ashrrev_i32_e32 v9, 31, v8
                                        ; implicit-def: $vgpr72_vgpr73
	v_lshlrev_b64 v[8:9], 3, v[8:9]
	v_add_co_u32 v8, vcc_lo, s2, v8
	v_add_co_ci_u32_e64 v9, null, s3, v9, vcc_lo
	global_store_dwordx4 v[8:9], v[4:7], off
	global_store_dwordx4 v[8:9], v[0:3], off offset:16
                                        ; implicit-def: $vgpr4
                                        ; implicit-def: $vgpr8
                                        ; implicit-def: $vgpr0
.LBB11_38:
	s_andn2_saveexec_b32 s0, s0
	s_cbranch_execz .LBB11_8
; %bb.39:
	v_ashrrev_i32_e32 v9, 31, v8
	v_lshlrev_b64 v[8:9], 3, v[8:9]
	v_add_co_u32 v16, vcc_lo, s2, v8
	v_add_co_ci_u32_e64 v17, null, s3, v9, vcc_lo
	s_clause 0x1
	global_load_dwordx4 v[8:11], v[16:17], off
	global_load_dwordx4 v[12:15], v[16:17], off offset:16
	s_waitcnt vmcnt(1)
	v_fmac_f32_e32 v4, v72, v8
	v_fmac_f32_e32 v5, v73, v8
	;; [unrolled: 1-line block ×4, first 2 shown]
	s_waitcnt vmcnt(0)
	v_fmac_f32_e32 v0, v72, v12
	v_fmac_f32_e32 v1, v73, v12
	;; [unrolled: 1-line block ×4, first 2 shown]
	v_fma_f32 v4, -v73, v9, v4
	v_fmac_f32_e32 v5, v72, v9
	v_fma_f32 v6, -v73, v11, v6
	v_fmac_f32_e32 v7, v72, v11
	;; [unrolled: 2-line block ×4, first 2 shown]
	global_store_dwordx4 v[16:17], v[4:7], off
	global_store_dwordx4 v[16:17], v[0:3], off offset:16
	s_endpgm
	.section	.rodata,"a",@progbits
	.p2align	6, 0x0
	.amdhsa_kernel _ZN9rocsparseL18bsrxmvn_4x4_kernelILj128ELj8E21rocsparse_complex_numIfEiiS2_S2_S2_EEvT3_20rocsparse_direction_NS_24const_host_device_scalarIT1_EES3_PKS3_PKT2_SC_S9_PKT4_PKT5_S7_PT6_21rocsparse_index_base_b
		.amdhsa_group_segment_fixed_size 0
		.amdhsa_private_segment_fixed_size 0
		.amdhsa_kernarg_size 96
		.amdhsa_user_sgpr_count 6
		.amdhsa_user_sgpr_private_segment_buffer 1
		.amdhsa_user_sgpr_dispatch_ptr 0
		.amdhsa_user_sgpr_queue_ptr 0
		.amdhsa_user_sgpr_kernarg_segment_ptr 1
		.amdhsa_user_sgpr_dispatch_id 0
		.amdhsa_user_sgpr_flat_scratch_init 0
		.amdhsa_user_sgpr_private_segment_size 0
		.amdhsa_wavefront_size32 1
		.amdhsa_uses_dynamic_stack 0
		.amdhsa_system_sgpr_private_segment_wavefront_offset 0
		.amdhsa_system_sgpr_workgroup_id_x 1
		.amdhsa_system_sgpr_workgroup_id_y 0
		.amdhsa_system_sgpr_workgroup_id_z 0
		.amdhsa_system_sgpr_workgroup_info 0
		.amdhsa_system_vgpr_workitem_id 0
		.amdhsa_next_free_vgpr 118
		.amdhsa_next_free_sgpr 16
		.amdhsa_reserve_vcc 1
		.amdhsa_reserve_flat_scratch 0
		.amdhsa_float_round_mode_32 0
		.amdhsa_float_round_mode_16_64 0
		.amdhsa_float_denorm_mode_32 3
		.amdhsa_float_denorm_mode_16_64 3
		.amdhsa_dx10_clamp 1
		.amdhsa_ieee_mode 1
		.amdhsa_fp16_overflow 0
		.amdhsa_workgroup_processor_mode 1
		.amdhsa_memory_ordered 1
		.amdhsa_forward_progress 1
		.amdhsa_shared_vgpr_count 0
		.amdhsa_exception_fp_ieee_invalid_op 0
		.amdhsa_exception_fp_denorm_src 0
		.amdhsa_exception_fp_ieee_div_zero 0
		.amdhsa_exception_fp_ieee_overflow 0
		.amdhsa_exception_fp_ieee_underflow 0
		.amdhsa_exception_fp_ieee_inexact 0
		.amdhsa_exception_int_div_zero 0
	.end_amdhsa_kernel
	.section	.text._ZN9rocsparseL18bsrxmvn_4x4_kernelILj128ELj8E21rocsparse_complex_numIfEiiS2_S2_S2_EEvT3_20rocsparse_direction_NS_24const_host_device_scalarIT1_EES3_PKS3_PKT2_SC_S9_PKT4_PKT5_S7_PT6_21rocsparse_index_base_b,"axG",@progbits,_ZN9rocsparseL18bsrxmvn_4x4_kernelILj128ELj8E21rocsparse_complex_numIfEiiS2_S2_S2_EEvT3_20rocsparse_direction_NS_24const_host_device_scalarIT1_EES3_PKS3_PKT2_SC_S9_PKT4_PKT5_S7_PT6_21rocsparse_index_base_b,comdat
.Lfunc_end11:
	.size	_ZN9rocsparseL18bsrxmvn_4x4_kernelILj128ELj8E21rocsparse_complex_numIfEiiS2_S2_S2_EEvT3_20rocsparse_direction_NS_24const_host_device_scalarIT1_EES3_PKS3_PKT2_SC_S9_PKT4_PKT5_S7_PT6_21rocsparse_index_base_b, .Lfunc_end11-_ZN9rocsparseL18bsrxmvn_4x4_kernelILj128ELj8E21rocsparse_complex_numIfEiiS2_S2_S2_EEvT3_20rocsparse_direction_NS_24const_host_device_scalarIT1_EES3_PKS3_PKT2_SC_S9_PKT4_PKT5_S7_PT6_21rocsparse_index_base_b
                                        ; -- End function
	.set _ZN9rocsparseL18bsrxmvn_4x4_kernelILj128ELj8E21rocsparse_complex_numIfEiiS2_S2_S2_EEvT3_20rocsparse_direction_NS_24const_host_device_scalarIT1_EES3_PKS3_PKT2_SC_S9_PKT4_PKT5_S7_PT6_21rocsparse_index_base_b.num_vgpr, 118
	.set _ZN9rocsparseL18bsrxmvn_4x4_kernelILj128ELj8E21rocsparse_complex_numIfEiiS2_S2_S2_EEvT3_20rocsparse_direction_NS_24const_host_device_scalarIT1_EES3_PKS3_PKT2_SC_S9_PKT4_PKT5_S7_PT6_21rocsparse_index_base_b.num_agpr, 0
	.set _ZN9rocsparseL18bsrxmvn_4x4_kernelILj128ELj8E21rocsparse_complex_numIfEiiS2_S2_S2_EEvT3_20rocsparse_direction_NS_24const_host_device_scalarIT1_EES3_PKS3_PKT2_SC_S9_PKT4_PKT5_S7_PT6_21rocsparse_index_base_b.numbered_sgpr, 16
	.set _ZN9rocsparseL18bsrxmvn_4x4_kernelILj128ELj8E21rocsparse_complex_numIfEiiS2_S2_S2_EEvT3_20rocsparse_direction_NS_24const_host_device_scalarIT1_EES3_PKS3_PKT2_SC_S9_PKT4_PKT5_S7_PT6_21rocsparse_index_base_b.num_named_barrier, 0
	.set _ZN9rocsparseL18bsrxmvn_4x4_kernelILj128ELj8E21rocsparse_complex_numIfEiiS2_S2_S2_EEvT3_20rocsparse_direction_NS_24const_host_device_scalarIT1_EES3_PKS3_PKT2_SC_S9_PKT4_PKT5_S7_PT6_21rocsparse_index_base_b.private_seg_size, 0
	.set _ZN9rocsparseL18bsrxmvn_4x4_kernelILj128ELj8E21rocsparse_complex_numIfEiiS2_S2_S2_EEvT3_20rocsparse_direction_NS_24const_host_device_scalarIT1_EES3_PKS3_PKT2_SC_S9_PKT4_PKT5_S7_PT6_21rocsparse_index_base_b.uses_vcc, 1
	.set _ZN9rocsparseL18bsrxmvn_4x4_kernelILj128ELj8E21rocsparse_complex_numIfEiiS2_S2_S2_EEvT3_20rocsparse_direction_NS_24const_host_device_scalarIT1_EES3_PKS3_PKT2_SC_S9_PKT4_PKT5_S7_PT6_21rocsparse_index_base_b.uses_flat_scratch, 0
	.set _ZN9rocsparseL18bsrxmvn_4x4_kernelILj128ELj8E21rocsparse_complex_numIfEiiS2_S2_S2_EEvT3_20rocsparse_direction_NS_24const_host_device_scalarIT1_EES3_PKS3_PKT2_SC_S9_PKT4_PKT5_S7_PT6_21rocsparse_index_base_b.has_dyn_sized_stack, 0
	.set _ZN9rocsparseL18bsrxmvn_4x4_kernelILj128ELj8E21rocsparse_complex_numIfEiiS2_S2_S2_EEvT3_20rocsparse_direction_NS_24const_host_device_scalarIT1_EES3_PKS3_PKT2_SC_S9_PKT4_PKT5_S7_PT6_21rocsparse_index_base_b.has_recursion, 0
	.set _ZN9rocsparseL18bsrxmvn_4x4_kernelILj128ELj8E21rocsparse_complex_numIfEiiS2_S2_S2_EEvT3_20rocsparse_direction_NS_24const_host_device_scalarIT1_EES3_PKS3_PKT2_SC_S9_PKT4_PKT5_S7_PT6_21rocsparse_index_base_b.has_indirect_call, 0
	.section	.AMDGPU.csdata,"",@progbits
; Kernel info:
; codeLenInByte = 6704
; TotalNumSgprs: 18
; NumVgprs: 118
; ScratchSize: 0
; MemoryBound: 0
; FloatMode: 240
; IeeeMode: 1
; LDSByteSize: 0 bytes/workgroup (compile time only)
; SGPRBlocks: 0
; VGPRBlocks: 14
; NumSGPRsForWavesPerEU: 18
; NumVGPRsForWavesPerEU: 118
; Occupancy: 8
; WaveLimiterHint : 1
; COMPUTE_PGM_RSRC2:SCRATCH_EN: 0
; COMPUTE_PGM_RSRC2:USER_SGPR: 6
; COMPUTE_PGM_RSRC2:TRAP_HANDLER: 0
; COMPUTE_PGM_RSRC2:TGID_X_EN: 1
; COMPUTE_PGM_RSRC2:TGID_Y_EN: 0
; COMPUTE_PGM_RSRC2:TGID_Z_EN: 0
; COMPUTE_PGM_RSRC2:TIDIG_COMP_CNT: 0
	.section	.text._ZN9rocsparseL18bsrxmvn_4x4_kernelILj128ELj16E21rocsparse_complex_numIfEiiS2_S2_S2_EEvT3_20rocsparse_direction_NS_24const_host_device_scalarIT1_EES3_PKS3_PKT2_SC_S9_PKT4_PKT5_S7_PT6_21rocsparse_index_base_b,"axG",@progbits,_ZN9rocsparseL18bsrxmvn_4x4_kernelILj128ELj16E21rocsparse_complex_numIfEiiS2_S2_S2_EEvT3_20rocsparse_direction_NS_24const_host_device_scalarIT1_EES3_PKS3_PKT2_SC_S9_PKT4_PKT5_S7_PT6_21rocsparse_index_base_b,comdat
	.globl	_ZN9rocsparseL18bsrxmvn_4x4_kernelILj128ELj16E21rocsparse_complex_numIfEiiS2_S2_S2_EEvT3_20rocsparse_direction_NS_24const_host_device_scalarIT1_EES3_PKS3_PKT2_SC_S9_PKT4_PKT5_S7_PT6_21rocsparse_index_base_b ; -- Begin function _ZN9rocsparseL18bsrxmvn_4x4_kernelILj128ELj16E21rocsparse_complex_numIfEiiS2_S2_S2_EEvT3_20rocsparse_direction_NS_24const_host_device_scalarIT1_EES3_PKS3_PKT2_SC_S9_PKT4_PKT5_S7_PT6_21rocsparse_index_base_b
	.p2align	8
	.type	_ZN9rocsparseL18bsrxmvn_4x4_kernelILj128ELj16E21rocsparse_complex_numIfEiiS2_S2_S2_EEvT3_20rocsparse_direction_NS_24const_host_device_scalarIT1_EES3_PKS3_PKT2_SC_S9_PKT4_PKT5_S7_PT6_21rocsparse_index_base_b,@function
_ZN9rocsparseL18bsrxmvn_4x4_kernelILj128ELj16E21rocsparse_complex_numIfEiiS2_S2_S2_EEvT3_20rocsparse_direction_NS_24const_host_device_scalarIT1_EES3_PKS3_PKT2_SC_S9_PKT4_PKT5_S7_PT6_21rocsparse_index_base_b: ; @_ZN9rocsparseL18bsrxmvn_4x4_kernelILj128ELj16E21rocsparse_complex_numIfEiiS2_S2_S2_EEvT3_20rocsparse_direction_NS_24const_host_device_scalarIT1_EES3_PKS3_PKT2_SC_S9_PKT4_PKT5_S7_PT6_21rocsparse_index_base_b
; %bb.0:
	s_clause 0x2
	s_load_dwordx2 s[2:3], s[4:5], 0x58
	s_load_dwordx2 s[0:1], s[4:5], 0x8
	;; [unrolled: 1-line block ×3, first 2 shown]
	s_add_u32 s7, s4, 8
	s_addc_u32 s10, s5, 0
	s_add_u32 s11, s4, 0x48
	s_addc_u32 s12, s5, 0
	s_waitcnt lgkmcnt(0)
	s_bitcmp1_b32 s3, 0
	s_cselect_b32 s0, s7, s0
	s_cselect_b32 s1, s10, s1
	v_mov_b32_e32 v1, s0
	v_mov_b32_e32 v2, s1
	s_cselect_b32 s0, s11, s8
	s_cselect_b32 s1, s12, s9
	flat_load_dwordx2 v[66:67], v[1:2]
	v_mov_b32_e32 v1, s0
	v_mov_b32_e32 v2, s1
	flat_load_dwordx2 v[64:65], v[1:2]
	s_waitcnt vmcnt(1) lgkmcnt(1)
	v_cmp_eq_f32_e32 vcc_lo, 0, v66
	v_cmp_eq_f32_e64 s0, 0, v67
	s_and_b32 s3, vcc_lo, s0
	s_mov_b32 s0, -1
	s_and_saveexec_b32 s1, s3
	s_cbranch_execz .LBB12_2
; %bb.1:
	s_waitcnt vmcnt(0) lgkmcnt(0)
	v_cmp_neq_f32_e32 vcc_lo, 1.0, v64
	v_cmp_neq_f32_e64 s0, 0, v65
	s_or_b32 s0, vcc_lo, s0
	s_orn2_b32 s0, s0, exec_lo
.LBB12_2:
	s_or_b32 exec_lo, exec_lo, s1
	s_and_saveexec_b32 s1, s0
	s_cbranch_execz .LBB12_8
; %bb.3:
	s_clause 0x1
	s_load_dwordx2 s[8:9], s[4:5], 0x18
	s_load_dwordx2 s[0:1], s[4:5], 0x0
	v_lshrrev_b32_e32 v1, 4, v0
	v_lshl_or_b32 v68, s6, 3, v1
	s_waitcnt lgkmcnt(0)
	s_cmp_lg_u64 s[8:9], 0
	s_cbranch_scc0 .LBB12_9
; %bb.4:
	s_load_dword s3, s[4:5], 0x10
	s_mov_b32 s6, 0
                                        ; implicit-def: $vgpr1
	s_waitcnt lgkmcnt(0)
	v_cmp_gt_i32_e32 vcc_lo, s3, v68
	s_mov_b32 s3, 0
	s_and_saveexec_b32 s7, vcc_lo
	s_xor_b32 s7, exec_lo, s7
	s_cbranch_execz .LBB12_6
; %bb.5:
	v_ashrrev_i32_e32 v69, 31, v68
	s_mov_b32 s3, exec_lo
	v_lshlrev_b64 v[1:2], 2, v[68:69]
	v_add_co_u32 v1, vcc_lo, s8, v1
	v_add_co_ci_u32_e64 v2, null, s9, v2, vcc_lo
	global_load_dword v1, v[1:2], off
	s_waitcnt vmcnt(0)
	v_subrev_nc_u32_e32 v1, s2, v1
.LBB12_6:
	s_or_b32 exec_lo, exec_lo, s7
	s_and_b32 vcc_lo, exec_lo, s6
	s_cbranch_vccz .LBB12_10
.LBB12_7:
	v_cmp_gt_i32_e32 vcc_lo, s0, v68
	s_andn2_b32 s0, s3, exec_lo
	s_and_b32 s3, vcc_lo, exec_lo
	s_or_b32 s3, s0, s3
	s_and_b32 exec_lo, exec_lo, s3
	s_cbranch_execnz .LBB12_11
.LBB12_8:
	s_endpgm
.LBB12_9:
	s_mov_b32 s3, 0
                                        ; implicit-def: $vgpr1
	s_cbranch_execnz .LBB12_7
.LBB12_10:
	v_mov_b32_e32 v68, v1
	s_and_b32 exec_lo, exec_lo, s3
	s_cbranch_execz .LBB12_8
.LBB12_11:
	s_load_dwordx8 s[8:15], s[4:5], 0x20
	v_ashrrev_i32_e32 v69, 31, v68
	v_and_b32_e32 v77, 15, v0
	s_load_dwordx2 s[6:7], s[4:5], 0x40
	v_lshlrev_b64 v[1:2], 2, v[68:69]
	s_waitcnt lgkmcnt(0)
	v_add_co_u32 v3, vcc_lo, s8, v1
	v_add_co_ci_u32_e64 v4, null, s9, v2, vcc_lo
	v_add_co_u32 v1, vcc_lo, s10, v1
	v_add_co_ci_u32_e64 v2, null, s11, v2, vcc_lo
	global_load_dword v87, v[3:4], off
	v_add_co_u32 v3, vcc_lo, v3, 4
	v_add_co_ci_u32_e64 v4, null, 0, v4, vcc_lo
	s_cmp_eq_u64 s[10:11], 0
	s_cselect_b32 vcc_lo, -1, 0
	s_cmp_eq_u32 s1, 1
	v_cndmask_b32_e32 v2, v2, v4, vcc_lo
	v_cndmask_b32_e32 v1, v1, v3, vcc_lo
	global_load_dword v2, v[1:2], off
	s_waitcnt vmcnt(1)
	v_subrev_nc_u32_e32 v0, s2, v87
	v_add_nc_u32_e32 v69, v0, v77
	v_ashrrev_i32_e32 v70, 31, v69
	s_waitcnt vmcnt(0)
	v_subrev_nc_u32_e32 v82, s2, v2
	v_lshlrev_b64 v[0:1], 7, v[69:70]
	v_cmp_lt_i32_e64 s0, v69, v82
	v_add_co_u32 v71, vcc_lo, s14, v0
	v_add_co_ci_u32_e64 v72, null, s15, v1, vcc_lo
	s_cbranch_scc1 .LBB12_23
; %bb.12:
	v_mov_b32_e32 v78, 0
	v_mov_b32_e32 v85, 0
	;; [unrolled: 1-line block ×8, first 2 shown]
	s_and_saveexec_b32 s1, s0
	s_cbranch_execz .LBB12_22
; %bb.13:
	v_add_nc_u32_e32 v0, v87, v77
	v_not_b32_e32 v1, v87
	v_mov_b32_e32 v74, v72
	v_mov_b32_e32 v79, 0
	;; [unrolled: 1-line block ×3, first 2 shown]
	v_subrev_nc_u32_e32 v0, s2, v0
	v_mov_b32_e32 v81, 0
	v_mov_b32_e32 v84, 0
	;; [unrolled: 1-line block ×4, first 2 shown]
	v_add_nc_u32_e32 v0, 16, v0
	v_mov_b32_e32 v85, 0
	v_mov_b32_e32 v78, 0
	;; [unrolled: 1-line block ×4, first 2 shown]
	v_max_i32_e32 v0, v0, v82
	s_mov_b32 s3, exec_lo
	v_add3_u32 v0, s2, v0, v1
	v_sub_nc_u32_e32 v0, v0, v77
	v_and_b32_e32 v1, 48, v0
	v_cmpx_ne_u32_e32 48, v1
	s_cbranch_execz .LBB12_17
; %bb.14:
	v_lshrrev_b32_e32 v1, 4, v0
	v_mov_b32_e32 v74, v72
	v_mov_b32_e32 v78, 0
	;; [unrolled: 1-line block ×4, first 2 shown]
	v_add_nc_u32_e32 v1, 1, v1
	v_mov_b32_e32 v85, 0
	v_mov_b32_e32 v83, 0
	;; [unrolled: 1-line block ×4, first 2 shown]
	v_and_b32_e32 v1, 3, v1
	v_mov_b32_e32 v81, 0
	v_mov_b32_e32 v86, 0
	;; [unrolled: 1-line block ×3, first 2 shown]
	s_mov_b32 s8, 0
	v_sub_nc_u32_e32 v1, 0, v1
.LBB12_15:                              ; =>This Inner Loop Header: Depth=1
	v_ashrrev_i32_e32 v76, 31, v75
	v_add_co_u32 v1, s9, v1, 1
	s_or_b32 s8, s9, s8
	v_lshlrev_b64 v[2:3], 2, v[75:76]
	v_add_nc_u32_e32 v75, 16, v75
	v_add_co_u32 v2, vcc_lo, s12, v2
	v_add_co_ci_u32_e64 v3, null, s13, v3, vcc_lo
	global_load_dword v34, v[2:3], off
	s_clause 0x7
	global_load_dwordx4 v[2:5], v[73:74], off offset:48
	global_load_dwordx4 v[6:9], v[73:74], off offset:32
	;; [unrolled: 1-line block ×3, first 2 shown]
	global_load_dwordx4 v[14:17], v[73:74], off
	global_load_dwordx4 v[18:21], v[73:74], off offset:112
	global_load_dwordx4 v[22:25], v[73:74], off offset:96
	;; [unrolled: 1-line block ×4, first 2 shown]
	s_waitcnt vmcnt(8)
	v_subrev_nc_u32_e32 v34, s2, v34
	v_lshlrev_b32_e32 v34, 2, v34
	v_ashrrev_i32_e32 v35, 31, v34
	v_lshlrev_b64 v[34:35], 3, v[34:35]
	v_add_co_u32 v38, vcc_lo, s6, v34
	v_add_co_ci_u32_e64 v39, null, s7, v35, vcc_lo
	v_add_co_u32 v73, vcc_lo, 0x800, v73
	v_add_co_ci_u32_e64 v74, null, 0, v74, vcc_lo
	s_clause 0x1
	global_load_dwordx4 v[34:37], v[38:39], off
	global_load_dwordx4 v[38:41], v[38:39], off offset:16
	s_waitcnt vmcnt(1)
	v_fmac_f32_e32 v85, v14, v34
	v_fmac_f32_e32 v78, v15, v34
	;; [unrolled: 1-line block ×8, first 2 shown]
	v_fma_f32 v15, -v15, v35, v85
	v_fmac_f32_e32 v78, v14, v35
	v_fma_f32 v7, -v7, v35, v86
	v_fmac_f32_e32 v79, v6, v35
	;; [unrolled: 2-line block ×4, first 2 shown]
	v_fmac_f32_e32 v15, v16, v36
	v_fmac_f32_e32 v78, v17, v36
	v_fmac_f32_e32 v7, v8, v36
	v_fmac_f32_e32 v79, v9, v36
	v_fmac_f32_e32 v6, v32, v36
	v_fmac_f32_e32 v81, v33, v36
	v_fmac_f32_e32 v14, v24, v36
	v_fmac_f32_e32 v80, v25, v36
	v_fma_f32 v15, -v17, v37, v15
	v_fmac_f32_e32 v78, v16, v37
	v_fma_f32 v7, -v9, v37, v7
	v_fmac_f32_e32 v79, v8, v37
	;; [unrolled: 2-line block ×4, first 2 shown]
	s_waitcnt vmcnt(0)
	v_fmac_f32_e32 v15, v10, v38
	v_fmac_f32_e32 v78, v11, v38
	;; [unrolled: 1-line block ×8, first 2 shown]
	v_fma_f32 v9, -v11, v39, v15
	v_fmac_f32_e32 v78, v10, v39
	v_fma_f32 v3, -v3, v39, v7
	v_fmac_f32_e32 v79, v2, v39
	;; [unrolled: 2-line block ×4, first 2 shown]
	v_fmac_f32_e32 v9, v12, v40
	v_fmac_f32_e32 v78, v13, v40
	;; [unrolled: 1-line block ×8, first 2 shown]
	v_fma_f32 v85, -v13, v41, v9
	v_fmac_f32_e32 v78, v12, v41
	v_fma_f32 v86, -v5, v41, v3
	v_fmac_f32_e32 v79, v4, v41
	;; [unrolled: 2-line block ×4, first 2 shown]
	s_andn2_b32 exec_lo, exec_lo, s8
	s_cbranch_execnz .LBB12_15
; %bb.16:
	s_or_b32 exec_lo, exec_lo, s8
.LBB12_17:
	s_or_b32 exec_lo, exec_lo, s3
	s_mov_b32 s3, exec_lo
	v_cmpx_lt_u32_e32 47, v0
	s_cbranch_execz .LBB12_21
; %bb.18:
	s_mov_b32 s8, 0
.LBB12_19:                              ; =>This Inner Loop Header: Depth=1
	v_ashrrev_i32_e32 v76, 31, v75
	v_add_co_u32 v32, vcc_lo, 0x800, v73
	v_add_co_ci_u32_e64 v33, null, 0, v74, vcc_lo
	v_add_co_u32 v34, vcc_lo, v73, 0x1000
	v_lshlrev_b64 v[104:105], 2, v[75:76]
	v_add_co_ci_u32_e64 v35, null, 0, v74, vcc_lo
	v_add_co_u32 v112, vcc_lo, 0x1000, v73
	v_add_co_ci_u32_e64 v113, null, 0, v74, vcc_lo
	v_add_co_u32 v114, vcc_lo, 0x1800, v73
	;; [unrolled: 2-line block ×3, first 2 shown]
	v_add_co_ci_u32_e64 v105, null, s13, v105, vcc_lo
	s_clause 0x13
	global_load_dwordx4 v[0:3], v[73:74], off offset:48
	global_load_dwordx4 v[12:15], v[73:74], off offset:32
	;; [unrolled: 1-line block ×3, first 2 shown]
	global_load_dwordx4 v[16:19], v[73:74], off
	global_load_dwordx4 v[8:11], v[73:74], off offset:112
	global_load_dwordx4 v[24:27], v[73:74], off offset:96
	;; [unrolled: 1-line block ×11, first 2 shown]
	global_load_dwordx4 v[100:103], v[34:35], off offset:-2048
	global_load_dwordx4 v[44:47], v[34:35], off
	global_load_dwordx4 v[32:35], v[112:113], off offset:48
	global_load_dwordx4 v[56:59], v[112:113], off offset:32
	;; [unrolled: 1-line block ×3, first 2 shown]
	s_clause 0x3
	global_load_dword v70, v[104:105], off
	global_load_dword v76, v[104:105], off offset:64
	global_load_dword v116, v[104:105], off offset:128
	;; [unrolled: 1-line block ×3, first 2 shown]
	v_add_nc_u32_e32 v75, 64, v75
	s_waitcnt vmcnt(3)
	v_subrev_nc_u32_e32 v70, s2, v70
	s_waitcnt vmcnt(2)
	v_subrev_nc_u32_e32 v76, s2, v76
	v_lshlrev_b32_e32 v104, 2, v70
	v_ashrrev_i32_e32 v105, 31, v104
	v_lshlrev_b64 v[104:105], 3, v[104:105]
	v_add_co_u32 v108, vcc_lo, s6, v104
	v_add_co_ci_u32_e64 v109, null, s7, v105, vcc_lo
	s_clause 0x1
	global_load_dwordx4 v[104:107], v[108:109], off
	global_load_dwordx4 v[108:111], v[108:109], off offset:16
	s_waitcnt vmcnt(1)
	v_fmac_f32_e32 v85, v16, v104
	v_fmac_f32_e32 v78, v17, v104
	;; [unrolled: 1-line block ×8, first 2 shown]
	v_fma_f32 v17, -v17, v105, v85
	v_fmac_f32_e32 v78, v16, v105
	v_fma_f32 v13, -v13, v105, v86
	v_fmac_f32_e32 v79, v12, v105
	v_fma_f32 v29, -v29, v105, v84
	v_fmac_f32_e32 v81, v28, v105
	v_fma_f32 v25, -v25, v105, v83
	v_fmac_f32_e32 v80, v24, v105
	v_fmac_f32_e32 v17, v18, v106
	v_fmac_f32_e32 v78, v19, v106
	;; [unrolled: 1-line block ×8, first 2 shown]
	v_lshlrev_b32_e32 v83, 2, v76
	v_fma_f32 v70, -v19, v107, v17
	v_fmac_f32_e32 v78, v18, v107
	v_fma_f32 v85, -v15, v107, v13
	v_fmac_f32_e32 v79, v14, v107
	;; [unrolled: 2-line block ×4, first 2 shown]
	v_ashrrev_i32_e32 v84, 31, v83
	s_waitcnt vmcnt(0)
	v_fmac_f32_e32 v70, v4, v108
	v_fmac_f32_e32 v78, v5, v108
	;; [unrolled: 1-line block ×8, first 2 shown]
	v_lshlrev_b64 v[83:84], 3, v[83:84]
	v_fma_f32 v5, -v5, v109, v70
	v_fmac_f32_e32 v78, v4, v109
	v_fma_f32 v1, -v1, v109, v85
	v_fmac_f32_e32 v79, v0, v109
	;; [unrolled: 2-line block ×4, first 2 shown]
	v_add_co_u32 v83, vcc_lo, s6, v83
	v_add_co_ci_u32_e64 v84, null, s7, v84, vcc_lo
	v_fmac_f32_e32 v5, v6, v110
	v_fmac_f32_e32 v78, v7, v110
	;; [unrolled: 1-line block ×8, first 2 shown]
	s_clause 0x4
	global_load_dwordx4 v[16:19], v[112:113], off offset:112
	global_load_dwordx4 v[12:15], v[112:113], off offset:96
	;; [unrolled: 1-line block ×5, first 2 shown]
	v_fma_f32 v70, -v7, v111, v5
	v_fmac_f32_e32 v78, v6, v111
	global_load_dwordx4 v[4:7], v[114:115], off offset:32
	v_fma_f32 v76, -v3, v111, v1
	v_fmac_f32_e32 v79, v2, v111
	global_load_dwordx4 v[0:3], v[114:115], off offset:112
	;; [unrolled: 3-line block ×3, first 2 shown]
	v_fma_f32 v113, -v11, v111, v9
	v_fmac_f32_e32 v80, v10, v111
	s_clause 0x1
	global_load_dwordx4 v[8:11], v[83:84], off
	global_load_dwordx4 v[83:86], v[83:84], off offset:16
	s_waitcnt vmcnt(1)
	v_fmac_f32_e32 v70, v100, v8
	v_fmac_f32_e32 v78, v101, v8
	;; [unrolled: 1-line block ×6, first 2 shown]
	v_fma_f32 v70, -v101, v9, v70
	v_fmac_f32_e32 v78, v100, v9
	v_fma_f32 v76, -v89, v9, v76
	v_fmac_f32_e32 v79, v88, v9
	;; [unrolled: 2-line block ×3, first 2 shown]
	v_fmac_f32_e32 v113, v92, v8
	v_fmac_f32_e32 v70, v102, v10
	;; [unrolled: 1-line block ×7, first 2 shown]
	v_subrev_nc_u32_e32 v112, s2, v116
	v_fmac_f32_e32 v80, v93, v8
	v_fma_f32 v8, -v93, v9, v113
	v_fma_f32 v70, -v103, v11, v70
	v_fmac_f32_e32 v78, v102, v11
	global_load_dwordx4 v[100:103], v[114:115], off offset:80
	v_fma_f32 v76, -v91, v11, v76
	v_fmac_f32_e32 v79, v90, v11
	global_load_dwordx4 v[88:91], v[114:115], off offset:64
	v_fma_f32 v118, -v99, v11, v97
	v_fmac_f32_e32 v81, v98, v11
	s_clause 0x1
	global_load_dwordx4 v[96:99], v[114:115], off
	global_load_dwordx4 v[108:111], v[114:115], off offset:16
	v_subrev_nc_u32_e32 v114, s2, v117
	v_lshlrev_b32_e32 v112, 2, v112
	v_fmac_f32_e32 v80, v92, v9
	v_fmac_f32_e32 v8, v94, v10
	s_waitcnt vmcnt(4)
	v_fmac_f32_e32 v70, v52, v83
	v_fmac_f32_e32 v78, v53, v83
	v_ashrrev_i32_e32 v113, 31, v112
	v_fmac_f32_e32 v80, v95, v10
	v_fma_f32 v115, -v95, v11, v8
	v_lshlrev_b32_e32 v8, 2, v114
	v_fma_f32 v53, -v53, v84, v70
	v_fmac_f32_e32 v78, v52, v84
	v_fmac_f32_e32 v80, v94, v11
	v_lshlrev_b64 v[10:11], 3, v[112:113]
	v_ashrrev_i32_e32 v9, 31, v8
	v_fmac_f32_e32 v53, v54, v85
	v_fmac_f32_e32 v78, v55, v85
	;; [unrolled: 1-line block ×4, first 2 shown]
	v_lshlrev_b64 v[8:9], 3, v[8:9]
	v_add_co_u32 v92, vcc_lo, s6, v10
	v_add_co_ci_u32_e64 v93, null, s7, v11, vcc_lo
	v_fma_f32 v70, -v55, v86, v53
	v_add_co_u32 v112, vcc_lo, s6, v8
	v_add_co_ci_u32_e64 v113, null, s7, v9, vcc_lo
	s_clause 0x1
	global_load_dwordx4 v[8:11], v[92:93], off
	global_load_dwordx4 v[92:95], v[92:93], off offset:16
	v_fmac_f32_e32 v78, v54, v86
	v_fma_f32 v61, -v61, v84, v76
	global_load_dwordx4 v[52:55], v[112:113], off
	v_fmac_f32_e32 v79, v60, v84
	v_fmac_f32_e32 v118, v40, v83
	;; [unrolled: 1-line block ×7, first 2 shown]
	v_fma_f32 v41, -v41, v84, v118
	v_fma_f32 v76, -v63, v86, v61
	v_fmac_f32_e32 v81, v40, v84
	v_fmac_f32_e32 v79, v62, v86
	global_load_dwordx4 v[60:63], v[112:113], off offset:16
	v_fma_f32 v37, -v37, v84, v115
	v_fmac_f32_e32 v80, v36, v84
	v_fmac_f32_e32 v41, v42, v85
	;; [unrolled: 1-line block ×3, first 2 shown]
	v_add_co_u32 v73, vcc_lo, 0x2000, v73
	v_fmac_f32_e32 v37, v38, v85
	v_fmac_f32_e32 v80, v39, v85
	v_fma_f32 v36, -v43, v86, v41
	v_fmac_f32_e32 v81, v42, v86
	v_add_co_ci_u32_e64 v74, null, 0, v74, vcc_lo
	v_fma_f32 v37, -v39, v86, v37
	v_fmac_f32_e32 v80, v38, v86
	v_cmp_ge_i32_e32 vcc_lo, v75, v82
	s_or_b32 s8, vcc_lo, s8
	s_waitcnt vmcnt(3)
	v_fmac_f32_e32 v70, v44, v8
	v_fmac_f32_e32 v78, v45, v8
	v_fmac_f32_e32 v76, v56, v8
	v_fmac_f32_e32 v79, v57, v8
	v_fmac_f32_e32 v36, v24, v8
	v_fmac_f32_e32 v81, v25, v8
	v_fmac_f32_e32 v37, v12, v8
	v_fmac_f32_e32 v80, v13, v8
	v_fma_f32 v8, -v45, v9, v70
	v_fmac_f32_e32 v78, v44, v9
	v_fma_f32 v38, -v57, v9, v76
	v_fmac_f32_e32 v79, v56, v9
	v_fma_f32 v25, -v25, v9, v36
	v_fmac_f32_e32 v81, v24, v9
	v_fma_f32 v13, -v13, v9, v37
	v_fmac_f32_e32 v80, v12, v9
	v_fmac_f32_e32 v8, v46, v10
	v_fmac_f32_e32 v78, v47, v10
	v_fmac_f32_e32 v38, v58, v10
	v_fmac_f32_e32 v79, v59, v10
	v_fmac_f32_e32 v25, v26, v10
	v_fmac_f32_e32 v81, v27, v10
	v_fmac_f32_e32 v13, v14, v10
	v_fmac_f32_e32 v80, v15, v10
	v_fma_f32 v8, -v47, v11, v8
	v_fmac_f32_e32 v78, v46, v11
	v_fma_f32 v9, -v59, v11, v38
	v_fmac_f32_e32 v79, v58, v11
	v_fma_f32 v10, -v27, v11, v25
	v_fmac_f32_e32 v81, v26, v11
	v_fma_f32 v12, -v15, v11, v13
	v_fmac_f32_e32 v80, v14, v11
	s_waitcnt vmcnt(2)
	v_fmac_f32_e32 v8, v48, v92
	v_fmac_f32_e32 v78, v49, v92
	v_fmac_f32_e32 v9, v32, v92
	v_fmac_f32_e32 v79, v33, v92
	v_fmac_f32_e32 v10, v28, v92
	v_fmac_f32_e32 v81, v29, v92
	v_fmac_f32_e32 v12, v16, v92
	v_fmac_f32_e32 v80, v17, v92
	v_fma_f32 v8, -v49, v93, v8
	v_fmac_f32_e32 v78, v48, v93
	v_fma_f32 v9, -v33, v93, v9
	v_fmac_f32_e32 v79, v32, v93
	v_fma_f32 v10, -v29, v93, v10
	v_fmac_f32_e32 v81, v28, v93
	v_fma_f32 v11, -v17, v93, v12
	v_fmac_f32_e32 v80, v16, v93
	v_fmac_f32_e32 v8, v50, v94
	v_fmac_f32_e32 v78, v51, v94
	v_fmac_f32_e32 v9, v34, v94
	v_fmac_f32_e32 v79, v35, v94
	v_fmac_f32_e32 v10, v30, v94
	v_fmac_f32_e32 v81, v31, v94
	v_fmac_f32_e32 v11, v18, v94
	v_fmac_f32_e32 v80, v19, v94
	v_fma_f32 v8, -v51, v95, v8
	v_fmac_f32_e32 v78, v50, v95
	v_fma_f32 v9, -v35, v95, v9
	v_fmac_f32_e32 v79, v34, v95
	v_fma_f32 v10, -v31, v95, v10
	v_fmac_f32_e32 v81, v30, v95
	v_fma_f32 v11, -v19, v95, v11
	v_fmac_f32_e32 v80, v18, v95
	;; [unrolled: 33-line block ×4, first 2 shown]
	s_andn2_b32 exec_lo, exec_lo, s8
	s_cbranch_execnz .LBB12_19
; %bb.20:
	s_or_b32 exec_lo, exec_lo, s8
.LBB12_21:
	s_or_b32 exec_lo, exec_lo, s3
.LBB12_22:
	s_or_b32 exec_lo, exec_lo, s1
	s_cbranch_execz .LBB12_24
	s_branch .LBB12_35
.LBB12_23:
                                        ; implicit-def: $vgpr78
                                        ; implicit-def: $vgpr85
                                        ; implicit-def: $vgpr83
                                        ; implicit-def: $vgpr80
                                        ; implicit-def: $vgpr84
                                        ; implicit-def: $vgpr81
                                        ; implicit-def: $vgpr86
                                        ; implicit-def: $vgpr79
.LBB12_24:
	v_mov_b32_e32 v78, 0
	v_mov_b32_e32 v85, 0
	;; [unrolled: 1-line block ×8, first 2 shown]
	s_and_saveexec_b32 s1, s0
	s_cbranch_execz .LBB12_34
; %bb.25:
	v_add_nc_u32_e32 v0, v87, v77
	v_not_b32_e32 v1, v87
	v_mov_b32_e32 v79, 0
	v_mov_b32_e32 v86, 0
	;; [unrolled: 1-line block ×3, first 2 shown]
	v_subrev_nc_u32_e32 v0, s2, v0
	v_mov_b32_e32 v84, 0
	v_mov_b32_e32 v80, 0
	;; [unrolled: 1-line block ×4, first 2 shown]
	v_add_nc_u32_e32 v0, 16, v0
	v_mov_b32_e32 v78, 0
	s_mov_b32 s0, exec_lo
	v_max_i32_e32 v0, v0, v82
	v_add3_u32 v0, s2, v0, v1
	v_sub_nc_u32_e32 v0, v0, v77
	v_and_b32_e32 v1, 48, v0
	v_cmpx_ne_u32_e32 48, v1
	s_cbranch_execz .LBB12_29
; %bb.26:
	v_lshrrev_b32_e32 v1, 4, v0
	v_mov_b32_e32 v78, 0
	v_mov_b32_e32 v85, 0
	;; [unrolled: 1-line block ×4, first 2 shown]
	v_add_nc_u32_e32 v1, 1, v1
	v_mov_b32_e32 v84, 0
	v_mov_b32_e32 v81, 0
	;; [unrolled: 1-line block ×4, first 2 shown]
	v_and_b32_e32 v1, 3, v1
	s_mov_b32 s3, 0
	v_sub_nc_u32_e32 v1, 0, v1
.LBB12_27:                              ; =>This Inner Loop Header: Depth=1
	v_ashrrev_i32_e32 v70, 31, v69
	v_add_co_u32 v1, s8, v1, 1
	s_or_b32 s3, s8, s3
	v_lshlrev_b64 v[2:3], 2, v[69:70]
	v_add_nc_u32_e32 v69, 16, v69
	v_add_co_u32 v2, vcc_lo, s12, v2
	v_add_co_ci_u32_e64 v3, null, s13, v3, vcc_lo
	global_load_dword v14, v[2:3], off
	s_clause 0x2
	global_load_dwordx4 v[2:5], v[71:72], off offset:32
	global_load_dwordx4 v[6:9], v[71:72], off offset:16
	global_load_dwordx4 v[10:13], v[71:72], off
	s_waitcnt vmcnt(3)
	v_subrev_nc_u32_e32 v14, s2, v14
	v_lshlrev_b32_e32 v14, 2, v14
	v_ashrrev_i32_e32 v15, 31, v14
	v_lshlrev_b64 v[14:15], 3, v[14:15]
	v_add_co_u32 v18, vcc_lo, s6, v14
	v_add_co_ci_u32_e64 v19, null, s7, v15, vcc_lo
	s_clause 0x1
	global_load_dwordx4 v[14:17], v[18:19], off
	global_load_dwordx4 v[18:21], v[18:19], off offset:16
	s_clause 0x4
	global_load_dwordx4 v[22:25], v[71:72], off offset:48
	global_load_dwordx4 v[26:29], v[71:72], off offset:64
	;; [unrolled: 1-line block ×5, first 2 shown]
	v_add_co_u32 v71, vcc_lo, 0x800, v71
	v_add_co_ci_u32_e64 v72, null, 0, v72, vcc_lo
	s_waitcnt vmcnt(6)
	v_fmac_f32_e32 v85, v10, v14
	v_fmac_f32_e32 v78, v11, v14
	;; [unrolled: 1-line block ×8, first 2 shown]
	v_fma_f32 v11, -v11, v15, v85
	v_fmac_f32_e32 v78, v10, v15
	v_fma_f32 v10, -v13, v15, v86
	v_fmac_f32_e32 v79, v12, v15
	;; [unrolled: 2-line block ×4, first 2 shown]
	v_fmac_f32_e32 v11, v2, v16
	v_fmac_f32_e32 v78, v3, v16
	;; [unrolled: 1-line block ×4, first 2 shown]
	s_waitcnt vmcnt(4)
	v_fmac_f32_e32 v7, v22, v16
	v_fmac_f32_e32 v81, v23, v16
	;; [unrolled: 1-line block ×4, first 2 shown]
	v_fma_f32 v3, -v3, v17, v11
	v_fmac_f32_e32 v78, v2, v17
	v_fma_f32 v2, -v5, v17, v10
	v_fmac_f32_e32 v79, v4, v17
	;; [unrolled: 2-line block ×4, first 2 shown]
	s_waitcnt vmcnt(3)
	v_fmac_f32_e32 v3, v26, v18
	v_fmac_f32_e32 v78, v27, v18
	;; [unrolled: 1-line block ×4, first 2 shown]
	s_waitcnt vmcnt(2)
	v_fmac_f32_e32 v4, v30, v18
	v_fmac_f32_e32 v81, v31, v18
	;; [unrolled: 1-line block ×4, first 2 shown]
	v_fma_f32 v3, -v27, v19, v3
	v_fmac_f32_e32 v78, v26, v19
	v_fma_f32 v2, -v29, v19, v2
	v_fmac_f32_e32 v79, v28, v19
	;; [unrolled: 2-line block ×4, first 2 shown]
	s_waitcnt vmcnt(1)
	v_fmac_f32_e32 v3, v34, v20
	v_fmac_f32_e32 v78, v35, v20
	;; [unrolled: 1-line block ×4, first 2 shown]
	s_waitcnt vmcnt(0)
	v_fmac_f32_e32 v4, v38, v20
	v_fmac_f32_e32 v81, v39, v20
	;; [unrolled: 1-line block ×4, first 2 shown]
	v_fma_f32 v85, -v35, v21, v3
	v_fmac_f32_e32 v78, v34, v21
	v_fma_f32 v86, -v37, v21, v2
	v_fmac_f32_e32 v79, v36, v21
	;; [unrolled: 2-line block ×4, first 2 shown]
	s_andn2_b32 exec_lo, exec_lo, s3
	s_cbranch_execnz .LBB12_27
; %bb.28:
	s_or_b32 exec_lo, exec_lo, s3
.LBB12_29:
	s_or_b32 exec_lo, exec_lo, s0
	s_mov_b32 s0, exec_lo
	v_cmpx_lt_u32_e32 47, v0
	s_cbranch_execz .LBB12_33
; %bb.30:
	s_mov_b32 s3, 0
.LBB12_31:                              ; =>This Inner Loop Header: Depth=1
	v_ashrrev_i32_e32 v70, 31, v69
	v_add_co_u32 v56, vcc_lo, 0x800, v71
	v_add_co_ci_u32_e64 v57, null, 0, v72, vcc_lo
	v_add_co_u32 v87, vcc_lo, v71, 0x1000
	v_lshlrev_b64 v[60:61], 2, v[69:70]
	v_add_co_ci_u32_e64 v88, null, 0, v72, vcc_lo
	v_add_co_u32 v89, vcc_lo, 0x1000, v71
	v_add_co_ci_u32_e64 v90, null, 0, v72, vcc_lo
	v_add_co_u32 v93, vcc_lo, 0x1800, v71
	;; [unrolled: 2-line block ×3, first 2 shown]
	v_add_co_ci_u32_e64 v61, null, s13, v61, vcc_lo
	s_clause 0xe
	global_load_dwordx4 v[8:11], v[71:72], off offset:48
	global_load_dwordx4 v[16:19], v[71:72], off offset:32
	;; [unrolled: 1-line block ×3, first 2 shown]
	global_load_dwordx4 v[24:27], v[71:72], off
	global_load_dwordx4 v[0:3], v[71:72], off offset:112
	global_load_dwordx4 v[4:7], v[71:72], off offset:96
	;; [unrolled: 1-line block ×11, first 2 shown]
	s_clause 0x3
	global_load_dword v62, v[60:61], off
	global_load_dword v70, v[60:61], off offset:64
	global_load_dword v91, v[60:61], off offset:128
	;; [unrolled: 1-line block ×3, first 2 shown]
	v_add_nc_u32_e32 v69, 64, v69
	s_waitcnt vmcnt(3)
	v_subrev_nc_u32_e32 v60, s2, v62
	s_waitcnt vmcnt(2)
	v_subrev_nc_u32_e32 v70, s2, v70
	v_lshlrev_b32_e32 v60, 2, v60
	v_ashrrev_i32_e32 v61, 31, v60
	v_lshlrev_b64 v[60:61], 3, v[60:61]
	v_add_co_u32 v73, vcc_lo, s6, v60
	v_add_co_ci_u32_e64 v74, null, s7, v61, vcc_lo
	s_clause 0x1
	global_load_dwordx4 v[60:63], v[73:74], off
	global_load_dwordx4 v[73:76], v[73:74], off offset:16
	s_waitcnt vmcnt(1)
	v_fmac_f32_e32 v78, v25, v60
	v_fmac_f32_e32 v85, v24, v60
	;; [unrolled: 1-line block ×6, first 2 shown]
	v_fma_f32 v95, -v25, v61, v85
	v_fmac_f32_e32 v81, v21, v60
	v_fmac_f32_e32 v83, v22, v60
	;; [unrolled: 1-line block ×5, first 2 shown]
	v_fma_f32 v60, -v21, v61, v84
	v_fma_f32 v96, -v27, v61, v86
	v_fmac_f32_e32 v79, v26, v61
	v_fmac_f32_e32 v78, v16, v63
	v_fma_f32 v84, -v17, v63, v95
	v_fmac_f32_e32 v81, v20, v61
	v_fma_f32 v83, -v23, v61, v83
	v_fmac_f32_e32 v80, v22, v61
	s_waitcnt vmcnt(0)
	v_fmac_f32_e32 v78, v29, v73
	v_fmac_f32_e32 v84, v28, v73
	;; [unrolled: 1-line block ×6, first 2 shown]
	v_fma_f32 v84, -v29, v74, v84
	v_fmac_f32_e32 v81, v9, v62
	v_fmac_f32_e32 v83, v10, v62
	;; [unrolled: 1-line block ×5, first 2 shown]
	v_fma_f32 v95, -v19, v63, v96
	v_fmac_f32_e32 v79, v18, v63
	v_fma_f32 v96, -v9, v63, v60
	v_fmac_f32_e32 v78, v4, v76
	v_lshlrev_b32_e32 v4, 2, v70
	v_fmac_f32_e32 v81, v8, v63
	v_fma_f32 v83, -v11, v63, v83
	v_fmac_f32_e32 v80, v10, v63
	v_fma_f32 v84, -v5, v76, v84
	v_ashrrev_i32_e32 v5, 31, v4
	v_fmac_f32_e32 v95, v30, v73
	v_fmac_f32_e32 v79, v31, v73
	;; [unrolled: 1-line block ×6, first 2 shown]
	v_lshlrev_b64 v[4:5], 3, v[4:5]
	v_fma_f32 v95, -v31, v74, v95
	v_fmac_f32_e32 v79, v30, v74
	v_fma_f32 v96, -v13, v74, v96
	v_fmac_f32_e32 v81, v12, v74
	;; [unrolled: 2-line block ×3, first 2 shown]
	v_add_co_u32 v73, vcc_lo, s6, v4
	v_fmac_f32_e32 v95, v6, v75
	v_fmac_f32_e32 v79, v7, v75
	v_add_co_ci_u32_e64 v74, null, s7, v5, vcc_lo
	v_fmac_f32_e32 v96, v0, v75
	v_fmac_f32_e32 v81, v1, v75
	v_fmac_f32_e32 v83, v2, v75
	v_fmac_f32_e32 v80, v3, v75
	s_clause 0x7
	global_load_dwordx4 v[24:27], v[87:88], off offset:-2048
	global_load_dwordx4 v[85:88], v[87:88], off
	global_load_dwordx4 v[20:23], v[89:90], off offset:32
	global_load_dwordx4 v[16:19], v[89:90], off offset:16
	;; [unrolled: 1-line block ×6, first 2 shown]
	v_fma_f32 v95, -v7, v76, v95
	v_fmac_f32_e32 v79, v6, v76
	global_load_dwordx4 v[4:7], v[89:90], off offset:64
	v_fma_f32 v70, -v1, v76, v96
	v_fmac_f32_e32 v81, v0, v76
	v_fma_f32 v83, -v3, v76, v83
	v_fmac_f32_e32 v80, v2, v76
	s_clause 0x1
	global_load_dwordx4 v[0:3], v[73:74], off
	global_load_dwordx4 v[73:76], v[73:74], off offset:16
	s_waitcnt vmcnt(1)
	v_fmac_f32_e32 v81, v37, v0
	v_fmac_f32_e32 v70, v36, v0
	;; [unrolled: 1-line block ×9, first 2 shown]
	v_fma_f32 v0, -v37, v1, v70
	v_fmac_f32_e32 v81, v53, v2
	v_fma_f32 v84, -v25, v1, v84
	v_fma_f32 v70, -v39, v1, v83
	v_fmac_f32_e32 v80, v38, v1
	v_fmac_f32_e32 v0, v52, v2
	;; [unrolled: 1-line block ×3, first 2 shown]
	v_subrev_nc_u32_e32 v52, s2, v91
	v_fmac_f32_e32 v78, v24, v1
	v_fmac_f32_e32 v80, v55, v2
	v_fma_f32 v97, -v53, v3, v0
	v_subrev_nc_u32_e32 v53, s2, v92
	v_lshlrev_b32_e32 v52, 2, v52
	v_fma_f32 v89, -v27, v1, v95
	v_fmac_f32_e32 v79, v26, v1
	v_fmac_f32_e32 v70, v54, v2
	;; [unrolled: 1-line block ×3, first 2 shown]
	v_lshlrev_b32_e32 v54, 2, v53
	v_ashrrev_i32_e32 v53, 31, v52
	v_fmac_f32_e32 v84, v32, v2
	v_fmac_f32_e32 v78, v33, v2
	;; [unrolled: 1-line block ×4, first 2 shown]
	v_lshlrev_b64 v[52:53], 3, v[52:53]
	v_fma_f32 v95, -v33, v3, v84
	v_fmac_f32_e32 v78, v32, v3
	v_fma_f32 v96, -v35, v3, v89
	v_fmac_f32_e32 v79, v34, v3
	v_fma_f32 v70, -v55, v3, v70
	v_add_co_u32 v83, vcc_lo, s6, v52
	v_add_co_ci_u32_e64 v84, null, s7, v53, vcc_lo
	s_waitcnt vmcnt(0)
	v_fmac_f32_e32 v95, v56, v73
	v_fmac_f32_e32 v78, v57, v73
	;; [unrolled: 1-line block ×5, first 2 shown]
	v_fma_f32 v91, -v57, v74, v95
	v_fmac_f32_e32 v78, v56, v74
	v_fma_f32 v92, -v59, v74, v96
	v_fmac_f32_e32 v79, v58, v74
	global_load_dwordx4 v[56:59], v[83:84], off
	v_fmac_f32_e32 v81, v49, v73
	v_fmac_f32_e32 v70, v50, v73
	;; [unrolled: 1-line block ×3, first 2 shown]
	v_fma_f32 v73, -v49, v74, v97
	v_ashrrev_i32_e32 v55, 31, v54
	v_fmac_f32_e32 v81, v48, v74
	v_fma_f32 v70, -v51, v74, v70
	v_fmac_f32_e32 v80, v50, v74
	global_load_dwordx4 v[48:51], v[83:84], off offset:16
	v_lshlrev_b64 v[54:55], 3, v[54:55]
	v_fmac_f32_e32 v91, v44, v75
	v_fmac_f32_e32 v78, v45, v75
	v_fmac_f32_e32 v92, v46, v75
	v_fmac_f32_e32 v79, v47, v75
	s_clause 0x1
	global_load_dwordx4 v[24:27], v[93:94], off
	global_load_dwordx4 v[0:3], v[93:94], off offset:16
	v_add_co_u32 v89, vcc_lo, s6, v54
	v_add_co_ci_u32_e64 v90, null, s7, v55, vcc_lo
	v_fma_f32 v83, -v45, v76, v91
	v_fmac_f32_e32 v78, v44, v76
	v_fma_f32 v84, -v47, v76, v92
	v_fmac_f32_e32 v79, v46, v76
	global_load_dwordx4 v[44:47], v[89:90], off
	s_clause 0x1
	global_load_dwordx4 v[36:39], v[93:94], off offset:48
	global_load_dwordx4 v[32:35], v[93:94], off offset:32
	v_fmac_f32_e32 v73, v40, v75
	v_fmac_f32_e32 v81, v41, v75
	;; [unrolled: 1-line block ×4, first 2 shown]
	global_load_dwordx4 v[52:55], v[93:94], off offset:64
	v_fma_f32 v97, -v41, v76, v73
	v_fmac_f32_e32 v81, v40, v76
	v_fma_f32 v70, -v43, v76, v70
	v_fmac_f32_e32 v80, v42, v76
	s_clause 0x1
	global_load_dwordx4 v[40:43], v[93:94], off offset:80
	global_load_dwordx4 v[73:76], v[93:94], off offset:96
	;; [unrolled: 1-line block ×4, first 2 shown]
	v_add_co_u32 v71, vcc_lo, 0x2000, v71
	v_add_co_ci_u32_e64 v72, null, 0, v72, vcc_lo
	v_cmp_ge_i32_e32 vcc_lo, v69, v82
	s_or_b32 s3, vcc_lo, s3
	s_waitcnt vmcnt(11)
	v_fmac_f32_e32 v83, v85, v56
	v_fmac_f32_e32 v78, v86, v56
	;; [unrolled: 1-line block ×8, first 2 shown]
	v_fma_f32 v83, -v86, v57, v83
	v_fmac_f32_e32 v78, v85, v57
	v_fma_f32 v84, -v88, v57, v84
	v_fmac_f32_e32 v79, v87, v57
	;; [unrolled: 2-line block ×4, first 2 shown]
	v_fmac_f32_e32 v83, v20, v58
	v_fmac_f32_e32 v78, v21, v58
	;; [unrolled: 1-line block ×8, first 2 shown]
	v_fma_f32 v18, -v21, v59, v83
	v_fmac_f32_e32 v78, v20, v59
	v_fma_f32 v19, -v23, v59, v84
	v_fmac_f32_e32 v79, v22, v59
	v_fma_f32 v13, -v13, v59, v17
	v_fmac_f32_e32 v81, v12, v59
	v_fma_f32 v12, -v15, v59, v16
	v_fmac_f32_e32 v80, v14, v59
	s_waitcnt vmcnt(10)
	v_fmac_f32_e32 v18, v4, v48
	v_fmac_f32_e32 v78, v5, v48
	;; [unrolled: 1-line block ×8, first 2 shown]
	v_fma_f32 v5, -v5, v49, v18
	v_fmac_f32_e32 v78, v4, v49
	v_fma_f32 v4, -v7, v49, v19
	v_fmac_f32_e32 v79, v6, v49
	;; [unrolled: 2-line block ×4, first 2 shown]
	v_fmac_f32_e32 v5, v60, v50
	v_fmac_f32_e32 v78, v61, v50
	v_fmac_f32_e32 v4, v62, v50
	v_fmac_f32_e32 v79, v63, v50
	v_fmac_f32_e32 v6, v8, v50
	v_fmac_f32_e32 v81, v9, v50
	v_fmac_f32_e32 v7, v10, v50
	v_fmac_f32_e32 v80, v11, v50
	v_fma_f32 v5, -v61, v51, v5
	v_fmac_f32_e32 v78, v60, v51
	v_fma_f32 v4, -v63, v51, v4
	v_fmac_f32_e32 v79, v62, v51
	v_fma_f32 v6, -v9, v51, v6
	v_fmac_f32_e32 v81, v8, v51
	v_fma_f32 v7, -v11, v51, v7
	v_fmac_f32_e32 v80, v10, v51
	s_waitcnt vmcnt(7)
	v_fmac_f32_e32 v5, v24, v44
	v_fmac_f32_e32 v78, v25, v44
	v_fmac_f32_e32 v4, v26, v44
	v_fmac_f32_e32 v79, v27, v44
	v_fmac_f32_e32 v6, v0, v44
	v_fmac_f32_e32 v81, v1, v44
	v_fmac_f32_e32 v7, v2, v44
	v_fmac_f32_e32 v80, v3, v44
	v_fma_f32 v5, -v25, v45, v5
	v_fmac_f32_e32 v78, v24, v45
	v_fma_f32 v4, -v27, v45, v4
	v_fmac_f32_e32 v79, v26, v45
	v_fma_f32 v1, -v1, v45, v6
	v_fmac_f32_e32 v81, v0, v45
	v_fma_f32 v0, -v3, v45, v7
	v_fmac_f32_e32 v80, v2, v45
	s_waitcnt vmcnt(5)
	;; [unrolled: 17-line block ×3, first 2 shown]
	v_fmac_f32_e32 v2, v52, v89
	v_fmac_f32_e32 v78, v53, v89
	v_fmac_f32_e32 v3, v54, v89
	v_fmac_f32_e32 v79, v55, v89
	v_fmac_f32_e32 v1, v40, v89
	v_fmac_f32_e32 v81, v41, v89
	v_fmac_f32_e32 v0, v42, v89
	v_fmac_f32_e32 v80, v43, v89
	v_fma_f32 v2, -v53, v90, v2
	v_fmac_f32_e32 v78, v52, v90
	v_fma_f32 v3, -v55, v90, v3
	v_fmac_f32_e32 v79, v54, v90
	;; [unrolled: 2-line block ×4, first 2 shown]
	v_fmac_f32_e32 v2, v73, v91
	v_fmac_f32_e32 v78, v74, v91
	;; [unrolled: 1-line block ×4, first 2 shown]
	s_waitcnt vmcnt(0)
	v_fmac_f32_e32 v1, v93, v91
	v_fmac_f32_e32 v81, v94, v91
	;; [unrolled: 1-line block ×4, first 2 shown]
	v_fma_f32 v85, -v74, v92, v2
	v_fmac_f32_e32 v78, v73, v92
	v_fma_f32 v86, -v76, v92, v3
	v_fmac_f32_e32 v79, v75, v92
	;; [unrolled: 2-line block ×4, first 2 shown]
	s_andn2_b32 exec_lo, exec_lo, s3
	s_cbranch_execnz .LBB12_31
; %bb.32:
	s_or_b32 exec_lo, exec_lo, s3
.LBB12_33:
	s_or_b32 exec_lo, exec_lo, s0
.LBB12_34:
	s_or_b32 exec_lo, exec_lo, s1
.LBB12_35:
	v_mbcnt_lo_u32_b32 v0, -1, 0
	v_xor_b32_e32 v1, 8, v0
	v_xor_b32_e32 v9, 4, v0
	;; [unrolled: 1-line block ×3, first 2 shown]
	v_cmp_gt_i32_e32 vcc_lo, 32, v1
	v_cndmask_b32_e32 v1, v0, v1, vcc_lo
	v_cmp_gt_i32_e32 vcc_lo, 32, v9
	v_lshlrev_b32_e32 v1, 2, v1
	v_cndmask_b32_e32 v9, v0, v9, vcc_lo
	v_cmp_gt_i32_e32 vcc_lo, 32, v17
	ds_bpermute_b32 v2, v1, v85
	ds_bpermute_b32 v3, v1, v78
	;; [unrolled: 1-line block ×8, first 2 shown]
	v_lshlrev_b32_e32 v9, 2, v9
	v_cndmask_b32_e32 v17, v0, v17, vcc_lo
	v_lshlrev_b32_e32 v17, 2, v17
	s_waitcnt lgkmcnt(7)
	v_add_f32_e32 v2, v85, v2
	s_waitcnt lgkmcnt(6)
	v_add_f32_e32 v3, v78, v3
	;; [unrolled: 2-line block ×8, first 2 shown]
	ds_bpermute_b32 v10, v9, v2
	ds_bpermute_b32 v11, v9, v3
	ds_bpermute_b32 v12, v9, v4
	ds_bpermute_b32 v13, v9, v5
	ds_bpermute_b32 v14, v9, v6
	ds_bpermute_b32 v15, v9, v7
	ds_bpermute_b32 v16, v9, v8
	ds_bpermute_b32 v9, v9, v1
	s_waitcnt lgkmcnt(7)
	v_add_f32_e32 v2, v2, v10
	s_waitcnt lgkmcnt(6)
	v_add_f32_e32 v3, v3, v11
	;; [unrolled: 2-line block ×8, first 2 shown]
	ds_bpermute_b32 v1, v17, v2
	ds_bpermute_b32 v10, v17, v3
	;; [unrolled: 1-line block ×8, first 2 shown]
	v_xor_b32_e32 v17, 1, v0
	v_cmp_gt_i32_e32 vcc_lo, 32, v17
	v_cndmask_b32_e32 v0, v0, v17, vcc_lo
	v_cmp_eq_u32_e32 vcc_lo, 15, v77
	v_lshlrev_b32_e32 v17, 2, v0
	s_waitcnt lgkmcnt(7)
	v_add_f32_e32 v0, v2, v1
	s_waitcnt lgkmcnt(6)
	v_add_f32_e32 v1, v3, v10
	;; [unrolled: 2-line block ×8, first 2 shown]
	ds_bpermute_b32 v8, v17, v0
	ds_bpermute_b32 v9, v17, v1
	;; [unrolled: 1-line block ×8, first 2 shown]
	s_and_b32 exec_lo, exec_lo, vcc_lo
	s_cbranch_execz .LBB12_8
; %bb.36:
	s_load_dwordx2 s[2:3], s[4:5], 0x50
	s_waitcnt lgkmcnt(0)
	v_add_f32_e32 v8, v0, v8
	v_add_f32_e32 v0, v1, v9
	;; [unrolled: 1-line block ×8, first 2 shown]
	v_mul_f32_e64 v4, v0, -v67
	v_mul_f32_e32 v5, v66, v0
	v_mul_f32_e64 v6, v1, -v67
	v_mul_f32_e32 v7, v66, v1
	;; [unrolled: 2-line block ×4, first 2 shown]
	v_cmp_eq_f32_e32 vcc_lo, 0, v64
	v_cmp_eq_f32_e64 s0, 0, v65
	v_fmac_f32_e32 v4, v66, v8
	v_fmac_f32_e32 v5, v67, v8
	v_lshlrev_b32_e32 v8, 2, v68
	v_fmac_f32_e32 v6, v66, v9
	v_fmac_f32_e32 v7, v67, v9
	v_fmac_f32_e32 v0, v66, v10
	v_fmac_f32_e32 v1, v67, v10
	v_fmac_f32_e32 v2, v66, v11
	v_fmac_f32_e32 v3, v67, v11
	s_and_b32 s0, vcc_lo, s0
	s_and_saveexec_b32 s1, s0
	s_xor_b32 s0, exec_lo, s1
	s_cbranch_execz .LBB12_38
; %bb.37:
	v_ashrrev_i32_e32 v9, 31, v8
                                        ; implicit-def: $vgpr64_vgpr65
	v_lshlrev_b64 v[8:9], 3, v[8:9]
	v_add_co_u32 v8, vcc_lo, s2, v8
	v_add_co_ci_u32_e64 v9, null, s3, v9, vcc_lo
	global_store_dwordx4 v[8:9], v[4:7], off
	global_store_dwordx4 v[8:9], v[0:3], off offset:16
                                        ; implicit-def: $vgpr4
                                        ; implicit-def: $vgpr8
                                        ; implicit-def: $vgpr0
.LBB12_38:
	s_andn2_saveexec_b32 s0, s0
	s_cbranch_execz .LBB12_8
; %bb.39:
	v_ashrrev_i32_e32 v9, 31, v8
	v_lshlrev_b64 v[8:9], 3, v[8:9]
	v_add_co_u32 v16, vcc_lo, s2, v8
	v_add_co_ci_u32_e64 v17, null, s3, v9, vcc_lo
	s_clause 0x1
	global_load_dwordx4 v[8:11], v[16:17], off
	global_load_dwordx4 v[12:15], v[16:17], off offset:16
	s_waitcnt vmcnt(1)
	v_fmac_f32_e32 v4, v64, v8
	v_fmac_f32_e32 v5, v65, v8
	;; [unrolled: 1-line block ×4, first 2 shown]
	s_waitcnt vmcnt(0)
	v_fmac_f32_e32 v0, v64, v12
	v_fmac_f32_e32 v1, v65, v12
	;; [unrolled: 1-line block ×4, first 2 shown]
	v_fma_f32 v4, -v65, v9, v4
	v_fmac_f32_e32 v5, v64, v9
	v_fma_f32 v6, -v65, v11, v6
	v_fmac_f32_e32 v7, v64, v11
	;; [unrolled: 2-line block ×4, first 2 shown]
	global_store_dwordx4 v[16:17], v[4:7], off
	global_store_dwordx4 v[16:17], v[0:3], off offset:16
	s_endpgm
	.section	.rodata,"a",@progbits
	.p2align	6, 0x0
	.amdhsa_kernel _ZN9rocsparseL18bsrxmvn_4x4_kernelILj128ELj16E21rocsparse_complex_numIfEiiS2_S2_S2_EEvT3_20rocsparse_direction_NS_24const_host_device_scalarIT1_EES3_PKS3_PKT2_SC_S9_PKT4_PKT5_S7_PT6_21rocsparse_index_base_b
		.amdhsa_group_segment_fixed_size 0
		.amdhsa_private_segment_fixed_size 0
		.amdhsa_kernarg_size 96
		.amdhsa_user_sgpr_count 6
		.amdhsa_user_sgpr_private_segment_buffer 1
		.amdhsa_user_sgpr_dispatch_ptr 0
		.amdhsa_user_sgpr_queue_ptr 0
		.amdhsa_user_sgpr_kernarg_segment_ptr 1
		.amdhsa_user_sgpr_dispatch_id 0
		.amdhsa_user_sgpr_flat_scratch_init 0
		.amdhsa_user_sgpr_private_segment_size 0
		.amdhsa_wavefront_size32 1
		.amdhsa_uses_dynamic_stack 0
		.amdhsa_system_sgpr_private_segment_wavefront_offset 0
		.amdhsa_system_sgpr_workgroup_id_x 1
		.amdhsa_system_sgpr_workgroup_id_y 0
		.amdhsa_system_sgpr_workgroup_id_z 0
		.amdhsa_system_sgpr_workgroup_info 0
		.amdhsa_system_vgpr_workitem_id 0
		.amdhsa_next_free_vgpr 119
		.amdhsa_next_free_sgpr 16
		.amdhsa_reserve_vcc 1
		.amdhsa_reserve_flat_scratch 0
		.amdhsa_float_round_mode_32 0
		.amdhsa_float_round_mode_16_64 0
		.amdhsa_float_denorm_mode_32 3
		.amdhsa_float_denorm_mode_16_64 3
		.amdhsa_dx10_clamp 1
		.amdhsa_ieee_mode 1
		.amdhsa_fp16_overflow 0
		.amdhsa_workgroup_processor_mode 1
		.amdhsa_memory_ordered 1
		.amdhsa_forward_progress 1
		.amdhsa_shared_vgpr_count 0
		.amdhsa_exception_fp_ieee_invalid_op 0
		.amdhsa_exception_fp_denorm_src 0
		.amdhsa_exception_fp_ieee_div_zero 0
		.amdhsa_exception_fp_ieee_overflow 0
		.amdhsa_exception_fp_ieee_underflow 0
		.amdhsa_exception_fp_ieee_inexact 0
		.amdhsa_exception_int_div_zero 0
	.end_amdhsa_kernel
	.section	.text._ZN9rocsparseL18bsrxmvn_4x4_kernelILj128ELj16E21rocsparse_complex_numIfEiiS2_S2_S2_EEvT3_20rocsparse_direction_NS_24const_host_device_scalarIT1_EES3_PKS3_PKT2_SC_S9_PKT4_PKT5_S7_PT6_21rocsparse_index_base_b,"axG",@progbits,_ZN9rocsparseL18bsrxmvn_4x4_kernelILj128ELj16E21rocsparse_complex_numIfEiiS2_S2_S2_EEvT3_20rocsparse_direction_NS_24const_host_device_scalarIT1_EES3_PKS3_PKT2_SC_S9_PKT4_PKT5_S7_PT6_21rocsparse_index_base_b,comdat
.Lfunc_end12:
	.size	_ZN9rocsparseL18bsrxmvn_4x4_kernelILj128ELj16E21rocsparse_complex_numIfEiiS2_S2_S2_EEvT3_20rocsparse_direction_NS_24const_host_device_scalarIT1_EES3_PKS3_PKT2_SC_S9_PKT4_PKT5_S7_PT6_21rocsparse_index_base_b, .Lfunc_end12-_ZN9rocsparseL18bsrxmvn_4x4_kernelILj128ELj16E21rocsparse_complex_numIfEiiS2_S2_S2_EEvT3_20rocsparse_direction_NS_24const_host_device_scalarIT1_EES3_PKS3_PKT2_SC_S9_PKT4_PKT5_S7_PT6_21rocsparse_index_base_b
                                        ; -- End function
	.set _ZN9rocsparseL18bsrxmvn_4x4_kernelILj128ELj16E21rocsparse_complex_numIfEiiS2_S2_S2_EEvT3_20rocsparse_direction_NS_24const_host_device_scalarIT1_EES3_PKS3_PKT2_SC_S9_PKT4_PKT5_S7_PT6_21rocsparse_index_base_b.num_vgpr, 119
	.set _ZN9rocsparseL18bsrxmvn_4x4_kernelILj128ELj16E21rocsparse_complex_numIfEiiS2_S2_S2_EEvT3_20rocsparse_direction_NS_24const_host_device_scalarIT1_EES3_PKS3_PKT2_SC_S9_PKT4_PKT5_S7_PT6_21rocsparse_index_base_b.num_agpr, 0
	.set _ZN9rocsparseL18bsrxmvn_4x4_kernelILj128ELj16E21rocsparse_complex_numIfEiiS2_S2_S2_EEvT3_20rocsparse_direction_NS_24const_host_device_scalarIT1_EES3_PKS3_PKT2_SC_S9_PKT4_PKT5_S7_PT6_21rocsparse_index_base_b.numbered_sgpr, 16
	.set _ZN9rocsparseL18bsrxmvn_4x4_kernelILj128ELj16E21rocsparse_complex_numIfEiiS2_S2_S2_EEvT3_20rocsparse_direction_NS_24const_host_device_scalarIT1_EES3_PKS3_PKT2_SC_S9_PKT4_PKT5_S7_PT6_21rocsparse_index_base_b.num_named_barrier, 0
	.set _ZN9rocsparseL18bsrxmvn_4x4_kernelILj128ELj16E21rocsparse_complex_numIfEiiS2_S2_S2_EEvT3_20rocsparse_direction_NS_24const_host_device_scalarIT1_EES3_PKS3_PKT2_SC_S9_PKT4_PKT5_S7_PT6_21rocsparse_index_base_b.private_seg_size, 0
	.set _ZN9rocsparseL18bsrxmvn_4x4_kernelILj128ELj16E21rocsparse_complex_numIfEiiS2_S2_S2_EEvT3_20rocsparse_direction_NS_24const_host_device_scalarIT1_EES3_PKS3_PKT2_SC_S9_PKT4_PKT5_S7_PT6_21rocsparse_index_base_b.uses_vcc, 1
	.set _ZN9rocsparseL18bsrxmvn_4x4_kernelILj128ELj16E21rocsparse_complex_numIfEiiS2_S2_S2_EEvT3_20rocsparse_direction_NS_24const_host_device_scalarIT1_EES3_PKS3_PKT2_SC_S9_PKT4_PKT5_S7_PT6_21rocsparse_index_base_b.uses_flat_scratch, 0
	.set _ZN9rocsparseL18bsrxmvn_4x4_kernelILj128ELj16E21rocsparse_complex_numIfEiiS2_S2_S2_EEvT3_20rocsparse_direction_NS_24const_host_device_scalarIT1_EES3_PKS3_PKT2_SC_S9_PKT4_PKT5_S7_PT6_21rocsparse_index_base_b.has_dyn_sized_stack, 0
	.set _ZN9rocsparseL18bsrxmvn_4x4_kernelILj128ELj16E21rocsparse_complex_numIfEiiS2_S2_S2_EEvT3_20rocsparse_direction_NS_24const_host_device_scalarIT1_EES3_PKS3_PKT2_SC_S9_PKT4_PKT5_S7_PT6_21rocsparse_index_base_b.has_recursion, 0
	.set _ZN9rocsparseL18bsrxmvn_4x4_kernelILj128ELj16E21rocsparse_complex_numIfEiiS2_S2_S2_EEvT3_20rocsparse_direction_NS_24const_host_device_scalarIT1_EES3_PKS3_PKT2_SC_S9_PKT4_PKT5_S7_PT6_21rocsparse_index_base_b.has_indirect_call, 0
	.section	.AMDGPU.csdata,"",@progbits
; Kernel info:
; codeLenInByte = 6972
; TotalNumSgprs: 18
; NumVgprs: 119
; ScratchSize: 0
; MemoryBound: 0
; FloatMode: 240
; IeeeMode: 1
; LDSByteSize: 0 bytes/workgroup (compile time only)
; SGPRBlocks: 0
; VGPRBlocks: 14
; NumSGPRsForWavesPerEU: 18
; NumVGPRsForWavesPerEU: 119
; Occupancy: 8
; WaveLimiterHint : 1
; COMPUTE_PGM_RSRC2:SCRATCH_EN: 0
; COMPUTE_PGM_RSRC2:USER_SGPR: 6
; COMPUTE_PGM_RSRC2:TRAP_HANDLER: 0
; COMPUTE_PGM_RSRC2:TGID_X_EN: 1
; COMPUTE_PGM_RSRC2:TGID_Y_EN: 0
; COMPUTE_PGM_RSRC2:TGID_Z_EN: 0
; COMPUTE_PGM_RSRC2:TIDIG_COMP_CNT: 0
	.section	.text._ZN9rocsparseL18bsrxmvn_4x4_kernelILj128ELj32E21rocsparse_complex_numIfEiiS2_S2_S2_EEvT3_20rocsparse_direction_NS_24const_host_device_scalarIT1_EES3_PKS3_PKT2_SC_S9_PKT4_PKT5_S7_PT6_21rocsparse_index_base_b,"axG",@progbits,_ZN9rocsparseL18bsrxmvn_4x4_kernelILj128ELj32E21rocsparse_complex_numIfEiiS2_S2_S2_EEvT3_20rocsparse_direction_NS_24const_host_device_scalarIT1_EES3_PKS3_PKT2_SC_S9_PKT4_PKT5_S7_PT6_21rocsparse_index_base_b,comdat
	.globl	_ZN9rocsparseL18bsrxmvn_4x4_kernelILj128ELj32E21rocsparse_complex_numIfEiiS2_S2_S2_EEvT3_20rocsparse_direction_NS_24const_host_device_scalarIT1_EES3_PKS3_PKT2_SC_S9_PKT4_PKT5_S7_PT6_21rocsparse_index_base_b ; -- Begin function _ZN9rocsparseL18bsrxmvn_4x4_kernelILj128ELj32E21rocsparse_complex_numIfEiiS2_S2_S2_EEvT3_20rocsparse_direction_NS_24const_host_device_scalarIT1_EES3_PKS3_PKT2_SC_S9_PKT4_PKT5_S7_PT6_21rocsparse_index_base_b
	.p2align	8
	.type	_ZN9rocsparseL18bsrxmvn_4x4_kernelILj128ELj32E21rocsparse_complex_numIfEiiS2_S2_S2_EEvT3_20rocsparse_direction_NS_24const_host_device_scalarIT1_EES3_PKS3_PKT2_SC_S9_PKT4_PKT5_S7_PT6_21rocsparse_index_base_b,@function
_ZN9rocsparseL18bsrxmvn_4x4_kernelILj128ELj32E21rocsparse_complex_numIfEiiS2_S2_S2_EEvT3_20rocsparse_direction_NS_24const_host_device_scalarIT1_EES3_PKS3_PKT2_SC_S9_PKT4_PKT5_S7_PT6_21rocsparse_index_base_b: ; @_ZN9rocsparseL18bsrxmvn_4x4_kernelILj128ELj32E21rocsparse_complex_numIfEiiS2_S2_S2_EEvT3_20rocsparse_direction_NS_24const_host_device_scalarIT1_EES3_PKS3_PKT2_SC_S9_PKT4_PKT5_S7_PT6_21rocsparse_index_base_b
; %bb.0:
	s_clause 0x2
	s_load_dwordx2 s[2:3], s[4:5], 0x58
	s_load_dwordx2 s[0:1], s[4:5], 0x8
	;; [unrolled: 1-line block ×3, first 2 shown]
	s_add_u32 s7, s4, 8
	s_addc_u32 s10, s5, 0
	s_add_u32 s11, s4, 0x48
	s_addc_u32 s12, s5, 0
	s_waitcnt lgkmcnt(0)
	s_bitcmp1_b32 s3, 0
	s_cselect_b32 s0, s7, s0
	s_cselect_b32 s1, s10, s1
	v_mov_b32_e32 v1, s0
	v_mov_b32_e32 v2, s1
	s_cselect_b32 s0, s11, s8
	s_cselect_b32 s1, s12, s9
	flat_load_dwordx2 v[66:67], v[1:2]
	v_mov_b32_e32 v1, s0
	v_mov_b32_e32 v2, s1
	flat_load_dwordx2 v[64:65], v[1:2]
	s_waitcnt vmcnt(1) lgkmcnt(1)
	v_cmp_eq_f32_e32 vcc_lo, 0, v66
	v_cmp_eq_f32_e64 s0, 0, v67
	s_and_b32 s3, vcc_lo, s0
	s_mov_b32 s0, -1
	s_and_saveexec_b32 s1, s3
	s_cbranch_execz .LBB13_2
; %bb.1:
	s_waitcnt vmcnt(0) lgkmcnt(0)
	v_cmp_neq_f32_e32 vcc_lo, 1.0, v64
	v_cmp_neq_f32_e64 s0, 0, v65
	s_or_b32 s0, vcc_lo, s0
	s_orn2_b32 s0, s0, exec_lo
.LBB13_2:
	s_or_b32 exec_lo, exec_lo, s1
	s_and_saveexec_b32 s1, s0
	s_cbranch_execz .LBB13_8
; %bb.3:
	s_clause 0x1
	s_load_dwordx2 s[8:9], s[4:5], 0x18
	s_load_dwordx2 s[0:1], s[4:5], 0x0
	v_lshrrev_b32_e32 v1, 5, v0
	v_lshl_or_b32 v68, s6, 2, v1
	s_waitcnt lgkmcnt(0)
	s_cmp_lg_u64 s[8:9], 0
	s_cbranch_scc0 .LBB13_9
; %bb.4:
	s_load_dword s3, s[4:5], 0x10
	s_mov_b32 s6, 0
                                        ; implicit-def: $vgpr1
	s_waitcnt lgkmcnt(0)
	v_cmp_gt_i32_e32 vcc_lo, s3, v68
	s_mov_b32 s3, 0
	s_and_saveexec_b32 s7, vcc_lo
	s_xor_b32 s7, exec_lo, s7
	s_cbranch_execz .LBB13_6
; %bb.5:
	v_ashrrev_i32_e32 v69, 31, v68
	s_mov_b32 s3, exec_lo
	v_lshlrev_b64 v[1:2], 2, v[68:69]
	v_add_co_u32 v1, vcc_lo, s8, v1
	v_add_co_ci_u32_e64 v2, null, s9, v2, vcc_lo
	global_load_dword v1, v[1:2], off
	s_waitcnt vmcnt(0)
	v_subrev_nc_u32_e32 v1, s2, v1
.LBB13_6:
	s_or_b32 exec_lo, exec_lo, s7
	s_and_b32 vcc_lo, exec_lo, s6
	s_cbranch_vccz .LBB13_10
.LBB13_7:
	v_cmp_gt_i32_e32 vcc_lo, s0, v68
	s_andn2_b32 s0, s3, exec_lo
	s_and_b32 s3, vcc_lo, exec_lo
	s_or_b32 s3, s0, s3
	s_and_b32 exec_lo, exec_lo, s3
	s_cbranch_execnz .LBB13_11
.LBB13_8:
	s_endpgm
.LBB13_9:
	s_mov_b32 s3, 0
                                        ; implicit-def: $vgpr1
	s_cbranch_execnz .LBB13_7
.LBB13_10:
	v_mov_b32_e32 v68, v1
	s_and_b32 exec_lo, exec_lo, s3
	s_cbranch_execz .LBB13_8
.LBB13_11:
	s_load_dwordx8 s[8:15], s[4:5], 0x20
	v_ashrrev_i32_e32 v69, 31, v68
	v_and_b32_e32 v77, 31, v0
	s_load_dwordx2 s[6:7], s[4:5], 0x40
	v_lshlrev_b64 v[1:2], 2, v[68:69]
	s_waitcnt lgkmcnt(0)
	v_add_co_u32 v3, vcc_lo, s8, v1
	v_add_co_ci_u32_e64 v4, null, s9, v2, vcc_lo
	v_add_co_u32 v1, vcc_lo, s10, v1
	v_add_co_ci_u32_e64 v2, null, s11, v2, vcc_lo
	global_load_dword v87, v[3:4], off
	v_add_co_u32 v3, vcc_lo, v3, 4
	v_add_co_ci_u32_e64 v4, null, 0, v4, vcc_lo
	s_cmp_eq_u64 s[10:11], 0
	s_cselect_b32 vcc_lo, -1, 0
	s_cmp_eq_u32 s1, 1
	v_cndmask_b32_e32 v2, v2, v4, vcc_lo
	v_cndmask_b32_e32 v1, v1, v3, vcc_lo
	global_load_dword v2, v[1:2], off
	s_waitcnt vmcnt(1)
	v_subrev_nc_u32_e32 v0, s2, v87
	v_add_nc_u32_e32 v69, v0, v77
	v_ashrrev_i32_e32 v70, 31, v69
	s_waitcnt vmcnt(0)
	v_subrev_nc_u32_e32 v82, s2, v2
	v_lshlrev_b64 v[0:1], 7, v[69:70]
	v_cmp_lt_i32_e64 s0, v69, v82
	v_add_co_u32 v71, vcc_lo, s14, v0
	v_add_co_ci_u32_e64 v72, null, s15, v1, vcc_lo
	s_cbranch_scc1 .LBB13_23
; %bb.12:
	v_mov_b32_e32 v78, 0
	v_mov_b32_e32 v85, 0
	;; [unrolled: 1-line block ×8, first 2 shown]
	s_and_saveexec_b32 s1, s0
	s_cbranch_execz .LBB13_22
; %bb.13:
	v_add_nc_u32_e32 v0, v87, v77
	v_not_b32_e32 v1, v87
	v_mov_b32_e32 v74, v72
	v_mov_b32_e32 v79, 0
	;; [unrolled: 1-line block ×3, first 2 shown]
	v_subrev_nc_u32_e32 v0, s2, v0
	v_mov_b32_e32 v81, 0
	v_mov_b32_e32 v84, 0
	;; [unrolled: 1-line block ×4, first 2 shown]
	v_add_nc_u32_e32 v0, 32, v0
	v_mov_b32_e32 v85, 0
	v_mov_b32_e32 v78, 0
	;; [unrolled: 1-line block ×4, first 2 shown]
	v_max_i32_e32 v0, v0, v82
	s_mov_b32 s3, exec_lo
	v_add3_u32 v0, s2, v0, v1
	v_sub_nc_u32_e32 v0, v0, v77
	v_and_b32_e32 v1, 0x60, v0
	v_cmpx_ne_u32_e32 0x60, v1
	s_cbranch_execz .LBB13_17
; %bb.14:
	v_lshrrev_b32_e32 v1, 5, v0
	v_mov_b32_e32 v74, v72
	v_mov_b32_e32 v78, 0
	;; [unrolled: 1-line block ×4, first 2 shown]
	v_add_nc_u32_e32 v1, 1, v1
	v_mov_b32_e32 v85, 0
	v_mov_b32_e32 v83, 0
	v_mov_b32_e32 v80, 0
	v_mov_b32_e32 v84, 0
	v_and_b32_e32 v1, 3, v1
	v_mov_b32_e32 v81, 0
	v_mov_b32_e32 v86, 0
	;; [unrolled: 1-line block ×3, first 2 shown]
	s_mov_b32 s8, 0
	v_sub_nc_u32_e32 v1, 0, v1
.LBB13_15:                              ; =>This Inner Loop Header: Depth=1
	v_ashrrev_i32_e32 v76, 31, v75
	v_add_co_u32 v1, s9, v1, 1
	s_or_b32 s8, s9, s8
	v_lshlrev_b64 v[2:3], 2, v[75:76]
	v_add_nc_u32_e32 v75, 32, v75
	v_add_co_u32 v2, vcc_lo, s12, v2
	v_add_co_ci_u32_e64 v3, null, s13, v3, vcc_lo
	global_load_dword v34, v[2:3], off
	s_clause 0x7
	global_load_dwordx4 v[2:5], v[73:74], off offset:48
	global_load_dwordx4 v[6:9], v[73:74], off offset:32
	;; [unrolled: 1-line block ×3, first 2 shown]
	global_load_dwordx4 v[14:17], v[73:74], off
	global_load_dwordx4 v[18:21], v[73:74], off offset:112
	global_load_dwordx4 v[22:25], v[73:74], off offset:96
	;; [unrolled: 1-line block ×4, first 2 shown]
	s_waitcnt vmcnt(8)
	v_subrev_nc_u32_e32 v34, s2, v34
	v_lshlrev_b32_e32 v34, 2, v34
	v_ashrrev_i32_e32 v35, 31, v34
	v_lshlrev_b64 v[34:35], 3, v[34:35]
	v_add_co_u32 v38, vcc_lo, s6, v34
	v_add_co_ci_u32_e64 v39, null, s7, v35, vcc_lo
	v_add_co_u32 v73, vcc_lo, 0x1000, v73
	v_add_co_ci_u32_e64 v74, null, 0, v74, vcc_lo
	s_clause 0x1
	global_load_dwordx4 v[34:37], v[38:39], off
	global_load_dwordx4 v[38:41], v[38:39], off offset:16
	s_waitcnt vmcnt(1)
	v_fmac_f32_e32 v85, v14, v34
	v_fmac_f32_e32 v78, v15, v34
	;; [unrolled: 1-line block ×8, first 2 shown]
	v_fma_f32 v15, -v15, v35, v85
	v_fmac_f32_e32 v78, v14, v35
	v_fma_f32 v7, -v7, v35, v86
	v_fmac_f32_e32 v79, v6, v35
	;; [unrolled: 2-line block ×4, first 2 shown]
	v_fmac_f32_e32 v15, v16, v36
	v_fmac_f32_e32 v78, v17, v36
	;; [unrolled: 1-line block ×8, first 2 shown]
	v_fma_f32 v15, -v17, v37, v15
	v_fmac_f32_e32 v78, v16, v37
	v_fma_f32 v7, -v9, v37, v7
	v_fmac_f32_e32 v79, v8, v37
	;; [unrolled: 2-line block ×4, first 2 shown]
	s_waitcnt vmcnt(0)
	v_fmac_f32_e32 v15, v10, v38
	v_fmac_f32_e32 v78, v11, v38
	;; [unrolled: 1-line block ×8, first 2 shown]
	v_fma_f32 v9, -v11, v39, v15
	v_fmac_f32_e32 v78, v10, v39
	v_fma_f32 v3, -v3, v39, v7
	v_fmac_f32_e32 v79, v2, v39
	;; [unrolled: 2-line block ×4, first 2 shown]
	v_fmac_f32_e32 v9, v12, v40
	v_fmac_f32_e32 v78, v13, v40
	;; [unrolled: 1-line block ×8, first 2 shown]
	v_fma_f32 v85, -v13, v41, v9
	v_fmac_f32_e32 v78, v12, v41
	v_fma_f32 v86, -v5, v41, v3
	v_fmac_f32_e32 v79, v4, v41
	;; [unrolled: 2-line block ×4, first 2 shown]
	s_andn2_b32 exec_lo, exec_lo, s8
	s_cbranch_execnz .LBB13_15
; %bb.16:
	s_or_b32 exec_lo, exec_lo, s8
.LBB13_17:
	s_or_b32 exec_lo, exec_lo, s3
	s_mov_b32 s3, exec_lo
	v_cmpx_lt_u32_e32 0x5f, v0
	s_cbranch_execz .LBB13_21
; %bb.18:
	s_mov_b32 s8, 0
.LBB13_19:                              ; =>This Inner Loop Header: Depth=1
	v_ashrrev_i32_e32 v76, 31, v75
	v_add_co_u32 v32, vcc_lo, 0x1000, v73
	v_add_co_ci_u32_e64 v33, null, 0, v74, vcc_lo
	v_lshlrev_b64 v[104:105], 2, v[75:76]
	v_add_co_u32 v112, vcc_lo, 0x2000, v73
	v_add_co_ci_u32_e64 v113, null, 0, v74, vcc_lo
	v_add_co_u32 v114, vcc_lo, 0x3000, v73
	v_add_co_ci_u32_e64 v115, null, 0, v74, vcc_lo
	;; [unrolled: 2-line block ×3, first 2 shown]
	s_clause 0x13
	global_load_dwordx4 v[0:3], v[73:74], off offset:48
	global_load_dwordx4 v[12:15], v[73:74], off offset:32
	global_load_dwordx4 v[4:7], v[73:74], off offset:16
	global_load_dwordx4 v[16:19], v[73:74], off
	global_load_dwordx4 v[8:11], v[73:74], off offset:112
	global_load_dwordx4 v[24:27], v[73:74], off offset:96
	;; [unrolled: 1-line block ×6, first 2 shown]
	global_load_dwordx4 v[92:95], v[32:33], off
	global_load_dwordx4 v[56:59], v[32:33], off offset:16
	global_load_dwordx4 v[36:39], v[32:33], off offset:112
	;; [unrolled: 1-line block ×7, first 2 shown]
	global_load_dwordx4 v[60:63], v[112:113], off
	global_load_dwordx4 v[40:43], v[112:113], off offset:16
	s_clause 0x3
	global_load_dword v70, v[104:105], off
	global_load_dword v76, v[104:105], off offset:128
	global_load_dword v116, v[104:105], off offset:256
	;; [unrolled: 1-line block ×3, first 2 shown]
	v_add_nc_u32_e32 v75, 0x80, v75
	s_waitcnt vmcnt(3)
	v_subrev_nc_u32_e32 v70, s2, v70
	s_waitcnt vmcnt(2)
	v_subrev_nc_u32_e32 v76, s2, v76
	v_lshlrev_b32_e32 v104, 2, v70
	v_ashrrev_i32_e32 v105, 31, v104
	v_lshlrev_b64 v[104:105], 3, v[104:105]
	v_add_co_u32 v108, vcc_lo, s6, v104
	v_add_co_ci_u32_e64 v109, null, s7, v105, vcc_lo
	s_clause 0x1
	global_load_dwordx4 v[104:107], v[108:109], off
	global_load_dwordx4 v[108:111], v[108:109], off offset:16
	s_waitcnt vmcnt(1)
	v_fmac_f32_e32 v85, v16, v104
	v_fmac_f32_e32 v78, v17, v104
	;; [unrolled: 1-line block ×8, first 2 shown]
	v_fma_f32 v17, -v17, v105, v85
	v_fmac_f32_e32 v78, v16, v105
	v_fma_f32 v13, -v13, v105, v86
	v_fmac_f32_e32 v79, v12, v105
	;; [unrolled: 2-line block ×4, first 2 shown]
	v_fmac_f32_e32 v17, v18, v106
	v_fmac_f32_e32 v78, v19, v106
	;; [unrolled: 1-line block ×8, first 2 shown]
	v_lshlrev_b32_e32 v83, 2, v76
	v_fma_f32 v70, -v19, v107, v17
	v_fmac_f32_e32 v78, v18, v107
	v_fma_f32 v85, -v15, v107, v13
	v_fmac_f32_e32 v79, v14, v107
	;; [unrolled: 2-line block ×4, first 2 shown]
	v_ashrrev_i32_e32 v84, 31, v83
	s_waitcnt vmcnt(0)
	v_fmac_f32_e32 v70, v4, v108
	v_fmac_f32_e32 v78, v5, v108
	;; [unrolled: 1-line block ×8, first 2 shown]
	v_lshlrev_b64 v[83:84], 3, v[83:84]
	v_fma_f32 v5, -v5, v109, v70
	v_fmac_f32_e32 v78, v4, v109
	v_fma_f32 v1, -v1, v109, v85
	v_fmac_f32_e32 v79, v0, v109
	;; [unrolled: 2-line block ×4, first 2 shown]
	v_add_co_u32 v83, vcc_lo, s6, v83
	v_add_co_ci_u32_e64 v84, null, s7, v84, vcc_lo
	v_fmac_f32_e32 v5, v6, v110
	v_fmac_f32_e32 v78, v7, v110
	;; [unrolled: 1-line block ×8, first 2 shown]
	s_clause 0x4
	global_load_dwordx4 v[16:19], v[112:113], off offset:112
	global_load_dwordx4 v[12:15], v[112:113], off offset:96
	;; [unrolled: 1-line block ×5, first 2 shown]
	v_fma_f32 v70, -v7, v111, v5
	v_fmac_f32_e32 v78, v6, v111
	global_load_dwordx4 v[4:7], v[114:115], off offset:32
	v_fma_f32 v76, -v3, v111, v1
	v_fmac_f32_e32 v79, v2, v111
	global_load_dwordx4 v[0:3], v[114:115], off offset:112
	;; [unrolled: 3-line block ×3, first 2 shown]
	v_fma_f32 v113, -v11, v111, v9
	v_fmac_f32_e32 v80, v10, v111
	s_clause 0x1
	global_load_dwordx4 v[8:11], v[83:84], off
	global_load_dwordx4 v[83:86], v[83:84], off offset:16
	s_waitcnt vmcnt(1)
	v_fmac_f32_e32 v70, v92, v8
	v_fmac_f32_e32 v78, v93, v8
	;; [unrolled: 1-line block ×6, first 2 shown]
	v_fma_f32 v70, -v93, v9, v70
	v_fmac_f32_e32 v78, v92, v9
	v_fma_f32 v76, -v89, v9, v76
	v_fmac_f32_e32 v79, v88, v9
	;; [unrolled: 2-line block ×3, first 2 shown]
	v_fmac_f32_e32 v113, v96, v8
	v_fmac_f32_e32 v70, v94, v10
	;; [unrolled: 1-line block ×7, first 2 shown]
	v_subrev_nc_u32_e32 v112, s2, v116
	v_fmac_f32_e32 v80, v97, v8
	v_fma_f32 v8, -v97, v9, v113
	v_fma_f32 v70, -v95, v11, v70
	v_fmac_f32_e32 v78, v94, v11
	global_load_dwordx4 v[92:95], v[114:115], off offset:80
	v_fma_f32 v76, -v91, v11, v76
	v_fmac_f32_e32 v79, v90, v11
	global_load_dwordx4 v[88:91], v[114:115], off offset:64
	v_fma_f32 v118, -v103, v11, v101
	v_fmac_f32_e32 v81, v102, v11
	s_clause 0x1
	global_load_dwordx4 v[100:103], v[114:115], off
	global_load_dwordx4 v[108:111], v[114:115], off offset:16
	v_subrev_nc_u32_e32 v114, s2, v117
	v_lshlrev_b32_e32 v112, 2, v112
	v_fmac_f32_e32 v80, v96, v9
	v_fmac_f32_e32 v8, v98, v10
	s_waitcnt vmcnt(4)
	v_fmac_f32_e32 v70, v56, v83
	v_fmac_f32_e32 v78, v57, v83
	v_ashrrev_i32_e32 v113, 31, v112
	v_fmac_f32_e32 v80, v99, v10
	v_fma_f32 v115, -v99, v11, v8
	v_lshlrev_b32_e32 v8, 2, v114
	v_fma_f32 v57, -v57, v84, v70
	v_fmac_f32_e32 v78, v56, v84
	v_fmac_f32_e32 v80, v98, v11
	v_lshlrev_b64 v[10:11], 3, v[112:113]
	v_ashrrev_i32_e32 v9, 31, v8
	v_fmac_f32_e32 v57, v58, v85
	v_fmac_f32_e32 v78, v59, v85
	;; [unrolled: 1-line block ×4, first 2 shown]
	v_lshlrev_b64 v[8:9], 3, v[8:9]
	v_add_co_u32 v96, vcc_lo, s6, v10
	v_add_co_ci_u32_e64 v97, null, s7, v11, vcc_lo
	v_fma_f32 v70, -v59, v86, v57
	v_add_co_u32 v112, vcc_lo, s6, v8
	v_add_co_ci_u32_e64 v113, null, s7, v9, vcc_lo
	s_clause 0x1
	global_load_dwordx4 v[8:11], v[96:97], off
	global_load_dwordx4 v[96:99], v[96:97], off offset:16
	v_fmac_f32_e32 v78, v58, v86
	v_fma_f32 v45, -v45, v84, v76
	global_load_dwordx4 v[56:59], v[112:113], off
	v_fmac_f32_e32 v79, v44, v84
	v_fmac_f32_e32 v118, v48, v83
	;; [unrolled: 1-line block ×7, first 2 shown]
	v_fma_f32 v49, -v49, v84, v118
	v_fma_f32 v76, -v47, v86, v45
	v_fmac_f32_e32 v81, v48, v84
	v_fmac_f32_e32 v79, v46, v86
	global_load_dwordx4 v[44:47], v[112:113], off offset:16
	v_fma_f32 v37, -v37, v84, v115
	v_fmac_f32_e32 v80, v36, v84
	v_fmac_f32_e32 v49, v50, v85
	;; [unrolled: 1-line block ×3, first 2 shown]
	v_add_co_u32 v73, vcc_lo, 0x4000, v73
	v_fmac_f32_e32 v37, v38, v85
	v_fmac_f32_e32 v80, v39, v85
	v_fma_f32 v36, -v51, v86, v49
	v_fmac_f32_e32 v81, v50, v86
	v_add_co_ci_u32_e64 v74, null, 0, v74, vcc_lo
	v_fma_f32 v37, -v39, v86, v37
	v_fmac_f32_e32 v80, v38, v86
	v_cmp_ge_i32_e32 vcc_lo, v75, v82
	s_or_b32 s8, vcc_lo, s8
	s_waitcnt vmcnt(3)
	v_fmac_f32_e32 v70, v60, v8
	v_fmac_f32_e32 v78, v61, v8
	v_fmac_f32_e32 v76, v52, v8
	v_fmac_f32_e32 v79, v53, v8
	v_fmac_f32_e32 v36, v24, v8
	v_fmac_f32_e32 v81, v25, v8
	v_fmac_f32_e32 v37, v12, v8
	v_fmac_f32_e32 v80, v13, v8
	v_fma_f32 v8, -v61, v9, v70
	v_fmac_f32_e32 v78, v60, v9
	v_fma_f32 v38, -v53, v9, v76
	v_fmac_f32_e32 v79, v52, v9
	v_fma_f32 v25, -v25, v9, v36
	v_fmac_f32_e32 v81, v24, v9
	v_fma_f32 v13, -v13, v9, v37
	v_fmac_f32_e32 v80, v12, v9
	v_fmac_f32_e32 v8, v62, v10
	v_fmac_f32_e32 v78, v63, v10
	v_fmac_f32_e32 v38, v54, v10
	v_fmac_f32_e32 v79, v55, v10
	v_fmac_f32_e32 v25, v26, v10
	v_fmac_f32_e32 v81, v27, v10
	v_fmac_f32_e32 v13, v14, v10
	v_fmac_f32_e32 v80, v15, v10
	v_fma_f32 v8, -v63, v11, v8
	v_fmac_f32_e32 v78, v62, v11
	v_fma_f32 v9, -v55, v11, v38
	v_fmac_f32_e32 v79, v54, v11
	v_fma_f32 v10, -v27, v11, v25
	v_fmac_f32_e32 v81, v26, v11
	v_fma_f32 v12, -v15, v11, v13
	v_fmac_f32_e32 v80, v14, v11
	s_waitcnt vmcnt(2)
	v_fmac_f32_e32 v8, v40, v96
	v_fmac_f32_e32 v78, v41, v96
	v_fmac_f32_e32 v9, v32, v96
	v_fmac_f32_e32 v79, v33, v96
	v_fmac_f32_e32 v10, v28, v96
	v_fmac_f32_e32 v81, v29, v96
	v_fmac_f32_e32 v12, v16, v96
	v_fmac_f32_e32 v80, v17, v96
	v_fma_f32 v8, -v41, v97, v8
	v_fmac_f32_e32 v78, v40, v97
	v_fma_f32 v9, -v33, v97, v9
	v_fmac_f32_e32 v79, v32, v97
	v_fma_f32 v10, -v29, v97, v10
	v_fmac_f32_e32 v81, v28, v97
	v_fma_f32 v11, -v17, v97, v12
	v_fmac_f32_e32 v80, v16, v97
	v_fmac_f32_e32 v8, v42, v98
	v_fmac_f32_e32 v78, v43, v98
	v_fmac_f32_e32 v9, v34, v98
	v_fmac_f32_e32 v79, v35, v98
	v_fmac_f32_e32 v10, v30, v98
	v_fmac_f32_e32 v81, v31, v98
	v_fmac_f32_e32 v11, v18, v98
	v_fmac_f32_e32 v80, v19, v98
	v_fma_f32 v8, -v43, v99, v8
	v_fmac_f32_e32 v78, v42, v99
	v_fma_f32 v9, -v35, v99, v9
	v_fmac_f32_e32 v79, v34, v99
	v_fma_f32 v10, -v31, v99, v10
	v_fmac_f32_e32 v81, v30, v99
	v_fma_f32 v11, -v19, v99, v11
	v_fmac_f32_e32 v80, v18, v99
	;; [unrolled: 33-line block ×4, first 2 shown]
	s_andn2_b32 exec_lo, exec_lo, s8
	s_cbranch_execnz .LBB13_19
; %bb.20:
	s_or_b32 exec_lo, exec_lo, s8
.LBB13_21:
	s_or_b32 exec_lo, exec_lo, s3
.LBB13_22:
	s_or_b32 exec_lo, exec_lo, s1
	s_cbranch_execz .LBB13_24
	s_branch .LBB13_35
.LBB13_23:
                                        ; implicit-def: $vgpr78
                                        ; implicit-def: $vgpr85
                                        ; implicit-def: $vgpr83
                                        ; implicit-def: $vgpr80
                                        ; implicit-def: $vgpr84
                                        ; implicit-def: $vgpr81
                                        ; implicit-def: $vgpr86
                                        ; implicit-def: $vgpr79
.LBB13_24:
	v_mov_b32_e32 v78, 0
	v_mov_b32_e32 v85, 0
	;; [unrolled: 1-line block ×8, first 2 shown]
	s_and_saveexec_b32 s1, s0
	s_cbranch_execz .LBB13_34
; %bb.25:
	v_add_nc_u32_e32 v0, v87, v77
	v_not_b32_e32 v1, v87
	v_mov_b32_e32 v79, 0
	v_mov_b32_e32 v86, 0
	;; [unrolled: 1-line block ×3, first 2 shown]
	v_subrev_nc_u32_e32 v0, s2, v0
	v_mov_b32_e32 v84, 0
	v_mov_b32_e32 v80, 0
	;; [unrolled: 1-line block ×4, first 2 shown]
	v_add_nc_u32_e32 v0, 32, v0
	v_mov_b32_e32 v78, 0
	s_mov_b32 s0, exec_lo
	v_max_i32_e32 v0, v0, v82
	v_add3_u32 v0, s2, v0, v1
	v_sub_nc_u32_e32 v0, v0, v77
	v_and_b32_e32 v1, 0x60, v0
	v_cmpx_ne_u32_e32 0x60, v1
	s_cbranch_execz .LBB13_29
; %bb.26:
	v_lshrrev_b32_e32 v1, 5, v0
	v_mov_b32_e32 v78, 0
	v_mov_b32_e32 v85, 0
	;; [unrolled: 1-line block ×4, first 2 shown]
	v_add_nc_u32_e32 v1, 1, v1
	v_mov_b32_e32 v84, 0
	v_mov_b32_e32 v81, 0
	;; [unrolled: 1-line block ×4, first 2 shown]
	v_and_b32_e32 v1, 3, v1
	s_mov_b32 s3, 0
	v_sub_nc_u32_e32 v1, 0, v1
.LBB13_27:                              ; =>This Inner Loop Header: Depth=1
	v_ashrrev_i32_e32 v70, 31, v69
	v_add_co_u32 v1, s8, v1, 1
	s_or_b32 s3, s8, s3
	v_lshlrev_b64 v[2:3], 2, v[69:70]
	v_add_nc_u32_e32 v69, 32, v69
	v_add_co_u32 v2, vcc_lo, s12, v2
	v_add_co_ci_u32_e64 v3, null, s13, v3, vcc_lo
	global_load_dword v14, v[2:3], off
	s_clause 0x2
	global_load_dwordx4 v[2:5], v[71:72], off offset:32
	global_load_dwordx4 v[6:9], v[71:72], off offset:16
	global_load_dwordx4 v[10:13], v[71:72], off
	s_waitcnt vmcnt(3)
	v_subrev_nc_u32_e32 v14, s2, v14
	v_lshlrev_b32_e32 v14, 2, v14
	v_ashrrev_i32_e32 v15, 31, v14
	v_lshlrev_b64 v[14:15], 3, v[14:15]
	v_add_co_u32 v18, vcc_lo, s6, v14
	v_add_co_ci_u32_e64 v19, null, s7, v15, vcc_lo
	s_clause 0x1
	global_load_dwordx4 v[14:17], v[18:19], off
	global_load_dwordx4 v[18:21], v[18:19], off offset:16
	s_clause 0x4
	global_load_dwordx4 v[22:25], v[71:72], off offset:48
	global_load_dwordx4 v[26:29], v[71:72], off offset:64
	;; [unrolled: 1-line block ×5, first 2 shown]
	v_add_co_u32 v71, vcc_lo, 0x1000, v71
	v_add_co_ci_u32_e64 v72, null, 0, v72, vcc_lo
	s_waitcnt vmcnt(6)
	v_fmac_f32_e32 v85, v10, v14
	v_fmac_f32_e32 v78, v11, v14
	;; [unrolled: 1-line block ×8, first 2 shown]
	v_fma_f32 v11, -v11, v15, v85
	v_fmac_f32_e32 v78, v10, v15
	v_fma_f32 v10, -v13, v15, v86
	v_fmac_f32_e32 v79, v12, v15
	;; [unrolled: 2-line block ×4, first 2 shown]
	v_fmac_f32_e32 v11, v2, v16
	v_fmac_f32_e32 v78, v3, v16
	;; [unrolled: 1-line block ×4, first 2 shown]
	s_waitcnt vmcnt(4)
	v_fmac_f32_e32 v7, v22, v16
	v_fmac_f32_e32 v81, v23, v16
	;; [unrolled: 1-line block ×4, first 2 shown]
	v_fma_f32 v3, -v3, v17, v11
	v_fmac_f32_e32 v78, v2, v17
	v_fma_f32 v2, -v5, v17, v10
	v_fmac_f32_e32 v79, v4, v17
	;; [unrolled: 2-line block ×4, first 2 shown]
	s_waitcnt vmcnt(3)
	v_fmac_f32_e32 v3, v26, v18
	v_fmac_f32_e32 v78, v27, v18
	;; [unrolled: 1-line block ×4, first 2 shown]
	s_waitcnt vmcnt(2)
	v_fmac_f32_e32 v4, v30, v18
	v_fmac_f32_e32 v81, v31, v18
	;; [unrolled: 1-line block ×4, first 2 shown]
	v_fma_f32 v3, -v27, v19, v3
	v_fmac_f32_e32 v78, v26, v19
	v_fma_f32 v2, -v29, v19, v2
	v_fmac_f32_e32 v79, v28, v19
	;; [unrolled: 2-line block ×4, first 2 shown]
	s_waitcnt vmcnt(1)
	v_fmac_f32_e32 v3, v34, v20
	v_fmac_f32_e32 v78, v35, v20
	;; [unrolled: 1-line block ×4, first 2 shown]
	s_waitcnt vmcnt(0)
	v_fmac_f32_e32 v4, v38, v20
	v_fmac_f32_e32 v81, v39, v20
	v_fmac_f32_e32 v5, v40, v20
	v_fmac_f32_e32 v80, v41, v20
	v_fma_f32 v85, -v35, v21, v3
	v_fmac_f32_e32 v78, v34, v21
	v_fma_f32 v86, -v37, v21, v2
	v_fmac_f32_e32 v79, v36, v21
	v_fma_f32 v84, -v39, v21, v4
	v_fmac_f32_e32 v81, v38, v21
	v_fma_f32 v83, -v41, v21, v5
	v_fmac_f32_e32 v80, v40, v21
	s_andn2_b32 exec_lo, exec_lo, s3
	s_cbranch_execnz .LBB13_27
; %bb.28:
	s_or_b32 exec_lo, exec_lo, s3
.LBB13_29:
	s_or_b32 exec_lo, exec_lo, s0
	s_mov_b32 s0, exec_lo
	v_cmpx_lt_u32_e32 0x5f, v0
	s_cbranch_execz .LBB13_33
; %bb.30:
	s_mov_b32 s3, 0
.LBB13_31:                              ; =>This Inner Loop Header: Depth=1
	v_ashrrev_i32_e32 v70, 31, v69
	v_add_co_u32 v60, vcc_lo, 0x1000, v71
	v_add_co_ci_u32_e64 v61, null, 0, v72, vcc_lo
	v_lshlrev_b64 v[73:74], 2, v[69:70]
	v_add_co_u32 v91, vcc_lo, 0x2000, v71
	v_add_co_ci_u32_e64 v92, null, 0, v72, vcc_lo
	v_add_co_u32 v94, vcc_lo, 0x3000, v71
	v_add_co_ci_u32_e64 v95, null, 0, v72, vcc_lo
	;; [unrolled: 2-line block ×3, first 2 shown]
	s_clause 0xf
	global_load_dwordx4 v[8:11], v[71:72], off offset:48
	global_load_dwordx4 v[16:19], v[71:72], off offset:32
	;; [unrolled: 1-line block ×3, first 2 shown]
	global_load_dwordx4 v[24:27], v[71:72], off
	global_load_dwordx4 v[0:3], v[71:72], off offset:112
	global_load_dwordx4 v[4:7], v[71:72], off offset:96
	;; [unrolled: 1-line block ×6, first 2 shown]
	global_load_dwordx4 v[40:43], v[60:61], off
	global_load_dwordx4 v[44:47], v[60:61], off offset:16
	global_load_dwordx4 v[48:51], v[60:61], off offset:112
	;; [unrolled: 1-line block ×5, first 2 shown]
	s_clause 0x3
	global_load_dword v70, v[73:74], off
	global_load_dword v93, v[73:74], off offset:128
	global_load_dword v96, v[73:74], off offset:256
	;; [unrolled: 1-line block ×3, first 2 shown]
	v_add_nc_u32_e32 v69, 0x80, v69
	s_waitcnt vmcnt(3)
	v_subrev_nc_u32_e32 v70, s2, v70
	v_lshlrev_b32_e32 v73, 2, v70
	v_ashrrev_i32_e32 v74, 31, v73
	v_lshlrev_b64 v[73:74], 3, v[73:74]
	v_add_co_u32 v87, vcc_lo, s6, v73
	v_add_co_ci_u32_e64 v88, null, s7, v74, vcc_lo
	s_clause 0x1
	global_load_dwordx4 v[73:76], v[87:88], off
	global_load_dwordx4 v[87:90], v[87:88], off offset:16
	s_waitcnt vmcnt(1)
	v_fmac_f32_e32 v78, v25, v73
	v_fmac_f32_e32 v85, v24, v73
	;; [unrolled: 1-line block ×6, first 2 shown]
	v_fma_f32 v70, -v25, v74, v85
	v_fma_f32 v83, -v23, v74, v83
	;; [unrolled: 1-line block ×3, first 2 shown]
	v_fmac_f32_e32 v84, v20, v73
	v_fmac_f32_e32 v78, v17, v75
	v_fmac_f32_e32 v70, v16, v75
	v_fmac_f32_e32 v83, v10, v75
	v_fmac_f32_e32 v81, v21, v73
	v_fmac_f32_e32 v80, v23, v73
	v_fmac_f32_e32 v78, v16, v76
	v_fma_f32 v70, -v17, v76, v70
	v_fma_f32 v83, -v11, v76, v83
	v_fmac_f32_e32 v79, v26, v74
	v_fma_f32 v73, -v21, v74, v84
	s_waitcnt vmcnt(0)
	v_fmac_f32_e32 v78, v29, v87
	v_fmac_f32_e32 v70, v28, v87
	;; [unrolled: 1-line block ×7, first 2 shown]
	v_fma_f32 v70, -v29, v88, v70
	v_fma_f32 v86, -v15, v88, v83
	v_subrev_nc_u32_e32 v83, s2, v93
	v_fmac_f32_e32 v78, v5, v89
	v_fmac_f32_e32 v79, v19, v75
	v_fma_f32 v84, -v19, v76, v85
	v_fmac_f32_e32 v73, v8, v75
	v_fmac_f32_e32 v81, v9, v75
	;; [unrolled: 1-line block ×5, first 2 shown]
	v_lshlrev_b32_e32 v4, 2, v83
	v_fmac_f32_e32 v79, v18, v76
	v_fma_f32 v85, -v9, v76, v73
	v_fmac_f32_e32 v81, v8, v76
	v_fmac_f32_e32 v80, v10, v76
	;; [unrolled: 1-line block ×3, first 2 shown]
	v_fma_f32 v70, -v5, v90, v70
	v_ashrrev_i32_e32 v5, 31, v4
	v_fmac_f32_e32 v79, v31, v87
	v_fmac_f32_e32 v85, v12, v87
	v_fma_f32 v84, -v31, v88, v84
	v_fmac_f32_e32 v81, v13, v87
	v_fmac_f32_e32 v80, v15, v87
	v_lshlrev_b64 v[4:5], 3, v[4:5]
	v_fmac_f32_e32 v79, v30, v88
	v_fma_f32 v85, -v13, v88, v85
	v_fmac_f32_e32 v81, v12, v88
	v_fmac_f32_e32 v80, v14, v88
	;; [unrolled: 1-line block ×3, first 2 shown]
	v_add_co_u32 v83, vcc_lo, s6, v4
	v_fmac_f32_e32 v79, v7, v89
	v_fmac_f32_e32 v85, v0, v89
	v_fma_f32 v87, -v7, v90, v84
	v_add_co_ci_u32_e64 v84, null, s7, v5, vcc_lo
	v_fmac_f32_e32 v81, v1, v89
	v_fmac_f32_e32 v86, v2, v89
	v_fmac_f32_e32 v80, v3, v89
	s_clause 0x6
	global_load_dwordx4 v[24:27], v[91:92], off
	global_load_dwordx4 v[16:19], v[91:92], off offset:32
	global_load_dwordx4 v[20:23], v[91:92], off offset:48
	;; [unrolled: 1-line block ×6, first 2 shown]
	v_fmac_f32_e32 v79, v6, v90
	global_load_dwordx4 v[4:7], v[91:92], off offset:64
	v_fma_f32 v88, -v1, v90, v85
	v_fmac_f32_e32 v81, v0, v90
	v_fma_f32 v89, -v3, v90, v86
	v_fmac_f32_e32 v80, v2, v90
	s_clause 0x1
	global_load_dwordx4 v[0:3], v[83:84], off
	global_load_dwordx4 v[83:86], v[83:84], off offset:16
	s_waitcnt vmcnt(1)
	v_fmac_f32_e32 v81, v45, v0
	v_fmac_f32_e32 v88, v44, v0
	;; [unrolled: 1-line block ×9, first 2 shown]
	v_fma_f32 v0, -v45, v1, v88
	v_fmac_f32_e32 v81, v33, v2
	v_fma_f32 v70, -v41, v1, v70
	v_fma_f32 v88, -v47, v1, v89
	v_fmac_f32_e32 v80, v46, v1
	v_fmac_f32_e32 v0, v32, v2
	;; [unrolled: 1-line block ×3, first 2 shown]
	v_subrev_nc_u32_e32 v32, s2, v96
	v_fmac_f32_e32 v78, v40, v1
	v_fmac_f32_e32 v80, v35, v2
	v_fma_f32 v92, -v33, v3, v0
	v_subrev_nc_u32_e32 v33, s2, v97
	v_lshlrev_b32_e32 v32, 2, v32
	v_fma_f32 v87, -v43, v1, v87
	v_fmac_f32_e32 v79, v42, v1
	v_fmac_f32_e32 v88, v34, v2
	;; [unrolled: 1-line block ×3, first 2 shown]
	v_lshlrev_b32_e32 v34, 2, v33
	v_ashrrev_i32_e32 v33, 31, v32
	v_fmac_f32_e32 v70, v36, v2
	v_fmac_f32_e32 v78, v37, v2
	;; [unrolled: 1-line block ×4, first 2 shown]
	v_lshlrev_b64 v[32:33], 3, v[32:33]
	v_fma_f32 v70, -v37, v3, v70
	v_fmac_f32_e32 v78, v36, v3
	v_fma_f32 v89, -v39, v3, v87
	v_fmac_f32_e32 v79, v38, v3
	v_fma_f32 v93, -v35, v3, v88
	v_add_co_u32 v87, vcc_lo, s6, v32
	v_add_co_ci_u32_e64 v88, null, s7, v33, vcc_lo
	s_waitcnt vmcnt(0)
	v_fmac_f32_e32 v70, v60, v83
	v_fmac_f32_e32 v78, v61, v83
	;; [unrolled: 1-line block ×5, first 2 shown]
	v_fma_f32 v70, -v61, v84, v70
	v_fmac_f32_e32 v78, v60, v84
	v_fma_f32 v89, -v63, v84, v89
	v_fmac_f32_e32 v79, v62, v84
	global_load_dwordx4 v[60:63], v[87:88], off
	v_fmac_f32_e32 v81, v57, v83
	v_fmac_f32_e32 v93, v58, v83
	;; [unrolled: 1-line block ×3, first 2 shown]
	v_fma_f32 v83, -v57, v84, v92
	v_ashrrev_i32_e32 v35, 31, v34
	v_fmac_f32_e32 v81, v56, v84
	v_fma_f32 v92, -v59, v84, v93
	v_fmac_f32_e32 v80, v58, v84
	global_load_dwordx4 v[56:59], v[87:88], off offset:16
	v_lshlrev_b64 v[34:35], 3, v[34:35]
	v_fmac_f32_e32 v70, v52, v85
	v_fmac_f32_e32 v78, v53, v85
	;; [unrolled: 1-line block ×4, first 2 shown]
	s_clause 0x1
	global_load_dwordx4 v[40:43], v[94:95], off
	global_load_dwordx4 v[0:3], v[94:95], off offset:16
	v_add_co_u32 v90, vcc_lo, s6, v34
	v_add_co_ci_u32_e64 v91, null, s7, v35, vcc_lo
	v_fma_f32 v70, -v53, v86, v70
	v_fmac_f32_e32 v78, v52, v86
	v_fma_f32 v84, -v55, v86, v89
	v_fmac_f32_e32 v79, v54, v86
	global_load_dwordx4 v[52:55], v[90:91], off
	s_clause 0x1
	global_load_dwordx4 v[44:47], v[94:95], off offset:48
	global_load_dwordx4 v[36:39], v[94:95], off offset:32
	v_fmac_f32_e32 v83, v48, v85
	v_fmac_f32_e32 v81, v49, v85
	;; [unrolled: 1-line block ×4, first 2 shown]
	global_load_dwordx4 v[32:35], v[94:95], off offset:64
	v_fma_f32 v83, -v49, v86, v83
	v_fmac_f32_e32 v81, v48, v86
	v_fma_f32 v85, -v51, v86, v92
	v_fmac_f32_e32 v80, v50, v86
	s_clause 0x1
	global_load_dwordx4 v[48:51], v[94:95], off offset:80
	global_load_dwordx4 v[86:89], v[94:95], off offset:96
	;; [unrolled: 1-line block ×3, first 2 shown]
	v_add_co_u32 v71, vcc_lo, 0x4000, v71
	v_add_co_ci_u32_e64 v72, null, 0, v72, vcc_lo
	v_cmp_ge_i32_e32 vcc_lo, v69, v82
	s_or_b32 s3, vcc_lo, s3
	s_waitcnt vmcnt(10)
	v_fmac_f32_e32 v70, v24, v60
	v_fmac_f32_e32 v78, v25, v60
	;; [unrolled: 1-line block ×5, first 2 shown]
	v_fma_f32 v70, -v25, v61, v70
	v_fmac_f32_e32 v78, v24, v61
	v_fma_f32 v84, -v27, v61, v84
	v_fmac_f32_e32 v79, v26, v61
	global_load_dwordx4 v[24:27], v[94:95], off offset:112
	v_fmac_f32_e32 v81, v9, v60
	v_fmac_f32_e32 v85, v10, v60
	;; [unrolled: 1-line block ×3, first 2 shown]
	v_fma_f32 v9, -v9, v61, v83
	v_fmac_f32_e32 v70, v16, v62
	v_fmac_f32_e32 v81, v8, v61
	v_fma_f32 v8, -v11, v61, v85
	v_fmac_f32_e32 v80, v10, v61
	v_fmac_f32_e32 v78, v17, v62
	;; [unrolled: 1-line block ×8, first 2 shown]
	v_fma_f32 v10, -v17, v63, v70
	v_fmac_f32_e32 v78, v16, v63
	v_fma_f32 v11, -v19, v63, v84
	v_fmac_f32_e32 v79, v18, v63
	;; [unrolled: 2-line block ×4, first 2 shown]
	s_waitcnt vmcnt(10)
	v_fmac_f32_e32 v10, v4, v56
	v_fmac_f32_e32 v78, v5, v56
	;; [unrolled: 1-line block ×8, first 2 shown]
	v_fma_f32 v5, -v5, v57, v10
	v_fmac_f32_e32 v78, v4, v57
	v_fma_f32 v4, -v7, v57, v11
	v_fmac_f32_e32 v79, v6, v57
	;; [unrolled: 2-line block ×4, first 2 shown]
	v_fmac_f32_e32 v5, v28, v58
	v_fmac_f32_e32 v78, v29, v58
	v_fmac_f32_e32 v4, v30, v58
	v_fmac_f32_e32 v79, v31, v58
	v_fmac_f32_e32 v6, v73, v58
	v_fmac_f32_e32 v81, v74, v58
	v_fmac_f32_e32 v7, v75, v58
	v_fmac_f32_e32 v80, v76, v58
	v_fma_f32 v5, -v29, v59, v5
	v_fmac_f32_e32 v78, v28, v59
	v_fma_f32 v4, -v31, v59, v4
	v_fmac_f32_e32 v79, v30, v59
	v_fma_f32 v6, -v74, v59, v6
	v_fmac_f32_e32 v81, v73, v59
	v_fma_f32 v7, -v76, v59, v7
	v_fmac_f32_e32 v80, v75, v59
	s_waitcnt vmcnt(7)
	v_fmac_f32_e32 v5, v40, v52
	v_fmac_f32_e32 v78, v41, v52
	v_fmac_f32_e32 v4, v42, v52
	v_fmac_f32_e32 v79, v43, v52
	v_fmac_f32_e32 v6, v0, v52
	v_fmac_f32_e32 v81, v1, v52
	v_fmac_f32_e32 v7, v2, v52
	v_fmac_f32_e32 v80, v3, v52
	v_fma_f32 v5, -v41, v53, v5
	v_fmac_f32_e32 v78, v40, v53
	v_fma_f32 v4, -v43, v53, v4
	v_fmac_f32_e32 v79, v42, v53
	v_fma_f32 v1, -v1, v53, v6
	v_fmac_f32_e32 v81, v0, v53
	v_fma_f32 v0, -v3, v53, v7
	v_fmac_f32_e32 v80, v2, v53
	s_waitcnt vmcnt(5)
	;; [unrolled: 17-line block ×3, first 2 shown]
	v_fmac_f32_e32 v2, v32, v90
	v_fmac_f32_e32 v78, v33, v90
	;; [unrolled: 1-line block ×8, first 2 shown]
	v_fma_f32 v2, -v33, v91, v2
	v_fmac_f32_e32 v78, v32, v91
	v_fma_f32 v3, -v35, v91, v3
	v_fmac_f32_e32 v79, v34, v91
	v_fma_f32 v1, -v49, v91, v1
	v_fmac_f32_e32 v81, v48, v91
	v_fma_f32 v0, -v51, v91, v0
	v_fmac_f32_e32 v80, v50, v91
	v_fmac_f32_e32 v2, v86, v92
	v_fmac_f32_e32 v78, v87, v92
	;; [unrolled: 1-line block ×4, first 2 shown]
	v_fma_f32 v85, -v87, v93, v2
	v_fmac_f32_e32 v78, v86, v93
	v_fma_f32 v86, -v89, v93, v3
	v_fmac_f32_e32 v79, v88, v93
	s_waitcnt vmcnt(0)
	v_fmac_f32_e32 v1, v24, v92
	v_fmac_f32_e32 v81, v25, v92
	;; [unrolled: 1-line block ×4, first 2 shown]
	v_fma_f32 v84, -v25, v93, v1
	v_fmac_f32_e32 v81, v24, v93
	v_fma_f32 v83, -v27, v93, v0
	v_fmac_f32_e32 v80, v26, v93
	s_andn2_b32 exec_lo, exec_lo, s3
	s_cbranch_execnz .LBB13_31
; %bb.32:
	s_or_b32 exec_lo, exec_lo, s3
.LBB13_33:
	s_or_b32 exec_lo, exec_lo, s0
.LBB13_34:
	s_or_b32 exec_lo, exec_lo, s1
.LBB13_35:
	v_mbcnt_lo_u32_b32 v0, -1, 0
	v_xor_b32_e32 v1, 16, v0
	v_xor_b32_e32 v9, 8, v0
	v_xor_b32_e32 v17, 4, v0
	v_cmp_gt_i32_e32 vcc_lo, 32, v1
	v_cndmask_b32_e32 v1, v0, v1, vcc_lo
	v_cmp_gt_i32_e32 vcc_lo, 32, v9
	v_lshlrev_b32_e32 v1, 2, v1
	v_cndmask_b32_e32 v9, v0, v9, vcc_lo
	v_cmp_gt_i32_e32 vcc_lo, 32, v17
	ds_bpermute_b32 v2, v1, v85
	ds_bpermute_b32 v3, v1, v78
	;; [unrolled: 1-line block ×8, first 2 shown]
	v_lshlrev_b32_e32 v9, 2, v9
	v_cndmask_b32_e32 v17, v0, v17, vcc_lo
	v_lshlrev_b32_e32 v17, 2, v17
	s_waitcnt lgkmcnt(7)
	v_add_f32_e32 v2, v85, v2
	s_waitcnt lgkmcnt(6)
	v_add_f32_e32 v3, v78, v3
	;; [unrolled: 2-line block ×8, first 2 shown]
	ds_bpermute_b32 v10, v9, v2
	ds_bpermute_b32 v11, v9, v3
	ds_bpermute_b32 v12, v9, v4
	ds_bpermute_b32 v13, v9, v5
	ds_bpermute_b32 v14, v9, v6
	ds_bpermute_b32 v15, v9, v7
	ds_bpermute_b32 v16, v9, v8
	ds_bpermute_b32 v9, v9, v1
	s_waitcnt lgkmcnt(7)
	v_add_f32_e32 v2, v2, v10
	s_waitcnt lgkmcnt(6)
	v_add_f32_e32 v3, v3, v11
	;; [unrolled: 2-line block ×8, first 2 shown]
	ds_bpermute_b32 v9, v17, v2
	ds_bpermute_b32 v10, v17, v3
	;; [unrolled: 1-line block ×8, first 2 shown]
	v_xor_b32_e32 v17, 2, v0
	v_cmp_gt_i32_e32 vcc_lo, 32, v17
	v_cndmask_b32_e32 v17, v0, v17, vcc_lo
	s_waitcnt lgkmcnt(7)
	v_add_f32_e32 v2, v2, v9
	s_waitcnt lgkmcnt(6)
	v_add_f32_e32 v3, v3, v10
	;; [unrolled: 2-line block ×3, first 2 shown]
	v_lshlrev_b32_e32 v17, 2, v17
	s_waitcnt lgkmcnt(4)
	v_add_f32_e32 v5, v5, v12
	s_waitcnt lgkmcnt(3)
	v_add_f32_e32 v6, v6, v13
	;; [unrolled: 2-line block ×5, first 2 shown]
	ds_bpermute_b32 v1, v17, v2
	ds_bpermute_b32 v10, v17, v3
	;; [unrolled: 1-line block ×8, first 2 shown]
	v_xor_b32_e32 v17, 1, v0
	v_cmp_gt_i32_e32 vcc_lo, 32, v17
	v_cndmask_b32_e32 v0, v0, v17, vcc_lo
	v_cmp_eq_u32_e32 vcc_lo, 31, v77
	v_lshlrev_b32_e32 v17, 2, v0
	s_waitcnt lgkmcnt(7)
	v_add_f32_e32 v0, v2, v1
	s_waitcnt lgkmcnt(6)
	v_add_f32_e32 v1, v3, v10
	;; [unrolled: 2-line block ×8, first 2 shown]
	ds_bpermute_b32 v8, v17, v0
	ds_bpermute_b32 v9, v17, v1
	;; [unrolled: 1-line block ×8, first 2 shown]
	s_and_b32 exec_lo, exec_lo, vcc_lo
	s_cbranch_execz .LBB13_8
; %bb.36:
	s_load_dwordx2 s[2:3], s[4:5], 0x50
	s_waitcnt lgkmcnt(0)
	v_add_f32_e32 v8, v0, v8
	v_add_f32_e32 v0, v1, v9
	;; [unrolled: 1-line block ×8, first 2 shown]
	v_mul_f32_e64 v4, v0, -v67
	v_mul_f32_e32 v5, v66, v0
	v_mul_f32_e64 v6, v1, -v67
	v_mul_f32_e32 v7, v66, v1
	;; [unrolled: 2-line block ×4, first 2 shown]
	v_cmp_eq_f32_e32 vcc_lo, 0, v64
	v_cmp_eq_f32_e64 s0, 0, v65
	v_fmac_f32_e32 v4, v66, v8
	v_fmac_f32_e32 v5, v67, v8
	v_lshlrev_b32_e32 v8, 2, v68
	v_fmac_f32_e32 v6, v66, v9
	v_fmac_f32_e32 v7, v67, v9
	;; [unrolled: 1-line block ×6, first 2 shown]
	s_and_b32 s0, vcc_lo, s0
	s_and_saveexec_b32 s1, s0
	s_xor_b32 s0, exec_lo, s1
	s_cbranch_execz .LBB13_38
; %bb.37:
	v_ashrrev_i32_e32 v9, 31, v8
                                        ; implicit-def: $vgpr64_vgpr65
	v_lshlrev_b64 v[8:9], 3, v[8:9]
	v_add_co_u32 v8, vcc_lo, s2, v8
	v_add_co_ci_u32_e64 v9, null, s3, v9, vcc_lo
	global_store_dwordx4 v[8:9], v[4:7], off
	global_store_dwordx4 v[8:9], v[0:3], off offset:16
                                        ; implicit-def: $vgpr4
                                        ; implicit-def: $vgpr8
                                        ; implicit-def: $vgpr0
.LBB13_38:
	s_andn2_saveexec_b32 s0, s0
	s_cbranch_execz .LBB13_8
; %bb.39:
	v_ashrrev_i32_e32 v9, 31, v8
	v_lshlrev_b64 v[8:9], 3, v[8:9]
	v_add_co_u32 v16, vcc_lo, s2, v8
	v_add_co_ci_u32_e64 v17, null, s3, v9, vcc_lo
	s_clause 0x1
	global_load_dwordx4 v[8:11], v[16:17], off
	global_load_dwordx4 v[12:15], v[16:17], off offset:16
	s_waitcnt vmcnt(1)
	v_fmac_f32_e32 v4, v64, v8
	v_fmac_f32_e32 v5, v65, v8
	;; [unrolled: 1-line block ×4, first 2 shown]
	s_waitcnt vmcnt(0)
	v_fmac_f32_e32 v0, v64, v12
	v_fmac_f32_e32 v1, v65, v12
	;; [unrolled: 1-line block ×4, first 2 shown]
	v_fma_f32 v4, -v65, v9, v4
	v_fmac_f32_e32 v5, v64, v9
	v_fma_f32 v6, -v65, v11, v6
	v_fmac_f32_e32 v7, v64, v11
	;; [unrolled: 2-line block ×4, first 2 shown]
	global_store_dwordx4 v[16:17], v[4:7], off
	global_store_dwordx4 v[16:17], v[0:3], off offset:16
	s_endpgm
	.section	.rodata,"a",@progbits
	.p2align	6, 0x0
	.amdhsa_kernel _ZN9rocsparseL18bsrxmvn_4x4_kernelILj128ELj32E21rocsparse_complex_numIfEiiS2_S2_S2_EEvT3_20rocsparse_direction_NS_24const_host_device_scalarIT1_EES3_PKS3_PKT2_SC_S9_PKT4_PKT5_S7_PT6_21rocsparse_index_base_b
		.amdhsa_group_segment_fixed_size 0
		.amdhsa_private_segment_fixed_size 0
		.amdhsa_kernarg_size 96
		.amdhsa_user_sgpr_count 6
		.amdhsa_user_sgpr_private_segment_buffer 1
		.amdhsa_user_sgpr_dispatch_ptr 0
		.amdhsa_user_sgpr_queue_ptr 0
		.amdhsa_user_sgpr_kernarg_segment_ptr 1
		.amdhsa_user_sgpr_dispatch_id 0
		.amdhsa_user_sgpr_flat_scratch_init 0
		.amdhsa_user_sgpr_private_segment_size 0
		.amdhsa_wavefront_size32 1
		.amdhsa_uses_dynamic_stack 0
		.amdhsa_system_sgpr_private_segment_wavefront_offset 0
		.amdhsa_system_sgpr_workgroup_id_x 1
		.amdhsa_system_sgpr_workgroup_id_y 0
		.amdhsa_system_sgpr_workgroup_id_z 0
		.amdhsa_system_sgpr_workgroup_info 0
		.amdhsa_system_vgpr_workitem_id 0
		.amdhsa_next_free_vgpr 119
		.amdhsa_next_free_sgpr 16
		.amdhsa_reserve_vcc 1
		.amdhsa_reserve_flat_scratch 0
		.amdhsa_float_round_mode_32 0
		.amdhsa_float_round_mode_16_64 0
		.amdhsa_float_denorm_mode_32 3
		.amdhsa_float_denorm_mode_16_64 3
		.amdhsa_dx10_clamp 1
		.amdhsa_ieee_mode 1
		.amdhsa_fp16_overflow 0
		.amdhsa_workgroup_processor_mode 1
		.amdhsa_memory_ordered 1
		.amdhsa_forward_progress 1
		.amdhsa_shared_vgpr_count 0
		.amdhsa_exception_fp_ieee_invalid_op 0
		.amdhsa_exception_fp_denorm_src 0
		.amdhsa_exception_fp_ieee_div_zero 0
		.amdhsa_exception_fp_ieee_overflow 0
		.amdhsa_exception_fp_ieee_underflow 0
		.amdhsa_exception_fp_ieee_inexact 0
		.amdhsa_exception_int_div_zero 0
	.end_amdhsa_kernel
	.section	.text._ZN9rocsparseL18bsrxmvn_4x4_kernelILj128ELj32E21rocsparse_complex_numIfEiiS2_S2_S2_EEvT3_20rocsparse_direction_NS_24const_host_device_scalarIT1_EES3_PKS3_PKT2_SC_S9_PKT4_PKT5_S7_PT6_21rocsparse_index_base_b,"axG",@progbits,_ZN9rocsparseL18bsrxmvn_4x4_kernelILj128ELj32E21rocsparse_complex_numIfEiiS2_S2_S2_EEvT3_20rocsparse_direction_NS_24const_host_device_scalarIT1_EES3_PKS3_PKT2_SC_S9_PKT4_PKT5_S7_PT6_21rocsparse_index_base_b,comdat
.Lfunc_end13:
	.size	_ZN9rocsparseL18bsrxmvn_4x4_kernelILj128ELj32E21rocsparse_complex_numIfEiiS2_S2_S2_EEvT3_20rocsparse_direction_NS_24const_host_device_scalarIT1_EES3_PKS3_PKT2_SC_S9_PKT4_PKT5_S7_PT6_21rocsparse_index_base_b, .Lfunc_end13-_ZN9rocsparseL18bsrxmvn_4x4_kernelILj128ELj32E21rocsparse_complex_numIfEiiS2_S2_S2_EEvT3_20rocsparse_direction_NS_24const_host_device_scalarIT1_EES3_PKS3_PKT2_SC_S9_PKT4_PKT5_S7_PT6_21rocsparse_index_base_b
                                        ; -- End function
	.set _ZN9rocsparseL18bsrxmvn_4x4_kernelILj128ELj32E21rocsparse_complex_numIfEiiS2_S2_S2_EEvT3_20rocsparse_direction_NS_24const_host_device_scalarIT1_EES3_PKS3_PKT2_SC_S9_PKT4_PKT5_S7_PT6_21rocsparse_index_base_b.num_vgpr, 119
	.set _ZN9rocsparseL18bsrxmvn_4x4_kernelILj128ELj32E21rocsparse_complex_numIfEiiS2_S2_S2_EEvT3_20rocsparse_direction_NS_24const_host_device_scalarIT1_EES3_PKS3_PKT2_SC_S9_PKT4_PKT5_S7_PT6_21rocsparse_index_base_b.num_agpr, 0
	.set _ZN9rocsparseL18bsrxmvn_4x4_kernelILj128ELj32E21rocsparse_complex_numIfEiiS2_S2_S2_EEvT3_20rocsparse_direction_NS_24const_host_device_scalarIT1_EES3_PKS3_PKT2_SC_S9_PKT4_PKT5_S7_PT6_21rocsparse_index_base_b.numbered_sgpr, 16
	.set _ZN9rocsparseL18bsrxmvn_4x4_kernelILj128ELj32E21rocsparse_complex_numIfEiiS2_S2_S2_EEvT3_20rocsparse_direction_NS_24const_host_device_scalarIT1_EES3_PKS3_PKT2_SC_S9_PKT4_PKT5_S7_PT6_21rocsparse_index_base_b.num_named_barrier, 0
	.set _ZN9rocsparseL18bsrxmvn_4x4_kernelILj128ELj32E21rocsparse_complex_numIfEiiS2_S2_S2_EEvT3_20rocsparse_direction_NS_24const_host_device_scalarIT1_EES3_PKS3_PKT2_SC_S9_PKT4_PKT5_S7_PT6_21rocsparse_index_base_b.private_seg_size, 0
	.set _ZN9rocsparseL18bsrxmvn_4x4_kernelILj128ELj32E21rocsparse_complex_numIfEiiS2_S2_S2_EEvT3_20rocsparse_direction_NS_24const_host_device_scalarIT1_EES3_PKS3_PKT2_SC_S9_PKT4_PKT5_S7_PT6_21rocsparse_index_base_b.uses_vcc, 1
	.set _ZN9rocsparseL18bsrxmvn_4x4_kernelILj128ELj32E21rocsparse_complex_numIfEiiS2_S2_S2_EEvT3_20rocsparse_direction_NS_24const_host_device_scalarIT1_EES3_PKS3_PKT2_SC_S9_PKT4_PKT5_S7_PT6_21rocsparse_index_base_b.uses_flat_scratch, 0
	.set _ZN9rocsparseL18bsrxmvn_4x4_kernelILj128ELj32E21rocsparse_complex_numIfEiiS2_S2_S2_EEvT3_20rocsparse_direction_NS_24const_host_device_scalarIT1_EES3_PKS3_PKT2_SC_S9_PKT4_PKT5_S7_PT6_21rocsparse_index_base_b.has_dyn_sized_stack, 0
	.set _ZN9rocsparseL18bsrxmvn_4x4_kernelILj128ELj32E21rocsparse_complex_numIfEiiS2_S2_S2_EEvT3_20rocsparse_direction_NS_24const_host_device_scalarIT1_EES3_PKS3_PKT2_SC_S9_PKT4_PKT5_S7_PT6_21rocsparse_index_base_b.has_recursion, 0
	.set _ZN9rocsparseL18bsrxmvn_4x4_kernelILj128ELj32E21rocsparse_complex_numIfEiiS2_S2_S2_EEvT3_20rocsparse_direction_NS_24const_host_device_scalarIT1_EES3_PKS3_PKT2_SC_S9_PKT4_PKT5_S7_PT6_21rocsparse_index_base_b.has_indirect_call, 0
	.section	.AMDGPU.csdata,"",@progbits
; Kernel info:
; codeLenInByte = 7104
; TotalNumSgprs: 18
; NumVgprs: 119
; ScratchSize: 0
; MemoryBound: 0
; FloatMode: 240
; IeeeMode: 1
; LDSByteSize: 0 bytes/workgroup (compile time only)
; SGPRBlocks: 0
; VGPRBlocks: 14
; NumSGPRsForWavesPerEU: 18
; NumVGPRsForWavesPerEU: 119
; Occupancy: 8
; WaveLimiterHint : 1
; COMPUTE_PGM_RSRC2:SCRATCH_EN: 0
; COMPUTE_PGM_RSRC2:USER_SGPR: 6
; COMPUTE_PGM_RSRC2:TRAP_HANDLER: 0
; COMPUTE_PGM_RSRC2:TGID_X_EN: 1
; COMPUTE_PGM_RSRC2:TGID_Y_EN: 0
; COMPUTE_PGM_RSRC2:TGID_Z_EN: 0
; COMPUTE_PGM_RSRC2:TIDIG_COMP_CNT: 0
	.section	.text._ZN9rocsparseL18bsrxmvn_4x4_kernelILj128ELj64E21rocsparse_complex_numIfEiiS2_S2_S2_EEvT3_20rocsparse_direction_NS_24const_host_device_scalarIT1_EES3_PKS3_PKT2_SC_S9_PKT4_PKT5_S7_PT6_21rocsparse_index_base_b,"axG",@progbits,_ZN9rocsparseL18bsrxmvn_4x4_kernelILj128ELj64E21rocsparse_complex_numIfEiiS2_S2_S2_EEvT3_20rocsparse_direction_NS_24const_host_device_scalarIT1_EES3_PKS3_PKT2_SC_S9_PKT4_PKT5_S7_PT6_21rocsparse_index_base_b,comdat
	.globl	_ZN9rocsparseL18bsrxmvn_4x4_kernelILj128ELj64E21rocsparse_complex_numIfEiiS2_S2_S2_EEvT3_20rocsparse_direction_NS_24const_host_device_scalarIT1_EES3_PKS3_PKT2_SC_S9_PKT4_PKT5_S7_PT6_21rocsparse_index_base_b ; -- Begin function _ZN9rocsparseL18bsrxmvn_4x4_kernelILj128ELj64E21rocsparse_complex_numIfEiiS2_S2_S2_EEvT3_20rocsparse_direction_NS_24const_host_device_scalarIT1_EES3_PKS3_PKT2_SC_S9_PKT4_PKT5_S7_PT6_21rocsparse_index_base_b
	.p2align	8
	.type	_ZN9rocsparseL18bsrxmvn_4x4_kernelILj128ELj64E21rocsparse_complex_numIfEiiS2_S2_S2_EEvT3_20rocsparse_direction_NS_24const_host_device_scalarIT1_EES3_PKS3_PKT2_SC_S9_PKT4_PKT5_S7_PT6_21rocsparse_index_base_b,@function
_ZN9rocsparseL18bsrxmvn_4x4_kernelILj128ELj64E21rocsparse_complex_numIfEiiS2_S2_S2_EEvT3_20rocsparse_direction_NS_24const_host_device_scalarIT1_EES3_PKS3_PKT2_SC_S9_PKT4_PKT5_S7_PT6_21rocsparse_index_base_b: ; @_ZN9rocsparseL18bsrxmvn_4x4_kernelILj128ELj64E21rocsparse_complex_numIfEiiS2_S2_S2_EEvT3_20rocsparse_direction_NS_24const_host_device_scalarIT1_EES3_PKS3_PKT2_SC_S9_PKT4_PKT5_S7_PT6_21rocsparse_index_base_b
; %bb.0:
	s_clause 0x2
	s_load_dwordx2 s[2:3], s[4:5], 0x58
	s_load_dwordx2 s[0:1], s[4:5], 0x8
	;; [unrolled: 1-line block ×3, first 2 shown]
	s_add_u32 s7, s4, 8
	s_addc_u32 s10, s5, 0
	s_add_u32 s11, s4, 0x48
	s_addc_u32 s12, s5, 0
	s_waitcnt lgkmcnt(0)
	s_bitcmp1_b32 s3, 0
	s_cselect_b32 s0, s7, s0
	s_cselect_b32 s1, s10, s1
	v_mov_b32_e32 v1, s0
	v_mov_b32_e32 v2, s1
	s_cselect_b32 s0, s11, s8
	s_cselect_b32 s1, s12, s9
	flat_load_dwordx2 v[66:67], v[1:2]
	v_mov_b32_e32 v1, s0
	v_mov_b32_e32 v2, s1
	flat_load_dwordx2 v[64:65], v[1:2]
	s_waitcnt vmcnt(1) lgkmcnt(1)
	v_cmp_eq_f32_e32 vcc_lo, 0, v66
	v_cmp_eq_f32_e64 s0, 0, v67
	s_and_b32 s3, vcc_lo, s0
	s_mov_b32 s0, -1
	s_and_saveexec_b32 s1, s3
	s_cbranch_execz .LBB14_2
; %bb.1:
	s_waitcnt vmcnt(0) lgkmcnt(0)
	v_cmp_neq_f32_e32 vcc_lo, 1.0, v64
	v_cmp_neq_f32_e64 s0, 0, v65
	s_or_b32 s0, vcc_lo, s0
	s_orn2_b32 s0, s0, exec_lo
.LBB14_2:
	s_or_b32 exec_lo, exec_lo, s1
	s_and_saveexec_b32 s1, s0
	s_cbranch_execz .LBB14_8
; %bb.3:
	s_clause 0x1
	s_load_dwordx2 s[8:9], s[4:5], 0x18
	s_load_dwordx2 s[0:1], s[4:5], 0x0
	v_lshrrev_b32_e32 v1, 6, v0
	v_lshl_or_b32 v68, s6, 1, v1
	s_waitcnt lgkmcnt(0)
	s_cmp_lg_u64 s[8:9], 0
	s_cbranch_scc0 .LBB14_9
; %bb.4:
	s_load_dword s3, s[4:5], 0x10
	s_mov_b32 s6, 0
                                        ; implicit-def: $vgpr1
	s_waitcnt lgkmcnt(0)
	v_cmp_gt_i32_e32 vcc_lo, s3, v68
	s_mov_b32 s3, 0
	s_and_saveexec_b32 s7, vcc_lo
	s_xor_b32 s7, exec_lo, s7
	s_cbranch_execz .LBB14_6
; %bb.5:
	v_ashrrev_i32_e32 v69, 31, v68
	s_mov_b32 s3, exec_lo
	v_lshlrev_b64 v[1:2], 2, v[68:69]
	v_add_co_u32 v1, vcc_lo, s8, v1
	v_add_co_ci_u32_e64 v2, null, s9, v2, vcc_lo
	global_load_dword v1, v[1:2], off
	s_waitcnt vmcnt(0)
	v_subrev_nc_u32_e32 v1, s2, v1
.LBB14_6:
	s_or_b32 exec_lo, exec_lo, s7
	s_and_b32 vcc_lo, exec_lo, s6
	s_cbranch_vccz .LBB14_10
.LBB14_7:
	v_cmp_gt_i32_e32 vcc_lo, s0, v68
	s_andn2_b32 s0, s3, exec_lo
	s_and_b32 s3, vcc_lo, exec_lo
	s_or_b32 s3, s0, s3
	s_and_b32 exec_lo, exec_lo, s3
	s_cbranch_execnz .LBB14_11
.LBB14_8:
	s_endpgm
.LBB14_9:
	s_mov_b32 s3, 0
                                        ; implicit-def: $vgpr1
	s_cbranch_execnz .LBB14_7
.LBB14_10:
	v_mov_b32_e32 v68, v1
	s_and_b32 exec_lo, exec_lo, s3
	s_cbranch_execz .LBB14_8
.LBB14_11:
	s_load_dwordx8 s[8:15], s[4:5], 0x20
	v_ashrrev_i32_e32 v69, 31, v68
	v_and_b32_e32 v77, 63, v0
	s_load_dwordx2 s[6:7], s[4:5], 0x40
	v_lshlrev_b64 v[1:2], 2, v[68:69]
	s_waitcnt lgkmcnt(0)
	v_add_co_u32 v3, vcc_lo, s8, v1
	v_add_co_ci_u32_e64 v4, null, s9, v2, vcc_lo
	v_add_co_u32 v1, vcc_lo, s10, v1
	v_add_co_ci_u32_e64 v2, null, s11, v2, vcc_lo
	global_load_dword v87, v[3:4], off
	v_add_co_u32 v3, vcc_lo, v3, 4
	v_add_co_ci_u32_e64 v4, null, 0, v4, vcc_lo
	s_cmp_eq_u64 s[10:11], 0
	s_cselect_b32 vcc_lo, -1, 0
	s_cmp_eq_u32 s1, 1
	v_cndmask_b32_e32 v2, v2, v4, vcc_lo
	v_cndmask_b32_e32 v1, v1, v3, vcc_lo
	global_load_dword v2, v[1:2], off
	s_waitcnt vmcnt(1)
	v_subrev_nc_u32_e32 v0, s2, v87
	v_add_nc_u32_e32 v69, v0, v77
	v_ashrrev_i32_e32 v70, 31, v69
	s_waitcnt vmcnt(0)
	v_subrev_nc_u32_e32 v82, s2, v2
	v_lshlrev_b64 v[0:1], 7, v[69:70]
	v_cmp_lt_i32_e64 s0, v69, v82
	v_add_co_u32 v71, vcc_lo, s14, v0
	v_add_co_ci_u32_e64 v72, null, s15, v1, vcc_lo
	s_cbranch_scc1 .LBB14_23
; %bb.12:
	v_mov_b32_e32 v78, 0
	v_mov_b32_e32 v85, 0
	;; [unrolled: 1-line block ×8, first 2 shown]
	s_and_saveexec_b32 s1, s0
	s_cbranch_execz .LBB14_22
; %bb.13:
	v_add_nc_u32_e32 v0, v87, v77
	v_not_b32_e32 v1, v87
	v_mov_b32_e32 v74, v72
	v_mov_b32_e32 v79, 0
	;; [unrolled: 1-line block ×3, first 2 shown]
	v_subrev_nc_u32_e32 v0, s2, v0
	v_mov_b32_e32 v81, 0
	v_mov_b32_e32 v84, 0
	;; [unrolled: 1-line block ×4, first 2 shown]
	v_add_nc_u32_e32 v0, 64, v0
	v_mov_b32_e32 v85, 0
	v_mov_b32_e32 v78, 0
	;; [unrolled: 1-line block ×4, first 2 shown]
	v_max_i32_e32 v0, v0, v82
	s_mov_b32 s3, exec_lo
	v_add3_u32 v0, s2, v0, v1
	v_sub_nc_u32_e32 v0, v0, v77
	v_and_b32_e32 v1, 0xc0, v0
	v_cmpx_ne_u32_e32 0xc0, v1
	s_cbranch_execz .LBB14_17
; %bb.14:
	v_lshrrev_b32_e32 v1, 6, v0
	v_mov_b32_e32 v74, v72
	v_mov_b32_e32 v78, 0
	;; [unrolled: 1-line block ×4, first 2 shown]
	v_add_nc_u32_e32 v1, 1, v1
	v_mov_b32_e32 v85, 0
	v_mov_b32_e32 v83, 0
	;; [unrolled: 1-line block ×4, first 2 shown]
	v_and_b32_e32 v1, 3, v1
	v_mov_b32_e32 v81, 0
	v_mov_b32_e32 v86, 0
	;; [unrolled: 1-line block ×3, first 2 shown]
	s_mov_b32 s8, 0
	v_sub_nc_u32_e32 v1, 0, v1
.LBB14_15:                              ; =>This Inner Loop Header: Depth=1
	v_ashrrev_i32_e32 v76, 31, v75
	v_add_co_u32 v1, s9, v1, 1
	s_or_b32 s8, s9, s8
	v_lshlrev_b64 v[2:3], 2, v[75:76]
	v_add_nc_u32_e32 v75, 64, v75
	v_add_co_u32 v2, vcc_lo, s12, v2
	v_add_co_ci_u32_e64 v3, null, s13, v3, vcc_lo
	global_load_dword v34, v[2:3], off
	s_clause 0x7
	global_load_dwordx4 v[2:5], v[73:74], off offset:48
	global_load_dwordx4 v[6:9], v[73:74], off offset:32
	;; [unrolled: 1-line block ×3, first 2 shown]
	global_load_dwordx4 v[14:17], v[73:74], off
	global_load_dwordx4 v[18:21], v[73:74], off offset:112
	global_load_dwordx4 v[22:25], v[73:74], off offset:96
	;; [unrolled: 1-line block ×4, first 2 shown]
	s_waitcnt vmcnt(8)
	v_subrev_nc_u32_e32 v34, s2, v34
	v_lshlrev_b32_e32 v34, 2, v34
	v_ashrrev_i32_e32 v35, 31, v34
	v_lshlrev_b64 v[34:35], 3, v[34:35]
	v_add_co_u32 v38, vcc_lo, s6, v34
	v_add_co_ci_u32_e64 v39, null, s7, v35, vcc_lo
	v_add_co_u32 v73, vcc_lo, 0x2000, v73
	v_add_co_ci_u32_e64 v74, null, 0, v74, vcc_lo
	s_clause 0x1
	global_load_dwordx4 v[34:37], v[38:39], off
	global_load_dwordx4 v[38:41], v[38:39], off offset:16
	s_waitcnt vmcnt(1)
	v_fmac_f32_e32 v85, v14, v34
	v_fmac_f32_e32 v78, v15, v34
	;; [unrolled: 1-line block ×8, first 2 shown]
	v_fma_f32 v15, -v15, v35, v85
	v_fmac_f32_e32 v78, v14, v35
	v_fma_f32 v7, -v7, v35, v86
	v_fmac_f32_e32 v79, v6, v35
	;; [unrolled: 2-line block ×4, first 2 shown]
	v_fmac_f32_e32 v15, v16, v36
	v_fmac_f32_e32 v78, v17, v36
	v_fmac_f32_e32 v7, v8, v36
	v_fmac_f32_e32 v79, v9, v36
	v_fmac_f32_e32 v6, v32, v36
	v_fmac_f32_e32 v81, v33, v36
	v_fmac_f32_e32 v14, v24, v36
	v_fmac_f32_e32 v80, v25, v36
	v_fma_f32 v15, -v17, v37, v15
	v_fmac_f32_e32 v78, v16, v37
	v_fma_f32 v7, -v9, v37, v7
	v_fmac_f32_e32 v79, v8, v37
	;; [unrolled: 2-line block ×4, first 2 shown]
	s_waitcnt vmcnt(0)
	v_fmac_f32_e32 v15, v10, v38
	v_fmac_f32_e32 v78, v11, v38
	;; [unrolled: 1-line block ×8, first 2 shown]
	v_fma_f32 v9, -v11, v39, v15
	v_fmac_f32_e32 v78, v10, v39
	v_fma_f32 v3, -v3, v39, v7
	v_fmac_f32_e32 v79, v2, v39
	;; [unrolled: 2-line block ×4, first 2 shown]
	v_fmac_f32_e32 v9, v12, v40
	v_fmac_f32_e32 v78, v13, v40
	v_fmac_f32_e32 v3, v4, v40
	v_fmac_f32_e32 v79, v5, v40
	v_fmac_f32_e32 v2, v28, v40
	v_fmac_f32_e32 v81, v29, v40
	v_fmac_f32_e32 v6, v20, v40
	v_fmac_f32_e32 v80, v21, v40
	v_fma_f32 v85, -v13, v41, v9
	v_fmac_f32_e32 v78, v12, v41
	v_fma_f32 v86, -v5, v41, v3
	v_fmac_f32_e32 v79, v4, v41
	;; [unrolled: 2-line block ×4, first 2 shown]
	s_andn2_b32 exec_lo, exec_lo, s8
	s_cbranch_execnz .LBB14_15
; %bb.16:
	s_or_b32 exec_lo, exec_lo, s8
.LBB14_17:
	s_or_b32 exec_lo, exec_lo, s3
	s_mov_b32 s3, exec_lo
	v_cmpx_lt_u32_e32 0xbf, v0
	s_cbranch_execz .LBB14_21
; %bb.18:
	s_mov_b32 s8, 0
.LBB14_19:                              ; =>This Inner Loop Header: Depth=1
	v_ashrrev_i32_e32 v76, 31, v75
	v_add_co_u32 v32, vcc_lo, 0x2000, v73
	v_add_co_ci_u32_e64 v33, null, 0, v74, vcc_lo
	v_lshlrev_b64 v[104:105], 2, v[75:76]
	v_add_co_u32 v112, vcc_lo, 0x4000, v73
	v_add_co_ci_u32_e64 v113, null, 0, v74, vcc_lo
	v_add_co_u32 v114, vcc_lo, 0x6000, v73
	v_add_co_ci_u32_e64 v115, null, 0, v74, vcc_lo
	;; [unrolled: 2-line block ×3, first 2 shown]
	s_clause 0x13
	global_load_dwordx4 v[0:3], v[73:74], off offset:48
	global_load_dwordx4 v[12:15], v[73:74], off offset:32
	;; [unrolled: 1-line block ×3, first 2 shown]
	global_load_dwordx4 v[16:19], v[73:74], off
	global_load_dwordx4 v[8:11], v[73:74], off offset:112
	global_load_dwordx4 v[24:27], v[73:74], off offset:96
	;; [unrolled: 1-line block ×6, first 2 shown]
	global_load_dwordx4 v[92:95], v[32:33], off
	global_load_dwordx4 v[56:59], v[32:33], off offset:16
	global_load_dwordx4 v[36:39], v[32:33], off offset:112
	;; [unrolled: 1-line block ×7, first 2 shown]
	global_load_dwordx4 v[60:63], v[112:113], off
	global_load_dwordx4 v[40:43], v[112:113], off offset:16
	s_clause 0x3
	global_load_dword v70, v[104:105], off
	global_load_dword v76, v[104:105], off offset:256
	global_load_dword v116, v[104:105], off offset:512
	;; [unrolled: 1-line block ×3, first 2 shown]
	v_add_nc_u32_e32 v75, 0x100, v75
	s_waitcnt vmcnt(3)
	v_subrev_nc_u32_e32 v70, s2, v70
	s_waitcnt vmcnt(2)
	v_subrev_nc_u32_e32 v76, s2, v76
	v_lshlrev_b32_e32 v104, 2, v70
	v_ashrrev_i32_e32 v105, 31, v104
	v_lshlrev_b64 v[104:105], 3, v[104:105]
	v_add_co_u32 v108, vcc_lo, s6, v104
	v_add_co_ci_u32_e64 v109, null, s7, v105, vcc_lo
	s_clause 0x1
	global_load_dwordx4 v[104:107], v[108:109], off
	global_load_dwordx4 v[108:111], v[108:109], off offset:16
	s_waitcnt vmcnt(1)
	v_fmac_f32_e32 v85, v16, v104
	v_fmac_f32_e32 v78, v17, v104
	;; [unrolled: 1-line block ×8, first 2 shown]
	v_fma_f32 v17, -v17, v105, v85
	v_fmac_f32_e32 v78, v16, v105
	v_fma_f32 v13, -v13, v105, v86
	v_fmac_f32_e32 v79, v12, v105
	;; [unrolled: 2-line block ×4, first 2 shown]
	v_fmac_f32_e32 v17, v18, v106
	v_fmac_f32_e32 v78, v19, v106
	;; [unrolled: 1-line block ×8, first 2 shown]
	v_lshlrev_b32_e32 v83, 2, v76
	v_fma_f32 v70, -v19, v107, v17
	v_fmac_f32_e32 v78, v18, v107
	v_fma_f32 v85, -v15, v107, v13
	v_fmac_f32_e32 v79, v14, v107
	;; [unrolled: 2-line block ×4, first 2 shown]
	v_ashrrev_i32_e32 v84, 31, v83
	s_waitcnt vmcnt(0)
	v_fmac_f32_e32 v70, v4, v108
	v_fmac_f32_e32 v78, v5, v108
	;; [unrolled: 1-line block ×8, first 2 shown]
	v_lshlrev_b64 v[83:84], 3, v[83:84]
	v_fma_f32 v5, -v5, v109, v70
	v_fmac_f32_e32 v78, v4, v109
	v_fma_f32 v1, -v1, v109, v85
	v_fmac_f32_e32 v79, v0, v109
	;; [unrolled: 2-line block ×4, first 2 shown]
	v_add_co_u32 v83, vcc_lo, s6, v83
	v_add_co_ci_u32_e64 v84, null, s7, v84, vcc_lo
	v_fmac_f32_e32 v5, v6, v110
	v_fmac_f32_e32 v78, v7, v110
	;; [unrolled: 1-line block ×8, first 2 shown]
	s_clause 0x4
	global_load_dwordx4 v[16:19], v[112:113], off offset:112
	global_load_dwordx4 v[12:15], v[112:113], off offset:96
	;; [unrolled: 1-line block ×5, first 2 shown]
	v_fma_f32 v70, -v7, v111, v5
	v_fmac_f32_e32 v78, v6, v111
	global_load_dwordx4 v[4:7], v[114:115], off offset:32
	v_fma_f32 v76, -v3, v111, v1
	v_fmac_f32_e32 v79, v2, v111
	global_load_dwordx4 v[0:3], v[114:115], off offset:112
	;; [unrolled: 3-line block ×3, first 2 shown]
	v_fma_f32 v113, -v11, v111, v9
	v_fmac_f32_e32 v80, v10, v111
	s_clause 0x1
	global_load_dwordx4 v[8:11], v[83:84], off
	global_load_dwordx4 v[83:86], v[83:84], off offset:16
	s_waitcnt vmcnt(1)
	v_fmac_f32_e32 v70, v92, v8
	v_fmac_f32_e32 v78, v93, v8
	;; [unrolled: 1-line block ×6, first 2 shown]
	v_fma_f32 v70, -v93, v9, v70
	v_fmac_f32_e32 v78, v92, v9
	v_fma_f32 v76, -v89, v9, v76
	v_fmac_f32_e32 v79, v88, v9
	;; [unrolled: 2-line block ×3, first 2 shown]
	v_fmac_f32_e32 v113, v96, v8
	v_fmac_f32_e32 v70, v94, v10
	;; [unrolled: 1-line block ×7, first 2 shown]
	v_subrev_nc_u32_e32 v112, s2, v116
	v_fmac_f32_e32 v80, v97, v8
	v_fma_f32 v8, -v97, v9, v113
	v_fma_f32 v70, -v95, v11, v70
	v_fmac_f32_e32 v78, v94, v11
	global_load_dwordx4 v[92:95], v[114:115], off offset:80
	v_fma_f32 v76, -v91, v11, v76
	v_fmac_f32_e32 v79, v90, v11
	global_load_dwordx4 v[88:91], v[114:115], off offset:64
	v_fma_f32 v118, -v103, v11, v101
	v_fmac_f32_e32 v81, v102, v11
	s_clause 0x1
	global_load_dwordx4 v[100:103], v[114:115], off
	global_load_dwordx4 v[108:111], v[114:115], off offset:16
	v_subrev_nc_u32_e32 v114, s2, v117
	v_lshlrev_b32_e32 v112, 2, v112
	v_fmac_f32_e32 v80, v96, v9
	v_fmac_f32_e32 v8, v98, v10
	s_waitcnt vmcnt(4)
	v_fmac_f32_e32 v70, v56, v83
	v_fmac_f32_e32 v78, v57, v83
	v_ashrrev_i32_e32 v113, 31, v112
	v_fmac_f32_e32 v80, v99, v10
	v_fma_f32 v115, -v99, v11, v8
	v_lshlrev_b32_e32 v8, 2, v114
	v_fma_f32 v57, -v57, v84, v70
	v_fmac_f32_e32 v78, v56, v84
	v_fmac_f32_e32 v80, v98, v11
	v_lshlrev_b64 v[10:11], 3, v[112:113]
	v_ashrrev_i32_e32 v9, 31, v8
	v_fmac_f32_e32 v57, v58, v85
	v_fmac_f32_e32 v78, v59, v85
	;; [unrolled: 1-line block ×4, first 2 shown]
	v_lshlrev_b64 v[8:9], 3, v[8:9]
	v_add_co_u32 v96, vcc_lo, s6, v10
	v_add_co_ci_u32_e64 v97, null, s7, v11, vcc_lo
	v_fma_f32 v70, -v59, v86, v57
	v_add_co_u32 v112, vcc_lo, s6, v8
	v_add_co_ci_u32_e64 v113, null, s7, v9, vcc_lo
	s_clause 0x1
	global_load_dwordx4 v[8:11], v[96:97], off
	global_load_dwordx4 v[96:99], v[96:97], off offset:16
	v_fmac_f32_e32 v78, v58, v86
	v_fma_f32 v45, -v45, v84, v76
	global_load_dwordx4 v[56:59], v[112:113], off
	v_fmac_f32_e32 v79, v44, v84
	v_fmac_f32_e32 v118, v48, v83
	;; [unrolled: 1-line block ×7, first 2 shown]
	v_fma_f32 v49, -v49, v84, v118
	v_fma_f32 v76, -v47, v86, v45
	v_fmac_f32_e32 v81, v48, v84
	v_fmac_f32_e32 v79, v46, v86
	global_load_dwordx4 v[44:47], v[112:113], off offset:16
	v_fma_f32 v37, -v37, v84, v115
	v_fmac_f32_e32 v80, v36, v84
	v_fmac_f32_e32 v49, v50, v85
	;; [unrolled: 1-line block ×3, first 2 shown]
	v_add_co_u32 v73, vcc_lo, 0x8000, v73
	v_fmac_f32_e32 v37, v38, v85
	v_fmac_f32_e32 v80, v39, v85
	v_fma_f32 v36, -v51, v86, v49
	v_fmac_f32_e32 v81, v50, v86
	v_add_co_ci_u32_e64 v74, null, 0, v74, vcc_lo
	v_fma_f32 v37, -v39, v86, v37
	v_fmac_f32_e32 v80, v38, v86
	v_cmp_ge_i32_e32 vcc_lo, v75, v82
	s_or_b32 s8, vcc_lo, s8
	s_waitcnt vmcnt(3)
	v_fmac_f32_e32 v70, v60, v8
	v_fmac_f32_e32 v78, v61, v8
	v_fmac_f32_e32 v76, v52, v8
	v_fmac_f32_e32 v79, v53, v8
	v_fmac_f32_e32 v36, v24, v8
	v_fmac_f32_e32 v81, v25, v8
	v_fmac_f32_e32 v37, v12, v8
	v_fmac_f32_e32 v80, v13, v8
	v_fma_f32 v8, -v61, v9, v70
	v_fmac_f32_e32 v78, v60, v9
	v_fma_f32 v38, -v53, v9, v76
	v_fmac_f32_e32 v79, v52, v9
	v_fma_f32 v25, -v25, v9, v36
	v_fmac_f32_e32 v81, v24, v9
	v_fma_f32 v13, -v13, v9, v37
	v_fmac_f32_e32 v80, v12, v9
	v_fmac_f32_e32 v8, v62, v10
	v_fmac_f32_e32 v78, v63, v10
	v_fmac_f32_e32 v38, v54, v10
	v_fmac_f32_e32 v79, v55, v10
	v_fmac_f32_e32 v25, v26, v10
	v_fmac_f32_e32 v81, v27, v10
	v_fmac_f32_e32 v13, v14, v10
	v_fmac_f32_e32 v80, v15, v10
	v_fma_f32 v8, -v63, v11, v8
	v_fmac_f32_e32 v78, v62, v11
	v_fma_f32 v9, -v55, v11, v38
	v_fmac_f32_e32 v79, v54, v11
	v_fma_f32 v10, -v27, v11, v25
	v_fmac_f32_e32 v81, v26, v11
	v_fma_f32 v12, -v15, v11, v13
	v_fmac_f32_e32 v80, v14, v11
	s_waitcnt vmcnt(2)
	v_fmac_f32_e32 v8, v40, v96
	v_fmac_f32_e32 v78, v41, v96
	v_fmac_f32_e32 v9, v32, v96
	v_fmac_f32_e32 v79, v33, v96
	v_fmac_f32_e32 v10, v28, v96
	v_fmac_f32_e32 v81, v29, v96
	v_fmac_f32_e32 v12, v16, v96
	v_fmac_f32_e32 v80, v17, v96
	v_fma_f32 v8, -v41, v97, v8
	v_fmac_f32_e32 v78, v40, v97
	v_fma_f32 v9, -v33, v97, v9
	v_fmac_f32_e32 v79, v32, v97
	v_fma_f32 v10, -v29, v97, v10
	v_fmac_f32_e32 v81, v28, v97
	v_fma_f32 v11, -v17, v97, v12
	v_fmac_f32_e32 v80, v16, v97
	v_fmac_f32_e32 v8, v42, v98
	v_fmac_f32_e32 v78, v43, v98
	v_fmac_f32_e32 v9, v34, v98
	v_fmac_f32_e32 v79, v35, v98
	v_fmac_f32_e32 v10, v30, v98
	v_fmac_f32_e32 v81, v31, v98
	v_fmac_f32_e32 v11, v18, v98
	v_fmac_f32_e32 v80, v19, v98
	v_fma_f32 v8, -v43, v99, v8
	v_fmac_f32_e32 v78, v42, v99
	v_fma_f32 v9, -v35, v99, v9
	v_fmac_f32_e32 v79, v34, v99
	v_fma_f32 v10, -v31, v99, v10
	v_fmac_f32_e32 v81, v30, v99
	v_fma_f32 v11, -v19, v99, v11
	v_fmac_f32_e32 v80, v18, v99
	s_waitcnt vmcnt(1)
	v_fmac_f32_e32 v8, v100, v56
	v_fmac_f32_e32 v78, v101, v56
	v_fmac_f32_e32 v9, v4, v56
	v_fmac_f32_e32 v79, v5, v56
	v_fmac_f32_e32 v10, v88, v56
	v_fmac_f32_e32 v81, v89, v56
	v_fmac_f32_e32 v11, v20, v56
	v_fmac_f32_e32 v80, v21, v56
	v_fma_f32 v8, -v101, v57, v8
	v_fmac_f32_e32 v78, v100, v57
	v_fma_f32 v5, -v5, v57, v9
	v_fmac_f32_e32 v79, v4, v57
	v_fma_f32 v4, -v89, v57, v10
	v_fmac_f32_e32 v81, v88, v57
	v_fma_f32 v9, -v21, v57, v11
	v_fmac_f32_e32 v80, v20, v57
	v_fmac_f32_e32 v8, v102, v58
	v_fmac_f32_e32 v78, v103, v58
	v_fmac_f32_e32 v5, v6, v58
	v_fmac_f32_e32 v79, v7, v58
	v_fmac_f32_e32 v4, v90, v58
	v_fmac_f32_e32 v81, v91, v58
	v_fmac_f32_e32 v9, v22, v58
	v_fmac_f32_e32 v80, v23, v58
	v_fma_f32 v8, -v103, v59, v8
	v_fmac_f32_e32 v78, v102, v59
	v_fma_f32 v5, -v7, v59, v5
	v_fmac_f32_e32 v79, v6, v59
	v_fma_f32 v4, -v91, v59, v4
	v_fmac_f32_e32 v81, v90, v59
	v_fma_f32 v6, -v23, v59, v9
	v_fmac_f32_e32 v80, v22, v59
	s_waitcnt vmcnt(0)
	v_fmac_f32_e32 v8, v108, v44
	v_fmac_f32_e32 v78, v109, v44
	v_fmac_f32_e32 v5, v104, v44
	v_fmac_f32_e32 v79, v105, v44
	v_fmac_f32_e32 v4, v92, v44
	v_fmac_f32_e32 v81, v93, v44
	v_fmac_f32_e32 v6, v0, v44
	v_fmac_f32_e32 v80, v1, v44
	v_fma_f32 v7, -v109, v45, v8
	v_fmac_f32_e32 v78, v108, v45
	v_fma_f32 v5, -v105, v45, v5
	v_fmac_f32_e32 v79, v104, v45
	v_fma_f32 v4, -v93, v45, v4
	v_fmac_f32_e32 v81, v92, v45
	v_fma_f32 v1, -v1, v45, v6
	v_fmac_f32_e32 v80, v0, v45
	v_fmac_f32_e32 v7, v110, v46
	v_fmac_f32_e32 v78, v111, v46
	v_fmac_f32_e32 v5, v106, v46
	v_fmac_f32_e32 v79, v107, v46
	v_fmac_f32_e32 v4, v94, v46
	v_fmac_f32_e32 v81, v95, v46
	v_fmac_f32_e32 v1, v2, v46
	v_fmac_f32_e32 v80, v3, v46
	v_fma_f32 v85, -v111, v47, v7
	v_fmac_f32_e32 v78, v110, v47
	v_fma_f32 v86, -v107, v47, v5
	v_fmac_f32_e32 v79, v106, v47
	v_fma_f32 v84, -v95, v47, v4
	v_fmac_f32_e32 v81, v94, v47
	v_fma_f32 v83, -v3, v47, v1
	v_fmac_f32_e32 v80, v2, v47
	s_andn2_b32 exec_lo, exec_lo, s8
	s_cbranch_execnz .LBB14_19
; %bb.20:
	s_or_b32 exec_lo, exec_lo, s8
.LBB14_21:
	s_or_b32 exec_lo, exec_lo, s3
.LBB14_22:
	s_or_b32 exec_lo, exec_lo, s1
	s_cbranch_execz .LBB14_24
	s_branch .LBB14_35
.LBB14_23:
                                        ; implicit-def: $vgpr78
                                        ; implicit-def: $vgpr85
                                        ; implicit-def: $vgpr83
                                        ; implicit-def: $vgpr80
                                        ; implicit-def: $vgpr84
                                        ; implicit-def: $vgpr81
                                        ; implicit-def: $vgpr86
                                        ; implicit-def: $vgpr79
.LBB14_24:
	v_mov_b32_e32 v78, 0
	v_mov_b32_e32 v85, 0
	;; [unrolled: 1-line block ×8, first 2 shown]
	s_and_saveexec_b32 s1, s0
	s_cbranch_execz .LBB14_34
; %bb.25:
	v_add_nc_u32_e32 v0, v87, v77
	v_not_b32_e32 v1, v87
	v_mov_b32_e32 v79, 0
	v_mov_b32_e32 v86, 0
	;; [unrolled: 1-line block ×3, first 2 shown]
	v_subrev_nc_u32_e32 v0, s2, v0
	v_mov_b32_e32 v84, 0
	v_mov_b32_e32 v80, 0
	v_mov_b32_e32 v83, 0
	v_mov_b32_e32 v85, 0
	v_add_nc_u32_e32 v0, 64, v0
	v_mov_b32_e32 v78, 0
	s_mov_b32 s0, exec_lo
	v_max_i32_e32 v0, v0, v82
	v_add3_u32 v0, s2, v0, v1
	v_sub_nc_u32_e32 v0, v0, v77
	v_and_b32_e32 v1, 0xc0, v0
	v_cmpx_ne_u32_e32 0xc0, v1
	s_cbranch_execz .LBB14_29
; %bb.26:
	v_lshrrev_b32_e32 v1, 6, v0
	v_mov_b32_e32 v78, 0
	v_mov_b32_e32 v85, 0
	;; [unrolled: 1-line block ×4, first 2 shown]
	v_add_nc_u32_e32 v1, 1, v1
	v_mov_b32_e32 v84, 0
	v_mov_b32_e32 v81, 0
	;; [unrolled: 1-line block ×4, first 2 shown]
	v_and_b32_e32 v1, 3, v1
	s_mov_b32 s3, 0
	v_sub_nc_u32_e32 v1, 0, v1
.LBB14_27:                              ; =>This Inner Loop Header: Depth=1
	v_ashrrev_i32_e32 v70, 31, v69
	v_add_co_u32 v1, s8, v1, 1
	s_or_b32 s3, s8, s3
	v_lshlrev_b64 v[2:3], 2, v[69:70]
	v_add_nc_u32_e32 v69, 64, v69
	v_add_co_u32 v2, vcc_lo, s12, v2
	v_add_co_ci_u32_e64 v3, null, s13, v3, vcc_lo
	global_load_dword v14, v[2:3], off
	s_clause 0x2
	global_load_dwordx4 v[2:5], v[71:72], off offset:32
	global_load_dwordx4 v[6:9], v[71:72], off offset:16
	global_load_dwordx4 v[10:13], v[71:72], off
	s_waitcnt vmcnt(3)
	v_subrev_nc_u32_e32 v14, s2, v14
	v_lshlrev_b32_e32 v14, 2, v14
	v_ashrrev_i32_e32 v15, 31, v14
	v_lshlrev_b64 v[14:15], 3, v[14:15]
	v_add_co_u32 v18, vcc_lo, s6, v14
	v_add_co_ci_u32_e64 v19, null, s7, v15, vcc_lo
	s_clause 0x1
	global_load_dwordx4 v[14:17], v[18:19], off
	global_load_dwordx4 v[18:21], v[18:19], off offset:16
	s_clause 0x4
	global_load_dwordx4 v[22:25], v[71:72], off offset:48
	global_load_dwordx4 v[26:29], v[71:72], off offset:64
	global_load_dwordx4 v[30:33], v[71:72], off offset:80
	global_load_dwordx4 v[34:37], v[71:72], off offset:96
	global_load_dwordx4 v[38:41], v[71:72], off offset:112
	v_add_co_u32 v71, vcc_lo, 0x2000, v71
	v_add_co_ci_u32_e64 v72, null, 0, v72, vcc_lo
	s_waitcnt vmcnt(6)
	v_fmac_f32_e32 v85, v10, v14
	v_fmac_f32_e32 v78, v11, v14
	;; [unrolled: 1-line block ×8, first 2 shown]
	v_fma_f32 v11, -v11, v15, v85
	v_fmac_f32_e32 v78, v10, v15
	v_fma_f32 v10, -v13, v15, v86
	v_fmac_f32_e32 v79, v12, v15
	;; [unrolled: 2-line block ×4, first 2 shown]
	v_fmac_f32_e32 v11, v2, v16
	v_fmac_f32_e32 v78, v3, v16
	;; [unrolled: 1-line block ×4, first 2 shown]
	s_waitcnt vmcnt(4)
	v_fmac_f32_e32 v7, v22, v16
	v_fmac_f32_e32 v81, v23, v16
	;; [unrolled: 1-line block ×4, first 2 shown]
	v_fma_f32 v3, -v3, v17, v11
	v_fmac_f32_e32 v78, v2, v17
	v_fma_f32 v2, -v5, v17, v10
	v_fmac_f32_e32 v79, v4, v17
	;; [unrolled: 2-line block ×4, first 2 shown]
	s_waitcnt vmcnt(3)
	v_fmac_f32_e32 v3, v26, v18
	v_fmac_f32_e32 v78, v27, v18
	;; [unrolled: 1-line block ×4, first 2 shown]
	s_waitcnt vmcnt(2)
	v_fmac_f32_e32 v4, v30, v18
	v_fmac_f32_e32 v81, v31, v18
	;; [unrolled: 1-line block ×4, first 2 shown]
	v_fma_f32 v3, -v27, v19, v3
	v_fmac_f32_e32 v78, v26, v19
	v_fma_f32 v2, -v29, v19, v2
	v_fmac_f32_e32 v79, v28, v19
	;; [unrolled: 2-line block ×4, first 2 shown]
	s_waitcnt vmcnt(1)
	v_fmac_f32_e32 v3, v34, v20
	v_fmac_f32_e32 v78, v35, v20
	;; [unrolled: 1-line block ×4, first 2 shown]
	s_waitcnt vmcnt(0)
	v_fmac_f32_e32 v4, v38, v20
	v_fmac_f32_e32 v81, v39, v20
	;; [unrolled: 1-line block ×4, first 2 shown]
	v_fma_f32 v85, -v35, v21, v3
	v_fmac_f32_e32 v78, v34, v21
	v_fma_f32 v86, -v37, v21, v2
	v_fmac_f32_e32 v79, v36, v21
	;; [unrolled: 2-line block ×4, first 2 shown]
	s_andn2_b32 exec_lo, exec_lo, s3
	s_cbranch_execnz .LBB14_27
; %bb.28:
	s_or_b32 exec_lo, exec_lo, s3
.LBB14_29:
	s_or_b32 exec_lo, exec_lo, s0
	s_mov_b32 s0, exec_lo
	v_cmpx_lt_u32_e32 0xbf, v0
	s_cbranch_execz .LBB14_33
; %bb.30:
	s_mov_b32 s3, 0
.LBB14_31:                              ; =>This Inner Loop Header: Depth=1
	v_ashrrev_i32_e32 v70, 31, v69
	v_add_co_u32 v60, vcc_lo, 0x2000, v71
	v_add_co_ci_u32_e64 v61, null, 0, v72, vcc_lo
	v_lshlrev_b64 v[73:74], 2, v[69:70]
	v_add_co_u32 v91, vcc_lo, 0x4000, v71
	v_add_co_ci_u32_e64 v92, null, 0, v72, vcc_lo
	v_add_co_u32 v94, vcc_lo, 0x6000, v71
	v_add_co_ci_u32_e64 v95, null, 0, v72, vcc_lo
	;; [unrolled: 2-line block ×3, first 2 shown]
	s_clause 0xf
	global_load_dwordx4 v[8:11], v[71:72], off offset:48
	global_load_dwordx4 v[16:19], v[71:72], off offset:32
	;; [unrolled: 1-line block ×3, first 2 shown]
	global_load_dwordx4 v[24:27], v[71:72], off
	global_load_dwordx4 v[0:3], v[71:72], off offset:112
	global_load_dwordx4 v[4:7], v[71:72], off offset:96
	;; [unrolled: 1-line block ×6, first 2 shown]
	global_load_dwordx4 v[40:43], v[60:61], off
	global_load_dwordx4 v[44:47], v[60:61], off offset:16
	global_load_dwordx4 v[48:51], v[60:61], off offset:112
	;; [unrolled: 1-line block ×5, first 2 shown]
	s_clause 0x3
	global_load_dword v70, v[73:74], off
	global_load_dword v93, v[73:74], off offset:256
	global_load_dword v96, v[73:74], off offset:512
	;; [unrolled: 1-line block ×3, first 2 shown]
	v_add_nc_u32_e32 v69, 0x100, v69
	s_waitcnt vmcnt(3)
	v_subrev_nc_u32_e32 v70, s2, v70
	v_lshlrev_b32_e32 v73, 2, v70
	v_ashrrev_i32_e32 v74, 31, v73
	v_lshlrev_b64 v[73:74], 3, v[73:74]
	v_add_co_u32 v87, vcc_lo, s6, v73
	v_add_co_ci_u32_e64 v88, null, s7, v74, vcc_lo
	s_clause 0x1
	global_load_dwordx4 v[73:76], v[87:88], off
	global_load_dwordx4 v[87:90], v[87:88], off offset:16
	s_waitcnt vmcnt(1)
	v_fmac_f32_e32 v78, v25, v73
	v_fmac_f32_e32 v85, v24, v73
	;; [unrolled: 1-line block ×6, first 2 shown]
	v_fma_f32 v70, -v25, v74, v85
	v_fma_f32 v83, -v23, v74, v83
	;; [unrolled: 1-line block ×3, first 2 shown]
	v_fmac_f32_e32 v84, v20, v73
	v_fmac_f32_e32 v78, v17, v75
	;; [unrolled: 1-line block ×7, first 2 shown]
	v_fma_f32 v70, -v17, v76, v70
	v_fma_f32 v83, -v11, v76, v83
	v_fmac_f32_e32 v79, v26, v74
	v_fma_f32 v73, -v21, v74, v84
	s_waitcnt vmcnt(0)
	v_fmac_f32_e32 v78, v29, v87
	v_fmac_f32_e32 v70, v28, v87
	;; [unrolled: 1-line block ×7, first 2 shown]
	v_fma_f32 v70, -v29, v88, v70
	v_fma_f32 v86, -v15, v88, v83
	v_subrev_nc_u32_e32 v83, s2, v93
	v_fmac_f32_e32 v78, v5, v89
	v_fmac_f32_e32 v79, v19, v75
	v_fma_f32 v84, -v19, v76, v85
	v_fmac_f32_e32 v73, v8, v75
	v_fmac_f32_e32 v81, v9, v75
	;; [unrolled: 1-line block ×5, first 2 shown]
	v_lshlrev_b32_e32 v4, 2, v83
	v_fmac_f32_e32 v79, v18, v76
	v_fma_f32 v85, -v9, v76, v73
	v_fmac_f32_e32 v81, v8, v76
	v_fmac_f32_e32 v80, v10, v76
	;; [unrolled: 1-line block ×3, first 2 shown]
	v_fma_f32 v70, -v5, v90, v70
	v_ashrrev_i32_e32 v5, 31, v4
	v_fmac_f32_e32 v79, v31, v87
	v_fmac_f32_e32 v85, v12, v87
	v_fma_f32 v84, -v31, v88, v84
	v_fmac_f32_e32 v81, v13, v87
	v_fmac_f32_e32 v80, v15, v87
	v_lshlrev_b64 v[4:5], 3, v[4:5]
	v_fmac_f32_e32 v79, v30, v88
	v_fma_f32 v85, -v13, v88, v85
	v_fmac_f32_e32 v81, v12, v88
	v_fmac_f32_e32 v80, v14, v88
	;; [unrolled: 1-line block ×3, first 2 shown]
	v_add_co_u32 v83, vcc_lo, s6, v4
	v_fmac_f32_e32 v79, v7, v89
	v_fmac_f32_e32 v85, v0, v89
	v_fma_f32 v87, -v7, v90, v84
	v_add_co_ci_u32_e64 v84, null, s7, v5, vcc_lo
	v_fmac_f32_e32 v81, v1, v89
	v_fmac_f32_e32 v86, v2, v89
	;; [unrolled: 1-line block ×3, first 2 shown]
	s_clause 0x6
	global_load_dwordx4 v[24:27], v[91:92], off
	global_load_dwordx4 v[16:19], v[91:92], off offset:32
	global_load_dwordx4 v[20:23], v[91:92], off offset:48
	;; [unrolled: 1-line block ×6, first 2 shown]
	v_fmac_f32_e32 v79, v6, v90
	global_load_dwordx4 v[4:7], v[91:92], off offset:64
	v_fma_f32 v88, -v1, v90, v85
	v_fmac_f32_e32 v81, v0, v90
	v_fma_f32 v89, -v3, v90, v86
	v_fmac_f32_e32 v80, v2, v90
	s_clause 0x1
	global_load_dwordx4 v[0:3], v[83:84], off
	global_load_dwordx4 v[83:86], v[83:84], off offset:16
	s_waitcnt vmcnt(1)
	v_fmac_f32_e32 v81, v45, v0
	v_fmac_f32_e32 v88, v44, v0
	;; [unrolled: 1-line block ×9, first 2 shown]
	v_fma_f32 v0, -v45, v1, v88
	v_fmac_f32_e32 v81, v33, v2
	v_fma_f32 v70, -v41, v1, v70
	v_fma_f32 v88, -v47, v1, v89
	v_fmac_f32_e32 v80, v46, v1
	v_fmac_f32_e32 v0, v32, v2
	;; [unrolled: 1-line block ×3, first 2 shown]
	v_subrev_nc_u32_e32 v32, s2, v96
	v_fmac_f32_e32 v78, v40, v1
	v_fmac_f32_e32 v80, v35, v2
	v_fma_f32 v92, -v33, v3, v0
	v_subrev_nc_u32_e32 v33, s2, v97
	v_lshlrev_b32_e32 v32, 2, v32
	v_fma_f32 v87, -v43, v1, v87
	v_fmac_f32_e32 v79, v42, v1
	v_fmac_f32_e32 v88, v34, v2
	;; [unrolled: 1-line block ×3, first 2 shown]
	v_lshlrev_b32_e32 v34, 2, v33
	v_ashrrev_i32_e32 v33, 31, v32
	v_fmac_f32_e32 v70, v36, v2
	v_fmac_f32_e32 v78, v37, v2
	;; [unrolled: 1-line block ×4, first 2 shown]
	v_lshlrev_b64 v[32:33], 3, v[32:33]
	v_fma_f32 v70, -v37, v3, v70
	v_fmac_f32_e32 v78, v36, v3
	v_fma_f32 v89, -v39, v3, v87
	v_fmac_f32_e32 v79, v38, v3
	v_fma_f32 v93, -v35, v3, v88
	v_add_co_u32 v87, vcc_lo, s6, v32
	v_add_co_ci_u32_e64 v88, null, s7, v33, vcc_lo
	s_waitcnt vmcnt(0)
	v_fmac_f32_e32 v70, v60, v83
	v_fmac_f32_e32 v78, v61, v83
	;; [unrolled: 1-line block ×5, first 2 shown]
	v_fma_f32 v70, -v61, v84, v70
	v_fmac_f32_e32 v78, v60, v84
	v_fma_f32 v89, -v63, v84, v89
	v_fmac_f32_e32 v79, v62, v84
	global_load_dwordx4 v[60:63], v[87:88], off
	v_fmac_f32_e32 v81, v57, v83
	v_fmac_f32_e32 v93, v58, v83
	;; [unrolled: 1-line block ×3, first 2 shown]
	v_fma_f32 v83, -v57, v84, v92
	v_ashrrev_i32_e32 v35, 31, v34
	v_fmac_f32_e32 v81, v56, v84
	v_fma_f32 v92, -v59, v84, v93
	v_fmac_f32_e32 v80, v58, v84
	global_load_dwordx4 v[56:59], v[87:88], off offset:16
	v_lshlrev_b64 v[34:35], 3, v[34:35]
	v_fmac_f32_e32 v70, v52, v85
	v_fmac_f32_e32 v78, v53, v85
	;; [unrolled: 1-line block ×4, first 2 shown]
	s_clause 0x1
	global_load_dwordx4 v[40:43], v[94:95], off
	global_load_dwordx4 v[0:3], v[94:95], off offset:16
	v_add_co_u32 v90, vcc_lo, s6, v34
	v_add_co_ci_u32_e64 v91, null, s7, v35, vcc_lo
	v_fma_f32 v70, -v53, v86, v70
	v_fmac_f32_e32 v78, v52, v86
	v_fma_f32 v84, -v55, v86, v89
	v_fmac_f32_e32 v79, v54, v86
	global_load_dwordx4 v[52:55], v[90:91], off
	s_clause 0x1
	global_load_dwordx4 v[44:47], v[94:95], off offset:48
	global_load_dwordx4 v[36:39], v[94:95], off offset:32
	v_fmac_f32_e32 v83, v48, v85
	v_fmac_f32_e32 v81, v49, v85
	;; [unrolled: 1-line block ×4, first 2 shown]
	global_load_dwordx4 v[32:35], v[94:95], off offset:64
	v_fma_f32 v83, -v49, v86, v83
	v_fmac_f32_e32 v81, v48, v86
	v_fma_f32 v85, -v51, v86, v92
	v_fmac_f32_e32 v80, v50, v86
	s_clause 0x1
	global_load_dwordx4 v[48:51], v[94:95], off offset:80
	global_load_dwordx4 v[86:89], v[94:95], off offset:96
	;; [unrolled: 1-line block ×3, first 2 shown]
	v_add_co_u32 v71, vcc_lo, 0x8000, v71
	v_add_co_ci_u32_e64 v72, null, 0, v72, vcc_lo
	v_cmp_ge_i32_e32 vcc_lo, v69, v82
	s_or_b32 s3, vcc_lo, s3
	s_waitcnt vmcnt(10)
	v_fmac_f32_e32 v70, v24, v60
	v_fmac_f32_e32 v78, v25, v60
	;; [unrolled: 1-line block ×5, first 2 shown]
	v_fma_f32 v70, -v25, v61, v70
	v_fmac_f32_e32 v78, v24, v61
	v_fma_f32 v84, -v27, v61, v84
	v_fmac_f32_e32 v79, v26, v61
	global_load_dwordx4 v[24:27], v[94:95], off offset:112
	v_fmac_f32_e32 v81, v9, v60
	v_fmac_f32_e32 v85, v10, v60
	;; [unrolled: 1-line block ×3, first 2 shown]
	v_fma_f32 v9, -v9, v61, v83
	v_fmac_f32_e32 v70, v16, v62
	v_fmac_f32_e32 v81, v8, v61
	v_fma_f32 v8, -v11, v61, v85
	v_fmac_f32_e32 v80, v10, v61
	v_fmac_f32_e32 v78, v17, v62
	;; [unrolled: 1-line block ×8, first 2 shown]
	v_fma_f32 v10, -v17, v63, v70
	v_fmac_f32_e32 v78, v16, v63
	v_fma_f32 v11, -v19, v63, v84
	v_fmac_f32_e32 v79, v18, v63
	;; [unrolled: 2-line block ×4, first 2 shown]
	s_waitcnt vmcnt(10)
	v_fmac_f32_e32 v10, v4, v56
	v_fmac_f32_e32 v78, v5, v56
	;; [unrolled: 1-line block ×8, first 2 shown]
	v_fma_f32 v5, -v5, v57, v10
	v_fmac_f32_e32 v78, v4, v57
	v_fma_f32 v4, -v7, v57, v11
	v_fmac_f32_e32 v79, v6, v57
	;; [unrolled: 2-line block ×4, first 2 shown]
	v_fmac_f32_e32 v5, v28, v58
	v_fmac_f32_e32 v78, v29, v58
	v_fmac_f32_e32 v4, v30, v58
	v_fmac_f32_e32 v79, v31, v58
	v_fmac_f32_e32 v6, v73, v58
	v_fmac_f32_e32 v81, v74, v58
	v_fmac_f32_e32 v7, v75, v58
	v_fmac_f32_e32 v80, v76, v58
	v_fma_f32 v5, -v29, v59, v5
	v_fmac_f32_e32 v78, v28, v59
	v_fma_f32 v4, -v31, v59, v4
	v_fmac_f32_e32 v79, v30, v59
	v_fma_f32 v6, -v74, v59, v6
	v_fmac_f32_e32 v81, v73, v59
	v_fma_f32 v7, -v76, v59, v7
	v_fmac_f32_e32 v80, v75, v59
	s_waitcnt vmcnt(7)
	v_fmac_f32_e32 v5, v40, v52
	v_fmac_f32_e32 v78, v41, v52
	v_fmac_f32_e32 v4, v42, v52
	v_fmac_f32_e32 v79, v43, v52
	v_fmac_f32_e32 v6, v0, v52
	v_fmac_f32_e32 v81, v1, v52
	v_fmac_f32_e32 v7, v2, v52
	v_fmac_f32_e32 v80, v3, v52
	v_fma_f32 v5, -v41, v53, v5
	v_fmac_f32_e32 v78, v40, v53
	v_fma_f32 v4, -v43, v53, v4
	v_fmac_f32_e32 v79, v42, v53
	v_fma_f32 v1, -v1, v53, v6
	v_fmac_f32_e32 v81, v0, v53
	v_fma_f32 v0, -v3, v53, v7
	v_fmac_f32_e32 v80, v2, v53
	s_waitcnt vmcnt(5)
	;; [unrolled: 17-line block ×3, first 2 shown]
	v_fmac_f32_e32 v2, v32, v90
	v_fmac_f32_e32 v78, v33, v90
	;; [unrolled: 1-line block ×8, first 2 shown]
	v_fma_f32 v2, -v33, v91, v2
	v_fmac_f32_e32 v78, v32, v91
	v_fma_f32 v3, -v35, v91, v3
	v_fmac_f32_e32 v79, v34, v91
	;; [unrolled: 2-line block ×4, first 2 shown]
	v_fmac_f32_e32 v2, v86, v92
	v_fmac_f32_e32 v78, v87, v92
	v_fmac_f32_e32 v3, v88, v92
	v_fmac_f32_e32 v79, v89, v92
	v_fma_f32 v85, -v87, v93, v2
	v_fmac_f32_e32 v78, v86, v93
	v_fma_f32 v86, -v89, v93, v3
	v_fmac_f32_e32 v79, v88, v93
	s_waitcnt vmcnt(0)
	v_fmac_f32_e32 v1, v24, v92
	v_fmac_f32_e32 v81, v25, v92
	v_fmac_f32_e32 v0, v26, v92
	v_fmac_f32_e32 v80, v27, v92
	v_fma_f32 v84, -v25, v93, v1
	v_fmac_f32_e32 v81, v24, v93
	v_fma_f32 v83, -v27, v93, v0
	v_fmac_f32_e32 v80, v26, v93
	s_andn2_b32 exec_lo, exec_lo, s3
	s_cbranch_execnz .LBB14_31
; %bb.32:
	s_or_b32 exec_lo, exec_lo, s3
.LBB14_33:
	s_or_b32 exec_lo, exec_lo, s0
.LBB14_34:
	s_or_b32 exec_lo, exec_lo, s1
.LBB14_35:
	v_mbcnt_lo_u32_b32 v0, -1, 0
	v_or_b32_e32 v1, 32, v0
	v_xor_b32_e32 v9, 16, v0
	v_xor_b32_e32 v17, 8, v0
	v_cmp_gt_i32_e32 vcc_lo, 32, v1
	v_cndmask_b32_e32 v1, v0, v1, vcc_lo
	v_cmp_gt_i32_e32 vcc_lo, 32, v9
	v_lshlrev_b32_e32 v1, 2, v1
	v_cndmask_b32_e32 v9, v0, v9, vcc_lo
	v_cmp_gt_i32_e32 vcc_lo, 32, v17
	ds_bpermute_b32 v2, v1, v85
	ds_bpermute_b32 v3, v1, v78
	;; [unrolled: 1-line block ×8, first 2 shown]
	v_lshlrev_b32_e32 v9, 2, v9
	v_cndmask_b32_e32 v17, v0, v17, vcc_lo
	v_lshlrev_b32_e32 v17, 2, v17
	s_waitcnt lgkmcnt(7)
	v_add_f32_e32 v2, v85, v2
	s_waitcnt lgkmcnt(6)
	v_add_f32_e32 v3, v78, v3
	;; [unrolled: 2-line block ×8, first 2 shown]
	ds_bpermute_b32 v10, v9, v2
	ds_bpermute_b32 v11, v9, v3
	;; [unrolled: 1-line block ×8, first 2 shown]
	s_waitcnt lgkmcnt(7)
	v_add_f32_e32 v2, v2, v10
	s_waitcnt lgkmcnt(6)
	v_add_f32_e32 v3, v3, v11
	;; [unrolled: 2-line block ×8, first 2 shown]
	ds_bpermute_b32 v9, v17, v2
	ds_bpermute_b32 v10, v17, v3
	;; [unrolled: 1-line block ×8, first 2 shown]
	v_xor_b32_e32 v17, 4, v0
	v_cmp_gt_i32_e32 vcc_lo, 32, v17
	v_cndmask_b32_e32 v17, v0, v17, vcc_lo
	s_waitcnt lgkmcnt(7)
	v_add_f32_e32 v2, v2, v9
	s_waitcnt lgkmcnt(6)
	v_add_f32_e32 v3, v3, v10
	;; [unrolled: 2-line block ×3, first 2 shown]
	v_lshlrev_b32_e32 v17, 2, v17
	s_waitcnt lgkmcnt(4)
	v_add_f32_e32 v5, v5, v12
	s_waitcnt lgkmcnt(3)
	v_add_f32_e32 v6, v6, v13
	;; [unrolled: 2-line block ×5, first 2 shown]
	ds_bpermute_b32 v9, v17, v2
	ds_bpermute_b32 v10, v17, v3
	;; [unrolled: 1-line block ×8, first 2 shown]
	v_xor_b32_e32 v17, 2, v0
	v_cmp_gt_i32_e32 vcc_lo, 32, v17
	v_cndmask_b32_e32 v17, v0, v17, vcc_lo
	s_waitcnt lgkmcnt(7)
	v_add_f32_e32 v2, v2, v9
	s_waitcnt lgkmcnt(6)
	v_add_f32_e32 v3, v3, v10
	;; [unrolled: 2-line block ×3, first 2 shown]
	v_lshlrev_b32_e32 v17, 2, v17
	s_waitcnt lgkmcnt(4)
	v_add_f32_e32 v5, v5, v12
	s_waitcnt lgkmcnt(3)
	v_add_f32_e32 v6, v6, v13
	;; [unrolled: 2-line block ×5, first 2 shown]
	ds_bpermute_b32 v1, v17, v2
	ds_bpermute_b32 v10, v17, v3
	;; [unrolled: 1-line block ×8, first 2 shown]
	v_xor_b32_e32 v17, 1, v0
	v_cmp_gt_i32_e32 vcc_lo, 32, v17
	v_cndmask_b32_e32 v0, v0, v17, vcc_lo
	v_cmp_eq_u32_e32 vcc_lo, 63, v77
	v_lshlrev_b32_e32 v17, 2, v0
	s_waitcnt lgkmcnt(7)
	v_add_f32_e32 v0, v2, v1
	s_waitcnt lgkmcnt(6)
	v_add_f32_e32 v1, v3, v10
	;; [unrolled: 2-line block ×8, first 2 shown]
	ds_bpermute_b32 v8, v17, v0
	ds_bpermute_b32 v9, v17, v1
	;; [unrolled: 1-line block ×8, first 2 shown]
	s_and_b32 exec_lo, exec_lo, vcc_lo
	s_cbranch_execz .LBB14_8
; %bb.36:
	s_load_dwordx2 s[2:3], s[4:5], 0x50
	s_waitcnt lgkmcnt(0)
	v_add_f32_e32 v8, v0, v8
	v_add_f32_e32 v0, v1, v9
	;; [unrolled: 1-line block ×8, first 2 shown]
	v_mul_f32_e64 v4, v0, -v67
	v_mul_f32_e32 v5, v66, v0
	v_mul_f32_e64 v6, v1, -v67
	v_mul_f32_e32 v7, v66, v1
	;; [unrolled: 2-line block ×4, first 2 shown]
	v_cmp_eq_f32_e32 vcc_lo, 0, v64
	v_cmp_eq_f32_e64 s0, 0, v65
	v_fmac_f32_e32 v4, v66, v8
	v_fmac_f32_e32 v5, v67, v8
	v_lshlrev_b32_e32 v8, 2, v68
	v_fmac_f32_e32 v6, v66, v9
	v_fmac_f32_e32 v7, v67, v9
	;; [unrolled: 1-line block ×6, first 2 shown]
	s_and_b32 s0, vcc_lo, s0
	s_and_saveexec_b32 s1, s0
	s_xor_b32 s0, exec_lo, s1
	s_cbranch_execz .LBB14_38
; %bb.37:
	v_ashrrev_i32_e32 v9, 31, v8
                                        ; implicit-def: $vgpr64_vgpr65
	v_lshlrev_b64 v[8:9], 3, v[8:9]
	v_add_co_u32 v8, vcc_lo, s2, v8
	v_add_co_ci_u32_e64 v9, null, s3, v9, vcc_lo
	global_store_dwordx4 v[8:9], v[4:7], off
	global_store_dwordx4 v[8:9], v[0:3], off offset:16
                                        ; implicit-def: $vgpr4
                                        ; implicit-def: $vgpr8
                                        ; implicit-def: $vgpr0
.LBB14_38:
	s_andn2_saveexec_b32 s0, s0
	s_cbranch_execz .LBB14_8
; %bb.39:
	v_ashrrev_i32_e32 v9, 31, v8
	v_lshlrev_b64 v[8:9], 3, v[8:9]
	v_add_co_u32 v16, vcc_lo, s2, v8
	v_add_co_ci_u32_e64 v17, null, s3, v9, vcc_lo
	s_clause 0x1
	global_load_dwordx4 v[8:11], v[16:17], off
	global_load_dwordx4 v[12:15], v[16:17], off offset:16
	s_waitcnt vmcnt(1)
	v_fmac_f32_e32 v4, v64, v8
	v_fmac_f32_e32 v5, v65, v8
	;; [unrolled: 1-line block ×4, first 2 shown]
	s_waitcnt vmcnt(0)
	v_fmac_f32_e32 v0, v64, v12
	v_fmac_f32_e32 v1, v65, v12
	;; [unrolled: 1-line block ×4, first 2 shown]
	v_fma_f32 v4, -v65, v9, v4
	v_fmac_f32_e32 v5, v64, v9
	v_fma_f32 v6, -v65, v11, v6
	v_fmac_f32_e32 v7, v64, v11
	;; [unrolled: 2-line block ×4, first 2 shown]
	global_store_dwordx4 v[16:17], v[4:7], off
	global_store_dwordx4 v[16:17], v[0:3], off offset:16
	s_endpgm
	.section	.rodata,"a",@progbits
	.p2align	6, 0x0
	.amdhsa_kernel _ZN9rocsparseL18bsrxmvn_4x4_kernelILj128ELj64E21rocsparse_complex_numIfEiiS2_S2_S2_EEvT3_20rocsparse_direction_NS_24const_host_device_scalarIT1_EES3_PKS3_PKT2_SC_S9_PKT4_PKT5_S7_PT6_21rocsparse_index_base_b
		.amdhsa_group_segment_fixed_size 0
		.amdhsa_private_segment_fixed_size 0
		.amdhsa_kernarg_size 96
		.amdhsa_user_sgpr_count 6
		.amdhsa_user_sgpr_private_segment_buffer 1
		.amdhsa_user_sgpr_dispatch_ptr 0
		.amdhsa_user_sgpr_queue_ptr 0
		.amdhsa_user_sgpr_kernarg_segment_ptr 1
		.amdhsa_user_sgpr_dispatch_id 0
		.amdhsa_user_sgpr_flat_scratch_init 0
		.amdhsa_user_sgpr_private_segment_size 0
		.amdhsa_wavefront_size32 1
		.amdhsa_uses_dynamic_stack 0
		.amdhsa_system_sgpr_private_segment_wavefront_offset 0
		.amdhsa_system_sgpr_workgroup_id_x 1
		.amdhsa_system_sgpr_workgroup_id_y 0
		.amdhsa_system_sgpr_workgroup_id_z 0
		.amdhsa_system_sgpr_workgroup_info 0
		.amdhsa_system_vgpr_workitem_id 0
		.amdhsa_next_free_vgpr 119
		.amdhsa_next_free_sgpr 16
		.amdhsa_reserve_vcc 1
		.amdhsa_reserve_flat_scratch 0
		.amdhsa_float_round_mode_32 0
		.amdhsa_float_round_mode_16_64 0
		.amdhsa_float_denorm_mode_32 3
		.amdhsa_float_denorm_mode_16_64 3
		.amdhsa_dx10_clamp 1
		.amdhsa_ieee_mode 1
		.amdhsa_fp16_overflow 0
		.amdhsa_workgroup_processor_mode 1
		.amdhsa_memory_ordered 1
		.amdhsa_forward_progress 1
		.amdhsa_shared_vgpr_count 0
		.amdhsa_exception_fp_ieee_invalid_op 0
		.amdhsa_exception_fp_denorm_src 0
		.amdhsa_exception_fp_ieee_div_zero 0
		.amdhsa_exception_fp_ieee_overflow 0
		.amdhsa_exception_fp_ieee_underflow 0
		.amdhsa_exception_fp_ieee_inexact 0
		.amdhsa_exception_int_div_zero 0
	.end_amdhsa_kernel
	.section	.text._ZN9rocsparseL18bsrxmvn_4x4_kernelILj128ELj64E21rocsparse_complex_numIfEiiS2_S2_S2_EEvT3_20rocsparse_direction_NS_24const_host_device_scalarIT1_EES3_PKS3_PKT2_SC_S9_PKT4_PKT5_S7_PT6_21rocsparse_index_base_b,"axG",@progbits,_ZN9rocsparseL18bsrxmvn_4x4_kernelILj128ELj64E21rocsparse_complex_numIfEiiS2_S2_S2_EEvT3_20rocsparse_direction_NS_24const_host_device_scalarIT1_EES3_PKS3_PKT2_SC_S9_PKT4_PKT5_S7_PT6_21rocsparse_index_base_b,comdat
.Lfunc_end14:
	.size	_ZN9rocsparseL18bsrxmvn_4x4_kernelILj128ELj64E21rocsparse_complex_numIfEiiS2_S2_S2_EEvT3_20rocsparse_direction_NS_24const_host_device_scalarIT1_EES3_PKS3_PKT2_SC_S9_PKT4_PKT5_S7_PT6_21rocsparse_index_base_b, .Lfunc_end14-_ZN9rocsparseL18bsrxmvn_4x4_kernelILj128ELj64E21rocsparse_complex_numIfEiiS2_S2_S2_EEvT3_20rocsparse_direction_NS_24const_host_device_scalarIT1_EES3_PKS3_PKT2_SC_S9_PKT4_PKT5_S7_PT6_21rocsparse_index_base_b
                                        ; -- End function
	.set _ZN9rocsparseL18bsrxmvn_4x4_kernelILj128ELj64E21rocsparse_complex_numIfEiiS2_S2_S2_EEvT3_20rocsparse_direction_NS_24const_host_device_scalarIT1_EES3_PKS3_PKT2_SC_S9_PKT4_PKT5_S7_PT6_21rocsparse_index_base_b.num_vgpr, 119
	.set _ZN9rocsparseL18bsrxmvn_4x4_kernelILj128ELj64E21rocsparse_complex_numIfEiiS2_S2_S2_EEvT3_20rocsparse_direction_NS_24const_host_device_scalarIT1_EES3_PKS3_PKT2_SC_S9_PKT4_PKT5_S7_PT6_21rocsparse_index_base_b.num_agpr, 0
	.set _ZN9rocsparseL18bsrxmvn_4x4_kernelILj128ELj64E21rocsparse_complex_numIfEiiS2_S2_S2_EEvT3_20rocsparse_direction_NS_24const_host_device_scalarIT1_EES3_PKS3_PKT2_SC_S9_PKT4_PKT5_S7_PT6_21rocsparse_index_base_b.numbered_sgpr, 16
	.set _ZN9rocsparseL18bsrxmvn_4x4_kernelILj128ELj64E21rocsparse_complex_numIfEiiS2_S2_S2_EEvT3_20rocsparse_direction_NS_24const_host_device_scalarIT1_EES3_PKS3_PKT2_SC_S9_PKT4_PKT5_S7_PT6_21rocsparse_index_base_b.num_named_barrier, 0
	.set _ZN9rocsparseL18bsrxmvn_4x4_kernelILj128ELj64E21rocsparse_complex_numIfEiiS2_S2_S2_EEvT3_20rocsparse_direction_NS_24const_host_device_scalarIT1_EES3_PKS3_PKT2_SC_S9_PKT4_PKT5_S7_PT6_21rocsparse_index_base_b.private_seg_size, 0
	.set _ZN9rocsparseL18bsrxmvn_4x4_kernelILj128ELj64E21rocsparse_complex_numIfEiiS2_S2_S2_EEvT3_20rocsparse_direction_NS_24const_host_device_scalarIT1_EES3_PKS3_PKT2_SC_S9_PKT4_PKT5_S7_PT6_21rocsparse_index_base_b.uses_vcc, 1
	.set _ZN9rocsparseL18bsrxmvn_4x4_kernelILj128ELj64E21rocsparse_complex_numIfEiiS2_S2_S2_EEvT3_20rocsparse_direction_NS_24const_host_device_scalarIT1_EES3_PKS3_PKT2_SC_S9_PKT4_PKT5_S7_PT6_21rocsparse_index_base_b.uses_flat_scratch, 0
	.set _ZN9rocsparseL18bsrxmvn_4x4_kernelILj128ELj64E21rocsparse_complex_numIfEiiS2_S2_S2_EEvT3_20rocsparse_direction_NS_24const_host_device_scalarIT1_EES3_PKS3_PKT2_SC_S9_PKT4_PKT5_S7_PT6_21rocsparse_index_base_b.has_dyn_sized_stack, 0
	.set _ZN9rocsparseL18bsrxmvn_4x4_kernelILj128ELj64E21rocsparse_complex_numIfEiiS2_S2_S2_EEvT3_20rocsparse_direction_NS_24const_host_device_scalarIT1_EES3_PKS3_PKT2_SC_S9_PKT4_PKT5_S7_PT6_21rocsparse_index_base_b.has_recursion, 0
	.set _ZN9rocsparseL18bsrxmvn_4x4_kernelILj128ELj64E21rocsparse_complex_numIfEiiS2_S2_S2_EEvT3_20rocsparse_direction_NS_24const_host_device_scalarIT1_EES3_PKS3_PKT2_SC_S9_PKT4_PKT5_S7_PT6_21rocsparse_index_base_b.has_indirect_call, 0
	.section	.AMDGPU.csdata,"",@progbits
; Kernel info:
; codeLenInByte = 7248
; TotalNumSgprs: 18
; NumVgprs: 119
; ScratchSize: 0
; MemoryBound: 0
; FloatMode: 240
; IeeeMode: 1
; LDSByteSize: 0 bytes/workgroup (compile time only)
; SGPRBlocks: 0
; VGPRBlocks: 14
; NumSGPRsForWavesPerEU: 18
; NumVGPRsForWavesPerEU: 119
; Occupancy: 8
; WaveLimiterHint : 1
; COMPUTE_PGM_RSRC2:SCRATCH_EN: 0
; COMPUTE_PGM_RSRC2:USER_SGPR: 6
; COMPUTE_PGM_RSRC2:TRAP_HANDLER: 0
; COMPUTE_PGM_RSRC2:TGID_X_EN: 1
; COMPUTE_PGM_RSRC2:TGID_Y_EN: 0
; COMPUTE_PGM_RSRC2:TGID_Z_EN: 0
; COMPUTE_PGM_RSRC2:TIDIG_COMP_CNT: 0
	.section	.text._ZN9rocsparseL18bsrxmvn_4x4_kernelILj128ELj4E21rocsparse_complex_numIdEiiS2_S2_S2_EEvT3_20rocsparse_direction_NS_24const_host_device_scalarIT1_EES3_PKS3_PKT2_SC_S9_PKT4_PKT5_S7_PT6_21rocsparse_index_base_b,"axG",@progbits,_ZN9rocsparseL18bsrxmvn_4x4_kernelILj128ELj4E21rocsparse_complex_numIdEiiS2_S2_S2_EEvT3_20rocsparse_direction_NS_24const_host_device_scalarIT1_EES3_PKS3_PKT2_SC_S9_PKT4_PKT5_S7_PT6_21rocsparse_index_base_b,comdat
	.globl	_ZN9rocsparseL18bsrxmvn_4x4_kernelILj128ELj4E21rocsparse_complex_numIdEiiS2_S2_S2_EEvT3_20rocsparse_direction_NS_24const_host_device_scalarIT1_EES3_PKS3_PKT2_SC_S9_PKT4_PKT5_S7_PT6_21rocsparse_index_base_b ; -- Begin function _ZN9rocsparseL18bsrxmvn_4x4_kernelILj128ELj4E21rocsparse_complex_numIdEiiS2_S2_S2_EEvT3_20rocsparse_direction_NS_24const_host_device_scalarIT1_EES3_PKS3_PKT2_SC_S9_PKT4_PKT5_S7_PT6_21rocsparse_index_base_b
	.p2align	8
	.type	_ZN9rocsparseL18bsrxmvn_4x4_kernelILj128ELj4E21rocsparse_complex_numIdEiiS2_S2_S2_EEvT3_20rocsparse_direction_NS_24const_host_device_scalarIT1_EES3_PKS3_PKT2_SC_S9_PKT4_PKT5_S7_PT6_21rocsparse_index_base_b,@function
_ZN9rocsparseL18bsrxmvn_4x4_kernelILj128ELj4E21rocsparse_complex_numIdEiiS2_S2_S2_EEvT3_20rocsparse_direction_NS_24const_host_device_scalarIT1_EES3_PKS3_PKT2_SC_S9_PKT4_PKT5_S7_PT6_21rocsparse_index_base_b: ; @_ZN9rocsparseL18bsrxmvn_4x4_kernelILj128ELj4E21rocsparse_complex_numIdEiiS2_S2_S2_EEvT3_20rocsparse_direction_NS_24const_host_device_scalarIT1_EES3_PKS3_PKT2_SC_S9_PKT4_PKT5_S7_PT6_21rocsparse_index_base_b
; %bb.0:
	s_clause 0x1
	s_load_dwordx2 s[2:3], s[4:5], 0x68
	s_load_dwordx2 s[0:1], s[4:5], 0x8
	s_add_u32 s7, s4, 8
	s_addc_u32 s10, s5, 0
	s_add_u32 s11, s4, 0x50
	s_addc_u32 s12, s5, 0
	s_load_dwordx2 s[8:9], s[4:5], 0x50
	s_waitcnt lgkmcnt(0)
	s_bitcmp1_b32 s3, 0
	s_cselect_b32 s0, s7, s0
	s_cselect_b32 s1, s10, s1
	v_mov_b32_e32 v1, s0
	v_mov_b32_e32 v2, s1
	s_cselect_b32 s0, s11, s8
	s_cselect_b32 s1, s12, s9
	flat_load_dwordx4 v[5:8], v[1:2]
	v_mov_b32_e32 v1, s0
	v_mov_b32_e32 v2, s1
	flat_load_dwordx4 v[1:4], v[1:2]
	s_waitcnt vmcnt(1) lgkmcnt(1)
	v_cmp_eq_f64_e32 vcc_lo, 0, v[5:6]
	v_cmp_eq_f64_e64 s0, 0, v[7:8]
	s_and_b32 s3, vcc_lo, s0
	s_mov_b32 s0, -1
	s_and_saveexec_b32 s1, s3
	s_cbranch_execz .LBB15_2
; %bb.1:
	s_waitcnt vmcnt(0) lgkmcnt(0)
	v_cmp_neq_f64_e32 vcc_lo, 1.0, v[1:2]
	v_cmp_neq_f64_e64 s0, 0, v[3:4]
	s_or_b32 s0, vcc_lo, s0
	s_orn2_b32 s0, s0, exec_lo
.LBB15_2:
	s_or_b32 exec_lo, exec_lo, s1
	s_and_saveexec_b32 s1, s0
	s_cbranch_execz .LBB15_8
; %bb.3:
	s_clause 0x1
	s_load_dwordx2 s[8:9], s[4:5], 0x20
	s_load_dwordx2 s[0:1], s[4:5], 0x0
	v_lshrrev_b32_e32 v9, 2, v0
	v_lshl_or_b32 v101, s6, 5, v9
	s_waitcnt lgkmcnt(0)
	s_cmp_lg_u64 s[8:9], 0
	s_cbranch_scc0 .LBB15_9
; %bb.4:
	s_load_dword s3, s[4:5], 0x18
	s_mov_b32 s6, 0
                                        ; implicit-def: $vgpr9
	s_waitcnt lgkmcnt(0)
	v_cmp_gt_i32_e32 vcc_lo, s3, v101
	s_mov_b32 s3, 0
	s_and_saveexec_b32 s7, vcc_lo
	s_xor_b32 s7, exec_lo, s7
	s_cbranch_execz .LBB15_6
; %bb.5:
	v_ashrrev_i32_e32 v102, 31, v101
	s_mov_b32 s3, exec_lo
	v_lshlrev_b64 v[9:10], 2, v[101:102]
	v_add_co_u32 v9, vcc_lo, s8, v9
	v_add_co_ci_u32_e64 v10, null, s9, v10, vcc_lo
	global_load_dword v9, v[9:10], off
	s_waitcnt vmcnt(0)
	v_subrev_nc_u32_e32 v9, s2, v9
.LBB15_6:
	s_or_b32 exec_lo, exec_lo, s7
	s_and_b32 vcc_lo, exec_lo, s6
	s_cbranch_vccz .LBB15_10
.LBB15_7:
	v_cmp_gt_i32_e32 vcc_lo, s0, v101
	s_andn2_b32 s0, s3, exec_lo
	s_and_b32 s3, vcc_lo, exec_lo
	s_or_b32 s3, s0, s3
	s_and_b32 exec_lo, exec_lo, s3
	s_cbranch_execnz .LBB15_11
.LBB15_8:
	s_endpgm
.LBB15_9:
	s_mov_b32 s3, 0
                                        ; implicit-def: $vgpr9
	s_cbranch_execnz .LBB15_7
.LBB15_10:
	v_mov_b32_e32 v101, v9
	s_and_b32 exec_lo, exec_lo, s3
	s_cbranch_execz .LBB15_8
.LBB15_11:
	s_load_dwordx8 s[8:15], s[4:5], 0x28
	v_ashrrev_i32_e32 v102, 31, v101
	v_and_b32_e32 v0, 3, v0
	s_load_dwordx2 s[6:7], s[4:5], 0x48
	v_lshlrev_b64 v[9:10], 2, v[101:102]
	s_waitcnt lgkmcnt(0)
	v_add_co_u32 v11, vcc_lo, s8, v9
	v_add_co_ci_u32_e64 v12, null, s9, v10, vcc_lo
	v_add_co_u32 v9, vcc_lo, s10, v9
	v_add_co_ci_u32_e64 v10, null, s11, v10, vcc_lo
	global_load_dword v127, v[11:12], off
	v_add_co_u32 v11, vcc_lo, v11, 4
	v_add_co_ci_u32_e64 v12, null, 0, v12, vcc_lo
	s_cmp_eq_u64 s[10:11], 0
	s_cselect_b32 vcc_lo, -1, 0
	s_cmp_eq_u32 s1, 1
	v_cndmask_b32_e32 v10, v10, v12, vcc_lo
	v_cndmask_b32_e32 v9, v9, v11, vcc_lo
	global_load_dword v11, v[9:10], off
	s_waitcnt vmcnt(1)
	v_subrev_nc_u32_e32 v9, s2, v127
	v_add_nc_u32_e32 v102, v9, v0
	v_ashrrev_i32_e32 v103, 31, v102
	s_waitcnt vmcnt(0)
	v_subrev_nc_u32_e32 v126, s2, v11
	v_lshlrev_b64 v[9:10], 8, v[102:103]
	v_cmp_lt_i32_e64 s0, v102, v126
	v_add_co_u32 v104, vcc_lo, s14, v9
	v_add_co_ci_u32_e64 v105, null, s15, v10, vcc_lo
	s_cbranch_scc1 .LBB15_23
; %bb.12:
	v_mov_b32_e32 v110, 0
	v_mov_b32_e32 v118, 0
	;; [unrolled: 1-line block ×16, first 2 shown]
	s_and_saveexec_b32 s3, s0
	s_cbranch_execz .LBB15_22
; %bb.13:
	v_add_nc_u32_e32 v9, v127, v0
	v_not_b32_e32 v10, v127
	v_mov_b32_e32 v116, 0
	v_mov_b32_e32 v120, 0
	;; [unrolled: 1-line block ×3, first 2 shown]
	v_subrev_nc_u32_e32 v9, s2, v9
	v_mov_b32_e32 v112, 0
	v_mov_b32_e32 v106, 0
	;; [unrolled: 1-line block ×4, first 2 shown]
	v_add_nc_u32_e32 v9, 4, v9
	v_mov_b32_e32 v110, 0
	v_mov_b32_e32 v125, v105
	v_mov_b32_e32 v117, 0
	v_mov_b32_e32 v121, 0
	v_max_i32_e32 v9, v9, v126
	v_mov_b32_e32 v115, 0
	v_mov_b32_e32 v113, 0
	;; [unrolled: 1-line block ×4, first 2 shown]
	v_add3_u32 v9, s2, v9, v10
	v_mov_b32_e32 v119, 0
	v_mov_b32_e32 v111, 0
	;; [unrolled: 1-line block ×4, first 2 shown]
	v_sub_nc_u32_e32 v9, v9, v0
	s_mov_b32 s1, exec_lo
	v_and_b32_e32 v10, 12, v9
	v_cmpx_ne_u32_e32 12, v10
	s_cbranch_execz .LBB15_17
; %bb.14:
	v_lshrrev_b32_e32 v10, 2, v9
	v_mov_b32_e32 v110, 0
	v_mov_b32_e32 v118, 0
	;; [unrolled: 1-line block ×4, first 2 shown]
	v_add_nc_u32_e32 v10, 1, v10
	v_mov_b32_e32 v112, 0
	v_mov_b32_e32 v114, 0
	;; [unrolled: 1-line block ×4, first 2 shown]
	v_and_b32_e32 v10, 3, v10
	v_mov_b32_e32 v125, v105
	v_mov_b32_e32 v111, 0
	;; [unrolled: 1-line block ×10, first 2 shown]
	v_sub_nc_u32_e32 v10, 0, v10
	v_mov_b32_e32 v124, v104
	s_mov_b32 s8, 0
.LBB15_15:                              ; =>This Inner Loop Header: Depth=1
	v_ashrrev_i32_e32 v123, 31, v122
	v_add_co_u32 v10, s9, v10, 1
	s_or_b32 s8, s9, s8
	v_lshlrev_b64 v[11:12], 2, v[122:123]
	v_add_nc_u32_e32 v122, 4, v122
	v_add_co_u32 v11, vcc_lo, s12, v11
	v_add_co_ci_u32_e64 v12, null, s13, v12, vcc_lo
	global_load_dword v43, v[11:12], off
	s_clause 0x7
	global_load_dwordx4 v[11:14], v[124:125], off offset:16
	global_load_dwordx4 v[15:18], v[124:125], off
	global_load_dwordx4 v[19:22], v[124:125], off offset:80
	global_load_dwordx4 v[23:26], v[124:125], off offset:64
	;; [unrolled: 1-line block ×6, first 2 shown]
	s_waitcnt vmcnt(8)
	v_subrev_nc_u32_e32 v43, s2, v43
	v_lshlrev_b32_e32 v43, 2, v43
	v_ashrrev_i32_e32 v44, 31, v43
	v_lshlrev_b64 v[43:44], 4, v[43:44]
	v_add_co_u32 v87, vcc_lo, s6, v43
	v_add_co_ci_u32_e64 v88, null, s7, v44, vcc_lo
	s_clause 0x1
	global_load_dwordx4 v[43:46], v[87:88], off
	global_load_dwordx4 v[47:50], v[87:88], off offset:16
	s_clause 0x7
	global_load_dwordx4 v[51:54], v[124:125], off offset:48
	global_load_dwordx4 v[55:58], v[124:125], off offset:32
	;; [unrolled: 1-line block ×8, first 2 shown]
	s_clause 0x1
	global_load_dwordx4 v[83:86], v[87:88], off offset:32
	global_load_dwordx4 v[87:90], v[87:88], off offset:48
	v_add_co_u32 v124, vcc_lo, 0x400, v124
	v_add_co_ci_u32_e64 v125, null, 0, v125, vcc_lo
	s_waitcnt vmcnt(11)
	v_fma_f64 v[91:92], v[15:16], v[43:44], v[118:119]
	v_fma_f64 v[93:94], v[17:18], v[43:44], v[110:111]
	v_fma_f64 v[95:96], v[23:24], v[43:44], v[120:121]
	v_fma_f64 v[97:98], v[25:26], v[43:44], v[116:117]
	v_fma_f64 v[99:100], v[31:32], v[43:44], v[112:113]
	v_fma_f64 v[110:111], v[33:34], v[43:44], v[114:115]
	v_fma_f64 v[108:109], v[39:40], v[43:44], v[108:109]
	v_fma_f64 v[43:44], v[41:42], v[43:44], v[106:107]
	v_fma_f64 v[17:18], -v[17:18], v[45:46], v[91:92]
	v_fma_f64 v[15:16], v[15:16], v[45:46], v[93:94]
	v_fma_f64 v[25:26], -v[25:26], v[45:46], v[95:96]
	v_fma_f64 v[23:24], v[23:24], v[45:46], v[97:98]
	v_fma_f64 v[33:34], -v[33:34], v[45:46], v[99:100]
	v_fma_f64 v[31:32], v[31:32], v[45:46], v[110:111]
	v_fma_f64 v[41:42], -v[41:42], v[45:46], v[108:109]
	v_fma_f64 v[39:40], v[39:40], v[45:46], v[43:44]
	s_waitcnt vmcnt(10)
	v_fma_f64 v[17:18], v[11:12], v[47:48], v[17:18]
	v_fma_f64 v[15:16], v[13:14], v[47:48], v[15:16]
	v_fma_f64 v[25:26], v[19:20], v[47:48], v[25:26]
	v_fma_f64 v[23:24], v[21:22], v[47:48], v[23:24]
	v_fma_f64 v[33:34], v[27:28], v[47:48], v[33:34]
	v_fma_f64 v[31:32], v[29:30], v[47:48], v[31:32]
	v_fma_f64 v[41:42], v[35:36], v[47:48], v[41:42]
	v_fma_f64 v[39:40], v[37:38], v[47:48], v[39:40]
	v_fma_f64 v[13:14], -v[13:14], v[49:50], v[17:18]
	v_fma_f64 v[11:12], v[11:12], v[49:50], v[15:16]
	v_fma_f64 v[15:16], -v[21:22], v[49:50], v[25:26]
	v_fma_f64 v[17:18], v[19:20], v[49:50], v[23:24]
	v_fma_f64 v[19:20], -v[29:30], v[49:50], v[33:34]
	v_fma_f64 v[21:22], v[27:28], v[49:50], v[31:32]
	v_fma_f64 v[23:24], -v[37:38], v[49:50], v[41:42]
	v_fma_f64 v[25:26], v[35:36], v[49:50], v[39:40]
	;; [unrolled: 17-line block ×4, first 2 shown]
	s_andn2_b32 exec_lo, exec_lo, s8
	s_cbranch_execnz .LBB15_15
; %bb.16:
	s_or_b32 exec_lo, exec_lo, s8
.LBB15_17:
	s_or_b32 exec_lo, exec_lo, s1
	s_mov_b32 s8, exec_lo
	v_cmpx_lt_u32_e32 11, v9
	s_cbranch_execz .LBB15_21
; %bb.18:
	s_mov_b32 s9, 0
.LBB15_19:                              ; =>This Inner Loop Header: Depth=1
	v_ashrrev_i32_e32 v123, 31, v122
	s_clause 0x19
	global_load_dwordx4 v[9:12], v[124:125], off offset:48
	global_load_dwordx4 v[13:16], v[124:125], off offset:32
	;; [unrolled: 1-line block ×3, first 2 shown]
	global_load_dwordx4 v[25:28], v[124:125], off
	global_load_dwordx4 v[21:24], v[124:125], off offset:112
	global_load_dwordx4 v[29:32], v[124:125], off offset:96
	;; [unrolled: 1-line block ×22, first 2 shown]
	v_lshlrev_b64 v[140:141], 2, v[122:123]
	v_add_nc_u32_e32 v122, 16, v122
	v_add_co_u32 v140, vcc_lo, s12, v140
	v_add_co_ci_u32_e64 v141, null, s13, v141, vcc_lo
	s_clause 0x3
	global_load_dword v103, v[140:141], off
	global_load_dword v123, v[140:141], off offset:16
	global_load_dword v156, v[140:141], off offset:32
	;; [unrolled: 1-line block ×3, first 2 shown]
	s_waitcnt vmcnt(3)
	v_subrev_nc_u32_e32 v103, s2, v103
	v_lshlrev_b32_e32 v140, 2, v103
	s_waitcnt vmcnt(1)
	v_subrev_nc_u32_e32 v103, s2, v156
	v_ashrrev_i32_e32 v141, 31, v140
	v_lshlrev_b64 v[140:141], 4, v[140:141]
	v_add_co_u32 v148, vcc_lo, s6, v140
	v_add_co_ci_u32_e64 v149, null, s7, v141, vcc_lo
	v_add_co_u32 v152, vcc_lo, 0x800, v124
	v_add_co_ci_u32_e64 v153, null, 0, v125, vcc_lo
	s_clause 0x1
	global_load_dwordx4 v[140:143], v[148:149], off
	global_load_dwordx4 v[144:147], v[148:149], off offset:16
	s_waitcnt vmcnt(1)
	v_fma_f64 v[110:111], v[27:28], v[140:141], v[110:111]
	v_fma_f64 v[120:121], v[57:58], v[140:141], v[120:121]
	;; [unrolled: 1-line block ×9, first 2 shown]
	v_fma_f64 v[120:121], -v[59:60], v[142:143], v[120:121]
	v_fma_f64 v[112:113], -v[71:72], v[142:143], v[112:113]
	v_fma_f64 v[114:115], v[69:70], v[142:143], v[114:115]
	v_fma_f64 v[118:119], -v[27:28], v[142:143], v[118:119]
	v_fma_f64 v[116:117], v[57:58], v[142:143], v[116:117]
	;; [unrolled: 2-line block ×3, first 2 shown]
	s_clause 0x4
	global_load_dwordx4 v[25:28], v[124:125], off offset:1168
	global_load_dwordx4 v[57:60], v[124:125], off offset:1152
	;; [unrolled: 1-line block ×5, first 2 shown]
	s_waitcnt vmcnt(5)
	v_fma_f64 v[110:111], v[19:20], v[144:145], v[110:111]
	v_fma_f64 v[118:119], v[17:18], v[144:145], v[118:119]
	;; [unrolled: 1-line block ×5, first 2 shown]
	v_fma_f64 v[118:119], -v[19:20], v[146:147], v[118:119]
	global_load_dwordx4 v[17:20], v[124:125], off offset:1216
	v_fma_f64 v[116:117], v[41:42], v[146:147], v[116:117]
	v_fma_f64 v[120:121], -v[43:44], v[146:147], v[110:111]
	v_fma_f64 v[110:111], v[61:62], v[144:145], v[112:113]
	v_fma_f64 v[112:113], v[63:64], v[144:145], v[114:115]
	global_load_dwordx4 v[41:44], v[152:153], off
	v_add_co_u32 v124, s1, 0x1000, v124
	v_add_co_ci_u32_e64 v125, null, 0, v125, s1
	v_fma_f64 v[114:115], -v[63:64], v[146:147], v[110:111]
	v_fma_f64 v[154:155], v[61:62], v[146:147], v[112:113]
	v_fma_f64 v[110:111], v[73:74], v[144:145], v[140:141]
	;; [unrolled: 1-line block ×3, first 2 shown]
	global_load_dwordx4 v[61:64], v[152:153], off offset:48
	v_fma_f64 v[140:141], -v[75:76], v[146:147], v[110:111]
	v_fma_f64 v[142:143], v[73:74], v[146:147], v[112:113]
	s_clause 0x1
	global_load_dwordx4 v[73:76], v[148:149], off offset:32
	global_load_dwordx4 v[110:113], v[148:149], off offset:48
	s_waitcnt vmcnt(1)
	v_fma_f64 v[116:117], v[31:32], v[73:74], v[116:117]
	v_fma_f64 v[114:115], v[49:50], v[73:74], v[114:115]
	;; [unrolled: 1-line block ×9, first 2 shown]
	v_fma_f64 v[114:115], -v[51:52], v[75:76], v[114:115]
	v_fma_f64 v[118:119], -v[15:16], v[75:76], v[118:119]
	v_fma_f64 v[144:145], v[13:14], v[75:76], v[144:145]
	v_fma_f64 v[120:121], -v[31:32], v[75:76], v[120:121]
	v_fma_f64 v[146:147], v[49:50], v[75:76], v[146:147]
	;; [unrolled: 2-line block ×3, first 2 shown]
	v_subrev_nc_u32_e32 v73, s2, v123
	s_clause 0x3
	global_load_dwordx4 v[13:16], v[152:153], off offset:32
	global_load_dwordx4 v[29:32], v[152:153], off offset:16
	;; [unrolled: 1-line block ×4, first 2 shown]
	v_lshlrev_b32_e32 v73, 2, v73
	v_ashrrev_i32_e32 v74, 31, v73
	s_waitcnt vmcnt(4)
	v_fma_f64 v[116:117], v[23:24], v[110:111], v[116:117]
	v_fma_f64 v[114:115], v[33:34], v[110:111], v[114:115]
	;; [unrolled: 1-line block ×5, first 2 shown]
	v_lshlrev_b64 v[73:74], 4, v[73:74]
	v_add_co_u32 v148, vcc_lo, s6, v73
	v_add_co_ci_u32_e64 v149, null, s7, v74, vcc_lo
	global_load_dwordx4 v[73:76], v[152:153], off offset:80
	v_fma_f64 v[150:151], v[21:22], v[112:113], v[116:117]
	v_fma_f64 v[116:117], v[35:36], v[110:111], v[146:147]
	v_fma_f64 v[146:147], -v[35:36], v[112:113], v[114:115]
	v_fma_f64 v[114:115], v[53:54], v[110:111], v[140:141]
	v_fma_f64 v[110:111], v[55:56], v[110:111], v[142:143]
	v_fma_f64 v[118:119], -v[11:12], v[112:113], v[118:119]
	v_fma_f64 v[144:145], v[9:10], v[112:113], v[144:145]
	global_load_dwordx4 v[9:12], v[152:153], off offset:64
	v_fma_f64 v[120:121], -v[23:24], v[112:113], v[120:121]
	global_load_dwordx4 v[21:24], v[152:153], off offset:176
	v_fma_f64 v[154:155], v[33:34], v[112:113], v[116:117]
	global_load_dwordx4 v[33:36], v[152:153], off offset:160
	v_fma_f64 v[140:141], -v[55:56], v[112:113], v[114:115]
	v_fma_f64 v[142:143], v[53:54], v[112:113], v[110:111]
	s_clause 0x1
	global_load_dwordx4 v[53:56], v[148:149], off
	global_load_dwordx4 v[110:113], v[148:149], off offset:16
	s_waitcnt vmcnt(1)
	v_fma_f64 v[114:115], v[128:129], v[53:54], v[118:119]
	v_fma_f64 v[116:117], v[130:131], v[53:54], v[144:145]
	;; [unrolled: 1-line block ×8, first 2 shown]
	v_fma_f64 v[130:131], -v[130:131], v[55:56], v[114:115]
	v_fma_f64 v[128:129], v[128:129], v[55:56], v[116:117]
	v_fma_f64 v[138:139], -v[138:139], v[55:56], v[118:119]
	v_fma_f64 v[136:137], v[136:137], v[55:56], v[120:121]
	;; [unrolled: 2-line block ×4, first 2 shown]
	s_clause 0x4
	global_load_dwordx4 v[114:117], v[152:153], off offset:144
	global_load_dwordx4 v[118:121], v[152:153], off offset:128
	;; [unrolled: 1-line block ×5, first 2 shown]
	s_waitcnt vmcnt(5)
	v_fma_f64 v[130:131], v[93:94], v[110:111], v[130:131]
	v_fma_f64 v[128:129], v[95:96], v[110:111], v[128:129]
	;; [unrolled: 1-line block ×3, first 2 shown]
	v_fma_f64 v[150:151], -v[95:96], v[112:113], v[130:131]
	v_fma_f64 v[154:155], v[93:94], v[112:113], v[128:129]
	v_fma_f64 v[128:129], v[132:133], v[110:111], v[138:139]
	;; [unrolled: 1-line block ×6, first 2 shown]
	global_load_dwordx4 v[93:96], v[152:153], off offset:192
	v_fma_f64 v[140:141], -v[108:109], v[112:113], v[140:141]
	v_fma_f64 v[134:135], -v[134:135], v[112:113], v[128:129]
	v_fma_f64 v[132:133], v[132:133], v[112:113], v[130:131]
	global_load_dwordx4 v[128:131], v[152:153], off offset:1072
	v_fma_f64 v[136:137], -v[27:28], v[112:113], v[136:137]
	v_fma_f64 v[138:139], v[25:26], v[112:113], v[138:139]
	global_load_dwordx4 v[25:28], v[152:153], off offset:1056
	v_fma_f64 v[142:143], v[106:107], v[112:113], v[110:111]
	s_clause 0x1
	global_load_dwordx4 v[106:109], v[148:149], off offset:32
	global_load_dwordx4 v[110:113], v[148:149], off offset:48
	v_lshlrev_b32_e32 v148, 2, v103
	v_subrev_nc_u32_e32 v103, s2, v157
	v_ashrrev_i32_e32 v149, 31, v148
	v_lshlrev_b64 v[148:149], 4, v[148:149]
	v_add_co_u32 v148, vcc_lo, s6, v148
	v_add_co_ci_u32_e64 v149, null, s7, v149, vcc_lo
	s_waitcnt vmcnt(1)
	v_fma_f64 v[144:145], v[45:46], v[106:107], v[150:151]
	v_fma_f64 v[146:147], v[47:48], v[106:107], v[154:155]
	;; [unrolled: 1-line block ×8, first 2 shown]
	v_fma_f64 v[144:145], -v[47:48], v[108:109], v[144:145]
	v_fma_f64 v[146:147], v[45:46], v[108:109], v[146:147]
	v_fma_f64 v[134:135], -v[91:92], v[108:109], v[134:135]
	v_fma_f64 v[132:133], v[89:90], v[108:109], v[132:133]
	;; [unrolled: 2-line block ×4, first 2 shown]
	s_clause 0x4
	global_load_dwordx4 v[45:48], v[152:153], off offset:1040
	global_load_dwordx4 v[89:92], v[152:153], off offset:1024
	;; [unrolled: 1-line block ×5, first 2 shown]
	s_waitcnt vmcnt(5)
	v_fma_f64 v[144:145], v[37:38], v[110:111], v[144:145]
	v_fma_f64 v[146:147], v[39:40], v[110:111], v[146:147]
	;; [unrolled: 1-line block ×8, first 2 shown]
	v_fma_f64 v[144:145], -v[39:40], v[112:113], v[144:145]
	v_fma_f64 v[146:147], v[37:38], v[112:113], v[146:147]
	global_load_dwordx4 v[37:40], v[152:153], off offset:1152
	v_fma_f64 v[134:135], -v[83:84], v[112:113], v[134:135]
	v_fma_f64 v[132:133], v[81:82], v[112:113], v[132:133]
	global_load_dwordx4 v[81:84], v[152:153], off offset:1232
	;; [unrolled: 3-line block ×3, first 2 shown]
	v_fma_f64 v[140:141], -v[71:72], v[112:113], v[140:141]
	v_fma_f64 v[142:143], v[69:70], v[112:113], v[110:111]
	s_clause 0x1
	global_load_dwordx4 v[69:72], v[148:149], off
	global_load_dwordx4 v[110:113], v[148:149], off offset:16
	s_waitcnt vmcnt(1)
	v_fma_f64 v[144:145], v[41:42], v[69:70], v[144:145]
	v_fma_f64 v[146:147], v[43:44], v[69:70], v[146:147]
	;; [unrolled: 1-line block ×5, first 2 shown]
	v_fma_f64 v[144:145], -v[43:44], v[71:72], v[144:145]
	v_fma_f64 v[146:147], v[41:42], v[71:72], v[146:147]
	global_load_dwordx4 v[41:44], v[148:149], off offset:32
	v_fma_f64 v[150:151], -v[11:12], v[71:72], v[134:135]
	v_fma_f64 v[154:155], v[9:10], v[71:72], v[132:133]
	v_fma_f64 v[132:133], v[118:119], v[69:70], v[136:137]
	;; [unrolled: 1-line block ×4, first 2 shown]
	v_fma_f64 v[140:141], -v[95:96], v[71:72], v[140:141]
	global_load_dwordx4 v[9:12], v[152:153], off offset:1120
	s_waitcnt vmcnt(2)
	v_fma_f64 v[95:96], v[31:32], v[110:111], v[146:147]
	v_fma_f64 v[136:137], -v[120:121], v[71:72], v[132:133]
	v_fma_f64 v[138:139], v[118:119], v[71:72], v[134:135]
	global_load_dwordx4 v[132:135], v[148:149], off offset:48
	v_fma_f64 v[142:143], v[93:94], v[71:72], v[69:70]
	v_lshlrev_b32_e32 v69, 2, v103
	v_fma_f64 v[93:94], v[29:30], v[110:111], v[144:145]
	global_load_dwordx4 v[118:121], v[152:153], off offset:1184
	v_ashrrev_i32_e32 v70, 31, v69
	v_lshlrev_b64 v[69:70], 4, v[69:70]
	v_fma_f64 v[146:147], v[29:30], v[112:113], v[95:96]
	v_fma_f64 v[95:96], v[75:76], v[110:111], v[154:155]
	v_add_co_u32 v148, vcc_lo, s6, v69
	v_add_co_ci_u32_e64 v149, null, s7, v70, vcc_lo
	v_cmp_ge_i32_e32 vcc_lo, v122, v126
	global_load_dwordx4 v[69:72], v[148:149], off
	v_fma_f64 v[144:145], -v[31:32], v[112:113], v[93:94]
	global_load_dwordx4 v[29:32], v[148:149], off offset:16
	v_fma_f64 v[93:94], v[73:74], v[110:111], v[150:151]
	s_or_b32 s9, vcc_lo, s9
	v_fma_f64 v[154:155], v[73:74], v[112:113], v[95:96]
	v_fma_f64 v[95:96], v[116:117], v[110:111], v[138:139]
	v_fma_f64 v[150:151], -v[75:76], v[112:113], v[93:94]
	v_fma_f64 v[93:94], v[114:115], v[110:111], v[136:137]
	global_load_dwordx4 v[73:76], v[152:153], off offset:1248
	v_fma_f64 v[136:137], v[53:54], v[110:111], v[140:141]
	v_fma_f64 v[110:111], v[55:56], v[110:111], v[142:143]
	;; [unrolled: 1-line block ×3, first 2 shown]
	v_fma_f64 v[116:117], -v[116:117], v[112:113], v[93:94]
	global_load_dwordx4 v[93:96], v[148:149], off offset:32
	v_fma_f64 v[156:157], -v[55:56], v[112:113], v[136:137]
	v_fma_f64 v[110:111], v[53:54], v[112:113], v[110:111]
	s_clause 0x2
	global_load_dwordx4 v[53:56], v[152:153], off offset:1136
	global_load_dwordx4 v[136:139], v[152:153], off offset:1200
	;; [unrolled: 1-line block ×3, first 2 shown]
	s_waitcnt vmcnt(10)
	v_fma_f64 v[112:113], v[13:14], v[41:42], v[144:145]
	v_fma_f64 v[144:145], v[15:16], v[41:42], v[146:147]
	;; [unrolled: 1-line block ×6, first 2 shown]
	v_fma_f64 v[112:113], -v[15:16], v[43:44], v[112:113]
	v_fma_f64 v[144:145], v[13:14], v[43:44], v[144:145]
	global_load_dwordx4 v[13:16], v[148:149], off offset:48
	v_fma_f64 v[148:149], v[67:68], v[41:42], v[154:155]
	v_fma_f64 v[41:42], v[19:20], v[41:42], v[110:111]
	v_fma_f64 v[67:68], -v[67:68], v[43:44], v[146:147]
	v_fma_f64 v[35:36], -v[35:36], v[43:44], v[116:117]
	v_fma_f64 v[33:34], v[33:34], v[43:44], v[114:115]
	v_fma_f64 v[19:20], -v[19:20], v[43:44], v[150:151]
	v_fma_f64 v[65:66], v[65:66], v[43:44], v[148:149]
	v_fma_f64 v[17:18], v[17:18], v[43:44], v[41:42]
	s_waitcnt vmcnt(9)
	v_fma_f64 v[41:42], v[61:62], v[132:133], v[112:113]
	v_fma_f64 v[43:44], v[63:64], v[132:133], v[144:145]
	v_fma_f64 v[67:68], v[49:50], v[132:133], v[67:68]
	v_fma_f64 v[35:36], v[21:22], v[132:133], v[35:36]
	v_fma_f64 v[33:34], v[23:24], v[132:133], v[33:34]
	v_fma_f64 v[19:20], v[57:58], v[132:133], v[19:20]
	v_fma_f64 v[65:66], v[51:52], v[132:133], v[65:66]
	v_fma_f64 v[17:18], v[59:60], v[132:133], v[17:18]
	v_fma_f64 v[41:42], -v[63:64], v[134:135], v[41:42]
	v_fma_f64 v[43:44], v[61:62], v[134:135], v[43:44]
	v_fma_f64 v[51:52], -v[51:52], v[134:135], v[67:68]
	v_fma_f64 v[23:24], -v[23:24], v[134:135], v[35:36]
	v_fma_f64 v[21:22], v[21:22], v[134:135], v[33:34]
	v_fma_f64 v[19:20], -v[59:60], v[134:135], v[19:20]
	v_fma_f64 v[49:50], v[49:50], v[134:135], v[65:66]
	v_fma_f64 v[17:18], v[57:58], v[134:135], v[17:18]
	s_waitcnt vmcnt(7)
	v_fma_f64 v[33:34], v[89:90], v[69:70], v[41:42]
	v_fma_f64 v[35:36], v[91:92], v[69:70], v[43:44]
	v_fma_f64 v[41:42], v[77:78], v[69:70], v[51:52]
	v_fma_f64 v[23:24], v[37:38], v[69:70], v[23:24]
	v_fma_f64 v[21:22], v[39:40], v[69:70], v[21:22]
	v_fma_f64 v[19:20], v[85:86], v[69:70], v[19:20]
	v_fma_f64 v[43:44], v[79:80], v[69:70], v[49:50]
	v_fma_f64 v[17:18], v[87:88], v[69:70], v[17:18]
	v_fma_f64 v[33:34], -v[91:92], v[71:72], v[33:34]
	;; [unrolled: 17-line block ×5, first 2 shown]
	v_fma_f64 v[110:111], v[128:129], v[15:16], v[25:26]
	v_fma_f64 v[120:121], -v[55:56], v[15:16], v[11:12]
	v_fma_f64 v[116:117], v[53:54], v[15:16], v[9:10]
	v_fma_f64 v[112:113], -v[138:139], v[15:16], v[23:24]
	;; [unrolled: 2-line block ×3, first 2 shown]
	v_fma_f64 v[106:107], v[140:141], v[15:16], v[13:14]
	s_andn2_b32 exec_lo, exec_lo, s9
	s_cbranch_execnz .LBB15_19
; %bb.20:
	s_or_b32 exec_lo, exec_lo, s9
.LBB15_21:
	s_or_b32 exec_lo, exec_lo, s8
.LBB15_22:
	s_or_b32 exec_lo, exec_lo, s3
	s_cbranch_execz .LBB15_24
	s_branch .LBB15_35
.LBB15_23:
                                        ; implicit-def: $vgpr110_vgpr111
                                        ; implicit-def: $vgpr118_vgpr119
                                        ; implicit-def: $vgpr108_vgpr109
                                        ; implicit-def: $vgpr106_vgpr107
                                        ; implicit-def: $vgpr112_vgpr113
                                        ; implicit-def: $vgpr114_vgpr115
                                        ; implicit-def: $vgpr120_vgpr121
                                        ; implicit-def: $vgpr116_vgpr117
.LBB15_24:
	v_mov_b32_e32 v110, 0
	v_mov_b32_e32 v118, 0
	v_mov_b32_e32 v108, 0
	v_mov_b32_e32 v106, 0
	v_mov_b32_e32 v112, 0
	v_mov_b32_e32 v114, 0
	v_mov_b32_e32 v120, 0
	v_mov_b32_e32 v116, 0
	v_mov_b32_e32 v111, 0
	v_mov_b32_e32 v119, 0
	v_mov_b32_e32 v109, 0
	v_mov_b32_e32 v107, 0
	v_mov_b32_e32 v113, 0
	v_mov_b32_e32 v115, 0
	v_mov_b32_e32 v121, 0
	v_mov_b32_e32 v117, 0
	s_and_saveexec_b32 s1, s0
	s_cbranch_execz .LBB15_34
; %bb.25:
	v_add_nc_u32_e32 v9, v127, v0
	v_not_b32_e32 v10, v127
	v_mov_b32_e32 v116, 0
	v_mov_b32_e32 v120, 0
	v_mov_b32_e32 v114, 0
	v_subrev_nc_u32_e32 v9, s2, v9
	v_mov_b32_e32 v112, 0
	v_mov_b32_e32 v106, 0
	;; [unrolled: 1-line block ×4, first 2 shown]
	v_add_nc_u32_e32 v9, 4, v9
	v_mov_b32_e32 v110, 0
	v_mov_b32_e32 v117, 0
	;; [unrolled: 1-line block ×4, first 2 shown]
	v_max_i32_e32 v9, v9, v126
	v_mov_b32_e32 v113, 0
	v_mov_b32_e32 v107, 0
	;; [unrolled: 1-line block ×4, first 2 shown]
	v_add3_u32 v9, s2, v9, v10
	v_mov_b32_e32 v111, 0
	s_mov_b32 s0, exec_lo
	v_sub_nc_u32_e32 v9, v9, v0
	v_and_b32_e32 v10, 12, v9
	v_cmpx_ne_u32_e32 12, v10
	s_cbranch_execz .LBB15_29
; %bb.26:
	v_lshrrev_b32_e32 v10, 2, v9
	v_mov_b32_e32 v110, 0
	v_mov_b32_e32 v118, 0
	;; [unrolled: 1-line block ×4, first 2 shown]
	v_add_nc_u32_e32 v10, 1, v10
	v_mov_b32_e32 v112, 0
	v_mov_b32_e32 v114, 0
	;; [unrolled: 1-line block ×4, first 2 shown]
	v_and_b32_e32 v10, 3, v10
	v_mov_b32_e32 v111, 0
	v_mov_b32_e32 v119, 0
	;; [unrolled: 1-line block ×8, first 2 shown]
	v_sub_nc_u32_e32 v10, 0, v10
	s_mov_b32 s3, 0
.LBB15_27:                              ; =>This Inner Loop Header: Depth=1
	v_ashrrev_i32_e32 v103, 31, v102
	v_add_co_u32 v10, s8, v10, 1
	s_or_b32 s3, s8, s3
	v_lshlrev_b64 v[11:12], 2, v[102:103]
	v_add_nc_u32_e32 v102, 4, v102
	v_add_co_u32 v11, vcc_lo, s12, v11
	v_add_co_ci_u32_e64 v12, null, s13, v12, vcc_lo
	global_load_dword v27, v[11:12], off
	s_clause 0x3
	global_load_dwordx4 v[11:14], v[104:105], off offset:48
	global_load_dwordx4 v[15:18], v[104:105], off offset:32
	;; [unrolled: 1-line block ×3, first 2 shown]
	global_load_dwordx4 v[23:26], v[104:105], off
	s_waitcnt vmcnt(4)
	v_subrev_nc_u32_e32 v27, s2, v27
	v_lshlrev_b32_e32 v27, 2, v27
	v_ashrrev_i32_e32 v28, 31, v27
	v_lshlrev_b64 v[27:28], 4, v[27:28]
	v_add_co_u32 v71, vcc_lo, s6, v27
	v_add_co_ci_u32_e64 v72, null, s7, v28, vcc_lo
	global_load_dwordx4 v[27:30], v[71:72], off
	s_clause 0x3
	global_load_dwordx4 v[31:34], v[104:105], off offset:112
	global_load_dwordx4 v[35:38], v[104:105], off offset:96
	;; [unrolled: 1-line block ×5, first 2 shown]
	s_clause 0x3
	global_load_dwordx4 v[51:54], v[104:105], off offset:176
	global_load_dwordx4 v[55:58], v[104:105], off offset:160
	;; [unrolled: 1-line block ×4, first 2 shown]
	s_clause 0x1
	global_load_dwordx4 v[67:70], v[71:72], off offset:32
	global_load_dwordx4 v[71:74], v[71:72], off offset:48
	s_clause 0x3
	global_load_dwordx4 v[75:78], v[104:105], off offset:192
	global_load_dwordx4 v[79:82], v[104:105], off offset:208
	;; [unrolled: 1-line block ×4, first 2 shown]
	v_add_co_u32 v104, vcc_lo, 0x400, v104
	v_add_co_ci_u32_e64 v105, null, 0, v105, vcc_lo
	s_waitcnt vmcnt(15)
	v_fma_f64 v[91:92], v[23:24], v[27:28], v[118:119]
	v_fma_f64 v[93:94], v[25:26], v[27:28], v[110:111]
	v_fma_f64 v[95:96], v[19:20], v[27:28], v[120:121]
	v_fma_f64 v[97:98], v[21:22], v[27:28], v[116:117]
	v_fma_f64 v[99:100], v[15:16], v[27:28], v[112:113]
	v_fma_f64 v[110:111], v[17:18], v[27:28], v[114:115]
	v_fma_f64 v[108:109], v[11:12], v[27:28], v[108:109]
	v_fma_f64 v[27:28], v[13:14], v[27:28], v[106:107]
	v_fma_f64 v[25:26], -v[25:26], v[29:30], v[91:92]
	v_fma_f64 v[23:24], v[23:24], v[29:30], v[93:94]
	v_fma_f64 v[21:22], -v[21:22], v[29:30], v[95:96]
	v_fma_f64 v[19:20], v[19:20], v[29:30], v[97:98]
	v_fma_f64 v[17:18], -v[17:18], v[29:30], v[99:100]
	v_fma_f64 v[15:16], v[15:16], v[29:30], v[110:111]
	v_fma_f64 v[13:14], -v[13:14], v[29:30], v[108:109]
	v_fma_f64 v[11:12], v[11:12], v[29:30], v[27:28]
	s_waitcnt vmcnt(10)
	v_fma_f64 v[25:26], v[43:44], v[47:48], v[25:26]
	v_fma_f64 v[23:24], v[45:46], v[47:48], v[23:24]
	v_fma_f64 v[21:22], v[39:40], v[47:48], v[21:22]
	v_fma_f64 v[19:20], v[41:42], v[47:48], v[19:20]
	v_fma_f64 v[17:18], v[35:36], v[47:48], v[17:18]
	v_fma_f64 v[15:16], v[37:38], v[47:48], v[15:16]
	v_fma_f64 v[13:14], v[31:32], v[47:48], v[13:14]
	v_fma_f64 v[11:12], v[33:34], v[47:48], v[11:12]
	v_fma_f64 v[25:26], -v[45:46], v[49:50], v[25:26]
	v_fma_f64 v[23:24], v[43:44], v[49:50], v[23:24]
	v_fma_f64 v[21:22], -v[41:42], v[49:50], v[21:22]
	v_fma_f64 v[19:20], v[39:40], v[49:50], v[19:20]
	v_fma_f64 v[17:18], -v[37:38], v[49:50], v[17:18]
	v_fma_f64 v[15:16], v[35:36], v[49:50], v[15:16]
	v_fma_f64 v[13:14], -v[33:34], v[49:50], v[13:14]
	v_fma_f64 v[11:12], v[31:32], v[49:50], v[11:12]
	;; [unrolled: 17-line block ×3, first 2 shown]
	s_waitcnt vmcnt(3)
	v_fma_f64 v[25:26], v[75:76], v[71:72], v[25:26]
	v_fma_f64 v[23:24], v[77:78], v[71:72], v[23:24]
	s_waitcnt vmcnt(2)
	v_fma_f64 v[21:22], v[79:80], v[71:72], v[21:22]
	v_fma_f64 v[19:20], v[81:82], v[71:72], v[19:20]
	;; [unrolled: 3-line block ×4, first 2 shown]
	v_fma_f64 v[118:119], -v[77:78], v[73:74], v[25:26]
	v_fma_f64 v[110:111], v[75:76], v[73:74], v[23:24]
	v_fma_f64 v[120:121], -v[81:82], v[73:74], v[21:22]
	v_fma_f64 v[116:117], v[79:80], v[73:74], v[19:20]
	v_fma_f64 v[112:113], -v[85:86], v[73:74], v[17:18]
	v_fma_f64 v[114:115], v[83:84], v[73:74], v[15:16]
	v_fma_f64 v[108:109], -v[89:90], v[73:74], v[13:14]
	v_fma_f64 v[106:107], v[87:88], v[73:74], v[11:12]
	s_andn2_b32 exec_lo, exec_lo, s3
	s_cbranch_execnz .LBB15_27
; %bb.28:
	s_or_b32 exec_lo, exec_lo, s3
.LBB15_29:
	s_or_b32 exec_lo, exec_lo, s0
	s_mov_b32 s3, exec_lo
	v_cmpx_lt_u32_e32 11, v9
	s_cbranch_execz .LBB15_33
; %bb.30:
	s_mov_b32 s8, 0
.LBB15_31:                              ; =>This Inner Loop Header: Depth=1
	v_ashrrev_i32_e32 v103, 31, v102
	s_clause 0x15
	global_load_dwordx4 v[9:12], v[104:105], off offset:48
	global_load_dwordx4 v[17:20], v[104:105], off offset:32
	;; [unrolled: 1-line block ×3, first 2 shown]
	global_load_dwordx4 v[45:48], v[104:105], off
	global_load_dwordx4 v[37:40], v[104:105], off offset:112
	global_load_dwordx4 v[53:56], v[104:105], off offset:96
	;; [unrolled: 1-line block ×18, first 2 shown]
	v_lshlrev_b64 v[97:98], 2, v[102:103]
	v_add_nc_u32_e32 v102, 16, v102
	v_add_co_u32 v97, vcc_lo, s12, v97
	v_add_co_ci_u32_e64 v98, null, s13, v98, vcc_lo
	s_clause 0x3
	global_load_dword v99, v[97:98], off
	global_load_dword v103, v[97:98], off offset:16
	global_load_dword v133, v[97:98], off offset:32
	;; [unrolled: 1-line block ×3, first 2 shown]
	s_waitcnt vmcnt(3)
	v_subrev_nc_u32_e32 v97, s2, v99
	v_lshlrev_b32_e32 v97, 2, v97
	v_ashrrev_i32_e32 v98, 31, v97
	v_lshlrev_b64 v[97:98], 4, v[97:98]
	v_add_co_u32 v127, vcc_lo, s6, v97
	v_add_co_ci_u32_e64 v128, null, s7, v98, vcc_lo
	s_clause 0x1
	global_load_dwordx4 v[97:100], v[127:128], off
	global_load_dwordx4 v[122:125], v[127:128], off offset:16
	s_waitcnt vmcnt(1)
	v_fma_f64 v[110:111], v[47:48], v[97:98], v[110:111]
	v_fma_f64 v[120:121], v[29:30], v[97:98], v[120:121]
	;; [unrolled: 1-line block ×9, first 2 shown]
	v_fma_f64 v[120:121], -v[31:32], v[99:100], v[120:121]
	v_fma_f64 v[118:119], -v[47:48], v[99:100], v[118:119]
	v_fma_f64 v[116:117], v[29:30], v[99:100], v[116:117]
	v_fma_f64 v[112:113], -v[19:20], v[99:100], v[112:113]
	v_fma_f64 v[114:115], v[17:18], v[99:100], v[114:115]
	;; [unrolled: 2-line block ×3, first 2 shown]
	s_clause 0x4
	global_load_dwordx4 v[45:48], v[104:105], off offset:1104
	global_load_dwordx4 v[29:32], v[104:105], off offset:1088
	global_load_dwordx4 v[17:20], v[104:105], off offset:1200
	global_load_dwordx4 v[9:12], v[104:105], off offset:1184
	global_load_dwordx4 v[97:100], v[104:105], off offset:1168
	s_waitcnt vmcnt(5)
	v_fma_f64 v[110:111], v[63:64], v[122:123], v[110:111]
	v_fma_f64 v[118:119], v[61:62], v[122:123], v[118:119]
	;; [unrolled: 1-line block ×7, first 2 shown]
	v_fma_f64 v[118:119], -v[63:64], v[124:125], v[118:119]
	global_load_dwordx4 v[61:64], v[104:105], off offset:1152
	v_fma_f64 v[116:117], v[57:58], v[124:125], v[116:117]
	v_fma_f64 v[120:121], -v[59:60], v[124:125], v[110:111]
	v_fma_f64 v[110:111], v[53:54], v[122:123], v[112:113]
	v_fma_f64 v[112:113], v[55:56], v[122:123], v[114:115]
	global_load_dwordx4 v[57:60], v[104:105], off offset:1264
	v_fma_f64 v[122:123], -v[39:40], v[124:125], v[106:107]
	v_fma_f64 v[114:115], -v[55:56], v[124:125], v[110:111]
	v_fma_f64 v[131:132], v[53:54], v[124:125], v[112:113]
	global_load_dwordx4 v[53:56], v[104:105], off offset:1248
	v_fma_f64 v[124:125], v[37:38], v[124:125], v[108:109]
	global_load_dwordx4 v[37:40], v[104:105], off offset:1232
	s_clause 0x1
	global_load_dwordx4 v[106:109], v[127:128], off offset:32
	global_load_dwordx4 v[110:113], v[127:128], off offset:48
	s_waitcnt vmcnt(1)
	v_fma_f64 v[120:121], v[49:50], v[106:107], v[120:121]
	v_fma_f64 v[116:117], v[51:52], v[106:107], v[116:117]
	;; [unrolled: 1-line block ×4, first 2 shown]
	v_add_co_u32 v129, vcc_lo, 0x800, v104
	v_add_co_ci_u32_e64 v130, null, 0, v105, vcc_lo
	v_fma_f64 v[120:121], -v[51:52], v[108:109], v[120:121]
	v_fma_f64 v[116:117], v[49:50], v[108:109], v[116:117]
	v_fma_f64 v[49:50], v[41:42], v[106:107], v[114:115]
	;; [unrolled: 1-line block ×3, first 2 shown]
	v_fma_f64 v[118:119], -v[67:68], v[108:109], v[118:119]
	v_fma_f64 v[127:128], v[65:66], v[108:109], v[127:128]
	global_load_dwordx4 v[65:68], v[104:105], off offset:1216
	s_waitcnt vmcnt(1)
	v_fma_f64 v[120:121], v[33:34], v[110:111], v[120:121]
	v_fma_f64 v[116:117], v[35:36], v[110:111], v[116:117]
	v_fma_f64 v[114:115], -v[43:44], v[108:109], v[49:50]
	v_fma_f64 v[131:132], v[41:42], v[108:109], v[51:52]
	v_fma_f64 v[49:50], v[25:26], v[106:107], v[122:123]
	;; [unrolled: 1-line block ×5, first 2 shown]
	global_load_dwordx4 v[41:44], v[129:130], off
	v_add_co_u32 v104, s0, 0x1000, v104
	v_add_co_ci_u32_e64 v105, null, 0, v105, s0
	v_fma_f64 v[120:121], -v[35:36], v[112:113], v[120:121]
	v_fma_f64 v[116:117], v[33:34], v[112:113], v[116:117]
	v_fma_f64 v[114:115], v[21:22], v[110:111], v[114:115]
	;; [unrolled: 1-line block ×3, first 2 shown]
	v_fma_f64 v[106:107], -v[27:28], v[108:109], v[49:50]
	v_fma_f64 v[108:109], v[25:26], v[108:109], v[51:52]
	v_subrev_nc_u32_e32 v49, s2, v103
	global_load_dwordx4 v[25:28], v[129:130], off offset:48
	v_fma_f64 v[118:119], -v[71:72], v[112:113], v[118:119]
	v_fma_f64 v[124:125], v[69:70], v[112:113], v[124:125]
	global_load_dwordx4 v[33:36], v[129:130], off offset:112
	v_lshlrev_b32_e32 v49, 2, v49
	v_subrev_nc_u32_e32 v103, s2, v133
	global_load_dwordx4 v[69:72], v[129:130], off offset:16
	v_ashrrev_i32_e32 v50, 31, v49
	v_lshlrev_b64 v[49:50], 4, v[49:50]
	v_fma_f64 v[114:115], -v[23:24], v[112:113], v[114:115]
	v_fma_f64 v[127:128], v[21:22], v[112:113], v[127:128]
	v_fma_f64 v[106:107], v[13:14], v[110:111], v[106:107]
	;; [unrolled: 1-line block ×3, first 2 shown]
	v_add_co_u32 v122, vcc_lo, s6, v49
	v_add_co_ci_u32_e64 v123, null, s7, v50, vcc_lo
	s_clause 0x1
	global_load_dwordx4 v[49:52], v[129:130], off offset:32
	global_load_dwordx4 v[21:24], v[129:130], off offset:96
	v_fma_f64 v[110:111], -v[15:16], v[112:113], v[106:107]
	v_fma_f64 v[112:113], v[13:14], v[112:113], v[108:109]
	s_clause 0x1
	global_load_dwordx4 v[13:16], v[122:123], off
	global_load_dwordx4 v[106:109], v[122:123], off offset:16
	s_waitcnt vmcnt(1)
	v_fma_f64 v[118:119], v[85:86], v[13:14], v[118:119]
	v_fma_f64 v[124:125], v[87:88], v[13:14], v[124:125]
	;; [unrolled: 1-line block ×8, first 2 shown]
	v_fma_f64 v[118:119], -v[87:88], v[15:16], v[118:119]
	v_fma_f64 v[124:125], v[85:86], v[15:16], v[124:125]
	v_fma_f64 v[120:121], -v[83:84], v[15:16], v[120:121]
	v_fma_f64 v[116:117], v[81:82], v[15:16], v[116:117]
	;; [unrolled: 2-line block ×4, first 2 shown]
	s_clause 0x4
	global_load_dwordx4 v[85:88], v[129:130], off offset:80
	global_load_dwordx4 v[81:84], v[129:130], off offset:64
	global_load_dwordx4 v[77:80], v[129:130], off offset:176
	global_load_dwordx4 v[13:16], v[129:130], off offset:160
	global_load_dwordx4 v[73:76], v[129:130], off offset:144
	s_waitcnt vmcnt(5)
	v_fma_f64 v[118:119], v[29:30], v[106:107], v[118:119]
	v_fma_f64 v[124:125], v[31:32], v[106:107], v[124:125]
	;; [unrolled: 1-line block ×8, first 2 shown]
	v_fma_f64 v[118:119], -v[31:32], v[108:109], v[118:119]
	v_fma_f64 v[124:125], v[29:30], v[108:109], v[124:125]
	global_load_dwordx4 v[29:32], v[129:130], off offset:128
	v_fma_f64 v[120:121], -v[47:48], v[108:109], v[120:121]
	v_fma_f64 v[116:117], v[45:46], v[108:109], v[116:117]
	global_load_dwordx4 v[45:48], v[129:130], off offset:240
	;; [unrolled: 3-line block ×3, first 2 shown]
	v_fma_f64 v[110:111], -v[91:92], v[108:109], v[110:111]
	v_fma_f64 v[112:113], v[89:90], v[108:109], v[106:107]
	s_clause 0x1
	global_load_dwordx4 v[89:92], v[122:123], off offset:32
	global_load_dwordx4 v[106:109], v[122:123], off offset:48
	s_waitcnt vmcnt(1)
	v_fma_f64 v[118:119], v[61:62], v[89:90], v[118:119]
	v_fma_f64 v[122:123], v[63:64], v[89:90], v[124:125]
	;; [unrolled: 1-line block ×8, first 2 shown]
	v_lshlrev_b32_e32 v127, 2, v103
	v_subrev_nc_u32_e32 v103, s2, v134
	v_ashrrev_i32_e32 v128, 31, v127
	v_lshlrev_b32_e32 v131, 2, v103
	v_lshlrev_b64 v[127:128], 4, v[127:128]
	v_ashrrev_i32_e32 v132, 31, v131
	v_fma_f64 v[118:119], -v[63:64], v[91:92], v[118:119]
	v_fma_f64 v[122:123], v[61:62], v[91:92], v[122:123]
	v_fma_f64 v[120:121], -v[99:100], v[91:92], v[120:121]
	v_fma_f64 v[116:117], v[97:98], v[91:92], v[116:117]
	;; [unrolled: 2-line block ×4, first 2 shown]
	v_add_co_u32 v127, vcc_lo, s6, v127
	v_add_co_ci_u32_e64 v128, null, s7, v128, vcc_lo
	s_clause 0x4
	global_load_dwordx4 v[61:64], v[129:130], off offset:208
	global_load_dwordx4 v[97:100], v[129:130], off offset:192
	;; [unrolled: 1-line block ×5, first 2 shown]
	s_waitcnt vmcnt(5)
	v_fma_f64 v[118:119], v[65:66], v[106:107], v[118:119]
	v_fma_f64 v[122:123], v[67:68], v[106:107], v[122:123]
	v_fma_f64 v[120:121], v[37:38], v[106:107], v[120:121]
	v_fma_f64 v[116:117], v[39:40], v[106:107], v[116:117]
	v_fma_f64 v[114:115], v[53:54], v[106:107], v[114:115]
	v_fma_f64 v[124:125], v[55:56], v[106:107], v[124:125]
	v_fma_f64 v[110:111], v[57:58], v[106:107], v[110:111]
	v_fma_f64 v[106:107], v[59:60], v[106:107], v[112:113]
	v_fma_f64 v[118:119], -v[67:68], v[108:109], v[118:119]
	v_fma_f64 v[122:123], v[65:66], v[108:109], v[122:123]
	global_load_dwordx4 v[65:68], v[129:130], off offset:1024
	v_fma_f64 v[120:121], -v[39:40], v[108:109], v[120:121]
	v_fma_f64 v[116:117], v[37:38], v[108:109], v[116:117]
	global_load_dwordx4 v[37:40], v[129:130], off offset:1136
	;; [unrolled: 3-line block ×3, first 2 shown]
	v_fma_f64 v[110:111], -v[59:60], v[108:109], v[110:111]
	v_fma_f64 v[112:113], v[57:58], v[108:109], v[106:107]
	s_clause 0x1
	global_load_dwordx4 v[57:60], v[127:128], off
	global_load_dwordx4 v[106:109], v[127:128], off offset:16
	s_waitcnt vmcnt(1)
	v_fma_f64 v[118:119], v[41:42], v[57:58], v[118:119]
	v_fma_f64 v[122:123], v[43:44], v[57:58], v[122:123]
	;; [unrolled: 1-line block ×8, first 2 shown]
	v_fma_f64 v[118:119], -v[43:44], v[59:60], v[118:119]
	v_fma_f64 v[122:123], v[41:42], v[59:60], v[122:123]
	v_fma_f64 v[120:121], -v[71:72], v[59:60], v[120:121]
	v_fma_f64 v[116:117], v[69:70], v[59:60], v[116:117]
	;; [unrolled: 2-line block ×4, first 2 shown]
	global_load_dwordx4 v[25:28], v[127:128], off offset:32
	v_lshlrev_b64 v[57:58], 4, v[131:132]
	s_clause 0x2
	global_load_dwordx4 v[41:44], v[129:130], off offset:1104
	global_load_dwordx4 v[69:72], v[129:130], off offset:1088
	;; [unrolled: 1-line block ×3, first 2 shown]
	v_add_co_u32 v131, vcc_lo, s6, v57
	v_add_co_ci_u32_e64 v132, null, s7, v58, vcc_lo
	global_load_dwordx4 v[57:60], v[129:130], off offset:1184
	v_cmp_ge_i32_e32 vcc_lo, v102, v126
	s_waitcnt vmcnt(5)
	v_fma_f64 v[118:119], v[81:82], v[106:107], v[118:119]
	v_fma_f64 v[122:123], v[83:84], v[106:107], v[122:123]
	;; [unrolled: 1-line block ×8, first 2 shown]
	s_or_b32 s8, vcc_lo, s8
	v_fma_f64 v[118:119], -v[83:84], v[108:109], v[118:119]
	v_fma_f64 v[122:123], v[81:82], v[108:109], v[122:123]
	global_load_dwordx4 v[81:84], v[127:128], off offset:48
	v_fma_f64 v[120:121], -v[87:88], v[108:109], v[120:121]
	v_fma_f64 v[116:117], v[85:86], v[108:109], v[116:117]
	global_load_dwordx4 v[85:88], v[131:132], off
	v_fma_f64 v[114:115], -v[23:24], v[108:109], v[114:115]
	v_fma_f64 v[124:125], v[21:22], v[108:109], v[124:125]
	global_load_dwordx4 v[21:24], v[129:130], off offset:1168
	v_fma_f64 v[127:128], -v[35:36], v[108:109], v[110:111]
	v_fma_f64 v[133:134], v[33:34], v[108:109], v[106:107]
	global_load_dwordx4 v[33:36], v[129:130], off offset:1152
	global_load_dwordx4 v[106:109], v[131:132], off offset:16
	s_waitcnt vmcnt(9)
	v_fma_f64 v[110:111], v[29:30], v[25:26], v[118:119]
	v_fma_f64 v[112:113], v[31:32], v[25:26], v[122:123]
	;; [unrolled: 1-line block ×5, first 2 shown]
	v_fma_f64 v[118:119], -v[31:32], v[27:28], v[110:111]
	v_fma_f64 v[122:123], v[29:30], v[27:28], v[112:113]
	v_fma_f64 v[110:111], v[73:74], v[25:26], v[120:121]
	;; [unrolled: 1-line block ×3, first 2 shown]
	global_load_dwordx4 v[29:32], v[129:130], off offset:1232
	v_fma_f64 v[25:26], v[79:80], v[25:26], v[133:134]
	v_fma_f64 v[114:115], -v[15:16], v[27:28], v[114:115]
	v_fma_f64 v[124:125], v[13:14], v[27:28], v[124:125]
	v_fma_f64 v[127:128], -v[79:80], v[27:28], v[127:128]
	s_waitcnt vmcnt(5)
	v_fma_f64 v[118:119], v[97:98], v[81:82], v[118:119]
	v_fma_f64 v[122:123], v[99:100], v[81:82], v[122:123]
	v_fma_f64 v[116:117], -v[75:76], v[27:28], v[110:111]
	v_fma_f64 v[120:121], v[73:74], v[27:28], v[112:113]
	s_clause 0x1
	global_load_dwordx4 v[73:76], v[131:132], off offset:48
	global_load_dwordx4 v[110:113], v[131:132], off offset:32
	;; [unrolled: 1-line block ×3, first 2 shown]
	v_fma_f64 v[131:132], v[77:78], v[27:28], v[25:26]
	s_clause 0x1
	global_load_dwordx4 v[25:28], v[129:130], off offset:1248
	global_load_dwordx4 v[77:80], v[129:130], off offset:1264
	v_fma_f64 v[114:115], v[93:94], v[81:82], v[114:115]
	v_fma_f64 v[124:125], v[95:96], v[81:82], v[124:125]
	;; [unrolled: 1-line block ×3, first 2 shown]
	v_fma_f64 v[99:100], -v[99:100], v[83:84], v[118:119]
	v_fma_f64 v[97:98], v[97:98], v[83:84], v[122:123]
	v_fma_f64 v[116:117], v[61:62], v[81:82], v[116:117]
	;; [unrolled: 1-line block ×4, first 2 shown]
	v_fma_f64 v[95:96], -v[95:96], v[83:84], v[114:115]
	v_fma_f64 v[93:94], v[93:94], v[83:84], v[124:125]
	v_fma_f64 v[47:48], -v[47:48], v[83:84], v[127:128]
	v_fma_f64 v[63:64], -v[63:64], v[83:84], v[116:117]
	v_fma_f64 v[61:62], v[61:62], v[83:84], v[120:121]
	v_fma_f64 v[45:46], v[45:46], v[83:84], v[81:82]
	s_waitcnt vmcnt(9)
	v_fma_f64 v[81:82], v[65:66], v[85:86], v[99:100]
	v_fma_f64 v[83:84], v[67:68], v[85:86], v[97:98]
	v_fma_f64 v[95:96], v[17:18], v[85:86], v[95:96]
	v_fma_f64 v[93:94], v[19:20], v[85:86], v[93:94]
	v_fma_f64 v[47:48], v[9:10], v[85:86], v[47:48]
	v_fma_f64 v[63:64], v[89:90], v[85:86], v[63:64]
	v_fma_f64 v[61:62], v[91:92], v[85:86], v[61:62]
	v_fma_f64 v[45:46], v[11:12], v[85:86], v[45:46]
	v_fma_f64 v[67:68], -v[67:68], v[87:88], v[81:82]
	v_fma_f64 v[65:66], v[65:66], v[87:88], v[83:84]
	v_fma_f64 v[19:20], -v[19:20], v[87:88], v[95:96]
	v_fma_f64 v[17:18], v[17:18], v[87:88], v[93:94]
	v_fma_f64 v[11:12], -v[11:12], v[87:88], v[47:48]
	v_fma_f64 v[63:64], -v[91:92], v[87:88], v[63:64]
	v_fma_f64 v[61:62], v[89:90], v[87:88], v[61:62]
	v_fma_f64 v[9:10], v[9:10], v[87:88], v[45:46]
	s_waitcnt vmcnt(6)
	v_fma_f64 v[45:46], v[69:70], v[106:107], v[67:68]
	v_fma_f64 v[47:48], v[71:72], v[106:107], v[65:66]
	v_fma_f64 v[19:20], v[53:54], v[106:107], v[19:20]
	v_fma_f64 v[17:18], v[55:56], v[106:107], v[17:18]
	v_fma_f64 v[11:12], v[37:38], v[106:107], v[11:12]
	v_fma_f64 v[63:64], v[41:42], v[106:107], v[63:64]
	v_fma_f64 v[61:62], v[43:44], v[106:107], v[61:62]
	v_fma_f64 v[9:10], v[39:40], v[106:107], v[9:10]
	v_fma_f64 v[45:46], -v[71:72], v[108:109], v[45:46]
	v_fma_f64 v[47:48], v[69:70], v[108:109], v[47:48]
	;; [unrolled: 17-line block ×3, first 2 shown]
	v_fma_f64 v[23:24], -v[23:24], v[112:113], v[43:44]
	v_fma_f64 v[21:22], v[21:22], v[112:113], v[41:42]
	v_fma_f64 v[19:20], -v[59:60], v[112:113], v[19:20]
	v_fma_f64 v[17:18], v[57:58], v[112:113], v[17:18]
	;; [unrolled: 2-line block ×3, first 2 shown]
	s_waitcnt vmcnt(2)
	v_fma_f64 v[35:36], v[13:14], v[73:74], v[35:36]
	v_fma_f64 v[33:34], v[15:16], v[73:74], v[33:34]
	;; [unrolled: 1-line block ×4, first 2 shown]
	s_waitcnt vmcnt(1)
	v_fma_f64 v[19:20], v[25:26], v[73:74], v[19:20]
	v_fma_f64 v[17:18], v[27:28], v[73:74], v[17:18]
	s_waitcnt vmcnt(0)
	v_fma_f64 v[11:12], v[77:78], v[73:74], v[11:12]
	v_fma_f64 v[9:10], v[79:80], v[73:74], v[9:10]
	v_fma_f64 v[118:119], -v[15:16], v[75:76], v[35:36]
	v_fma_f64 v[110:111], v[13:14], v[75:76], v[33:34]
	v_fma_f64 v[120:121], -v[31:32], v[75:76], v[23:24]
	;; [unrolled: 2-line block ×4, first 2 shown]
	v_fma_f64 v[106:107], v[77:78], v[75:76], v[9:10]
	s_andn2_b32 exec_lo, exec_lo, s8
	s_cbranch_execnz .LBB15_31
; %bb.32:
	s_or_b32 exec_lo, exec_lo, s8
.LBB15_33:
	s_or_b32 exec_lo, exec_lo, s3
.LBB15_34:
	s_or_b32 exec_lo, exec_lo, s1
.LBB15_35:
	v_mbcnt_lo_u32_b32 v29, -1, 0
	v_xor_b32_e32 v9, 2, v29
	v_xor_b32_e32 v30, 1, v29
	v_cmp_gt_i32_e32 vcc_lo, 32, v9
	v_cndmask_b32_e32 v9, v29, v9, vcc_lo
	v_cmp_gt_i32_e32 vcc_lo, 32, v30
	v_lshlrev_b32_e32 v23, 2, v9
	v_cndmask_b32_e32 v29, v29, v30, vcc_lo
	v_cmp_eq_u32_e32 vcc_lo, 3, v0
	ds_bpermute_b32 v9, v23, v118
	ds_bpermute_b32 v10, v23, v119
	ds_bpermute_b32 v11, v23, v110
	ds_bpermute_b32 v12, v23, v111
	ds_bpermute_b32 v13, v23, v120
	ds_bpermute_b32 v14, v23, v121
	ds_bpermute_b32 v15, v23, v116
	ds_bpermute_b32 v16, v23, v117
	ds_bpermute_b32 v17, v23, v112
	ds_bpermute_b32 v18, v23, v113
	ds_bpermute_b32 v19, v23, v114
	ds_bpermute_b32 v20, v23, v115
	ds_bpermute_b32 v21, v23, v108
	ds_bpermute_b32 v22, v23, v109
	ds_bpermute_b32 v25, v23, v106
	ds_bpermute_b32 v26, v23, v107
	v_lshlrev_b32_e32 v34, 2, v29
	s_waitcnt lgkmcnt(14)
	v_add_f64 v[9:10], v[118:119], v[9:10]
	s_waitcnt lgkmcnt(12)
	v_add_f64 v[27:28], v[110:111], v[11:12]
	;; [unrolled: 2-line block ×8, first 2 shown]
	ds_bpermute_b32 v21, v34, v9
	ds_bpermute_b32 v22, v34, v10
	;; [unrolled: 1-line block ×16, first 2 shown]
	s_and_b32 exec_lo, exec_lo, vcc_lo
	s_cbranch_execz .LBB15_8
; %bb.36:
	s_waitcnt lgkmcnt(12)
	v_add_f64 v[27:28], v[27:28], v[39:40]
	s_waitcnt lgkmcnt(8)
	v_add_f64 v[23:24], v[23:24], v[37:38]
	;; [unrolled: 2-line block ×4, first 2 shown]
	v_add_f64 v[9:10], v[9:10], v[21:22]
	v_add_f64 v[11:12], v[11:12], v[25:26]
	;; [unrolled: 1-line block ×4, first 2 shown]
	v_cmp_eq_f64_e32 vcc_lo, 0, v[1:2]
	v_cmp_eq_f64_e64 s0, 0, v[3:4]
	s_load_dwordx2 s[2:3], s[4:5], 0x60
	v_mul_f64 v[13:14], v[27:28], -v[7:8]
	v_mul_f64 v[15:16], v[5:6], v[27:28]
	v_mul_f64 v[27:28], v[23:24], -v[7:8]
	v_mul_f64 v[23:24], v[5:6], v[23:24]
	;; [unrolled: 2-line block ×4, first 2 shown]
	s_and_b32 s0, vcc_lo, s0
	v_fma_f64 v[17:18], v[5:6], v[9:10], v[13:14]
	v_fma_f64 v[19:20], v[7:8], v[9:10], v[15:16]
	;; [unrolled: 1-line block ×8, first 2 shown]
	v_lshlrev_b32_e32 v21, 2, v101
	s_and_saveexec_b32 s1, s0
	s_xor_b32 s0, exec_lo, s1
	s_cbranch_execz .LBB15_38
; %bb.37:
	v_ashrrev_i32_e32 v22, 31, v21
	v_lshlrev_b64 v[0:1], 4, v[21:22]
                                        ; implicit-def: $vgpr21
	s_waitcnt lgkmcnt(0)
	v_add_co_u32 v0, vcc_lo, s2, v0
	v_add_co_ci_u32_e64 v1, null, s3, v1, vcc_lo
	global_store_dwordx4 v[0:1], v[17:20], off
	global_store_dwordx4 v[0:1], v[13:16], off offset:16
	global_store_dwordx4 v[0:1], v[9:12], off offset:32
	;; [unrolled: 1-line block ×3, first 2 shown]
                                        ; implicit-def: $vgpr3_vgpr4
                                        ; implicit-def: $vgpr17_vgpr18
                                        ; implicit-def: $vgpr13_vgpr14
                                        ; implicit-def: $vgpr9_vgpr10
                                        ; implicit-def: $vgpr5_vgpr6
.LBB15_38:
	s_andn2_saveexec_b32 s0, s0
	s_cbranch_execz .LBB15_8
; %bb.39:
	v_ashrrev_i32_e32 v22, 31, v21
	v_lshlrev_b64 v[21:22], 4, v[21:22]
	s_waitcnt lgkmcnt(0)
	v_add_co_u32 v37, vcc_lo, s2, v21
	v_add_co_ci_u32_e64 v38, null, s3, v22, vcc_lo
	s_clause 0x3
	global_load_dwordx4 v[21:24], v[37:38], off
	global_load_dwordx4 v[25:28], v[37:38], off offset:16
	global_load_dwordx4 v[29:32], v[37:38], off offset:32
	;; [unrolled: 1-line block ×3, first 2 shown]
	s_waitcnt vmcnt(3)
	v_fma_f64 v[17:18], v[1:2], v[21:22], v[17:18]
	v_fma_f64 v[19:20], v[3:4], v[21:22], v[19:20]
	s_waitcnt vmcnt(2)
	v_fma_f64 v[13:14], v[1:2], v[25:26], v[13:14]
	v_fma_f64 v[15:16], v[3:4], v[25:26], v[15:16]
	;; [unrolled: 3-line block ×4, first 2 shown]
	v_fma_f64 v[5:6], -v[3:4], v[23:24], v[17:18]
	v_fma_f64 v[7:8], v[1:2], v[23:24], v[19:20]
	v_fma_f64 v[9:10], -v[3:4], v[27:28], v[13:14]
	v_fma_f64 v[11:12], v[1:2], v[27:28], v[15:16]
	;; [unrolled: 2-line block ×4, first 2 shown]
	global_store_dwordx4 v[37:38], v[5:8], off
	global_store_dwordx4 v[37:38], v[9:12], off offset:16
	global_store_dwordx4 v[37:38], v[13:16], off offset:32
	;; [unrolled: 1-line block ×3, first 2 shown]
	s_endpgm
	.section	.rodata,"a",@progbits
	.p2align	6, 0x0
	.amdhsa_kernel _ZN9rocsparseL18bsrxmvn_4x4_kernelILj128ELj4E21rocsparse_complex_numIdEiiS2_S2_S2_EEvT3_20rocsparse_direction_NS_24const_host_device_scalarIT1_EES3_PKS3_PKT2_SC_S9_PKT4_PKT5_S7_PT6_21rocsparse_index_base_b
		.amdhsa_group_segment_fixed_size 0
		.amdhsa_private_segment_fixed_size 0
		.amdhsa_kernarg_size 112
		.amdhsa_user_sgpr_count 6
		.amdhsa_user_sgpr_private_segment_buffer 1
		.amdhsa_user_sgpr_dispatch_ptr 0
		.amdhsa_user_sgpr_queue_ptr 0
		.amdhsa_user_sgpr_kernarg_segment_ptr 1
		.amdhsa_user_sgpr_dispatch_id 0
		.amdhsa_user_sgpr_flat_scratch_init 0
		.amdhsa_user_sgpr_private_segment_size 0
		.amdhsa_wavefront_size32 1
		.amdhsa_uses_dynamic_stack 0
		.amdhsa_system_sgpr_private_segment_wavefront_offset 0
		.amdhsa_system_sgpr_workgroup_id_x 1
		.amdhsa_system_sgpr_workgroup_id_y 0
		.amdhsa_system_sgpr_workgroup_id_z 0
		.amdhsa_system_sgpr_workgroup_info 0
		.amdhsa_system_vgpr_workitem_id 0
		.amdhsa_next_free_vgpr 158
		.amdhsa_next_free_sgpr 16
		.amdhsa_reserve_vcc 1
		.amdhsa_reserve_flat_scratch 0
		.amdhsa_float_round_mode_32 0
		.amdhsa_float_round_mode_16_64 0
		.amdhsa_float_denorm_mode_32 3
		.amdhsa_float_denorm_mode_16_64 3
		.amdhsa_dx10_clamp 1
		.amdhsa_ieee_mode 1
		.amdhsa_fp16_overflow 0
		.amdhsa_workgroup_processor_mode 1
		.amdhsa_memory_ordered 1
		.amdhsa_forward_progress 1
		.amdhsa_shared_vgpr_count 0
		.amdhsa_exception_fp_ieee_invalid_op 0
		.amdhsa_exception_fp_denorm_src 0
		.amdhsa_exception_fp_ieee_div_zero 0
		.amdhsa_exception_fp_ieee_overflow 0
		.amdhsa_exception_fp_ieee_underflow 0
		.amdhsa_exception_fp_ieee_inexact 0
		.amdhsa_exception_int_div_zero 0
	.end_amdhsa_kernel
	.section	.text._ZN9rocsparseL18bsrxmvn_4x4_kernelILj128ELj4E21rocsparse_complex_numIdEiiS2_S2_S2_EEvT3_20rocsparse_direction_NS_24const_host_device_scalarIT1_EES3_PKS3_PKT2_SC_S9_PKT4_PKT5_S7_PT6_21rocsparse_index_base_b,"axG",@progbits,_ZN9rocsparseL18bsrxmvn_4x4_kernelILj128ELj4E21rocsparse_complex_numIdEiiS2_S2_S2_EEvT3_20rocsparse_direction_NS_24const_host_device_scalarIT1_EES3_PKS3_PKT2_SC_S9_PKT4_PKT5_S7_PT6_21rocsparse_index_base_b,comdat
.Lfunc_end15:
	.size	_ZN9rocsparseL18bsrxmvn_4x4_kernelILj128ELj4E21rocsparse_complex_numIdEiiS2_S2_S2_EEvT3_20rocsparse_direction_NS_24const_host_device_scalarIT1_EES3_PKS3_PKT2_SC_S9_PKT4_PKT5_S7_PT6_21rocsparse_index_base_b, .Lfunc_end15-_ZN9rocsparseL18bsrxmvn_4x4_kernelILj128ELj4E21rocsparse_complex_numIdEiiS2_S2_S2_EEvT3_20rocsparse_direction_NS_24const_host_device_scalarIT1_EES3_PKS3_PKT2_SC_S9_PKT4_PKT5_S7_PT6_21rocsparse_index_base_b
                                        ; -- End function
	.set _ZN9rocsparseL18bsrxmvn_4x4_kernelILj128ELj4E21rocsparse_complex_numIdEiiS2_S2_S2_EEvT3_20rocsparse_direction_NS_24const_host_device_scalarIT1_EES3_PKS3_PKT2_SC_S9_PKT4_PKT5_S7_PT6_21rocsparse_index_base_b.num_vgpr, 158
	.set _ZN9rocsparseL18bsrxmvn_4x4_kernelILj128ELj4E21rocsparse_complex_numIdEiiS2_S2_S2_EEvT3_20rocsparse_direction_NS_24const_host_device_scalarIT1_EES3_PKS3_PKT2_SC_S9_PKT4_PKT5_S7_PT6_21rocsparse_index_base_b.num_agpr, 0
	.set _ZN9rocsparseL18bsrxmvn_4x4_kernelILj128ELj4E21rocsparse_complex_numIdEiiS2_S2_S2_EEvT3_20rocsparse_direction_NS_24const_host_device_scalarIT1_EES3_PKS3_PKT2_SC_S9_PKT4_PKT5_S7_PT6_21rocsparse_index_base_b.numbered_sgpr, 16
	.set _ZN9rocsparseL18bsrxmvn_4x4_kernelILj128ELj4E21rocsparse_complex_numIdEiiS2_S2_S2_EEvT3_20rocsparse_direction_NS_24const_host_device_scalarIT1_EES3_PKS3_PKT2_SC_S9_PKT4_PKT5_S7_PT6_21rocsparse_index_base_b.num_named_barrier, 0
	.set _ZN9rocsparseL18bsrxmvn_4x4_kernelILj128ELj4E21rocsparse_complex_numIdEiiS2_S2_S2_EEvT3_20rocsparse_direction_NS_24const_host_device_scalarIT1_EES3_PKS3_PKT2_SC_S9_PKT4_PKT5_S7_PT6_21rocsparse_index_base_b.private_seg_size, 0
	.set _ZN9rocsparseL18bsrxmvn_4x4_kernelILj128ELj4E21rocsparse_complex_numIdEiiS2_S2_S2_EEvT3_20rocsparse_direction_NS_24const_host_device_scalarIT1_EES3_PKS3_PKT2_SC_S9_PKT4_PKT5_S7_PT6_21rocsparse_index_base_b.uses_vcc, 1
	.set _ZN9rocsparseL18bsrxmvn_4x4_kernelILj128ELj4E21rocsparse_complex_numIdEiiS2_S2_S2_EEvT3_20rocsparse_direction_NS_24const_host_device_scalarIT1_EES3_PKS3_PKT2_SC_S9_PKT4_PKT5_S7_PT6_21rocsparse_index_base_b.uses_flat_scratch, 0
	.set _ZN9rocsparseL18bsrxmvn_4x4_kernelILj128ELj4E21rocsparse_complex_numIdEiiS2_S2_S2_EEvT3_20rocsparse_direction_NS_24const_host_device_scalarIT1_EES3_PKS3_PKT2_SC_S9_PKT4_PKT5_S7_PT6_21rocsparse_index_base_b.has_dyn_sized_stack, 0
	.set _ZN9rocsparseL18bsrxmvn_4x4_kernelILj128ELj4E21rocsparse_complex_numIdEiiS2_S2_S2_EEvT3_20rocsparse_direction_NS_24const_host_device_scalarIT1_EES3_PKS3_PKT2_SC_S9_PKT4_PKT5_S7_PT6_21rocsparse_index_base_b.has_recursion, 0
	.set _ZN9rocsparseL18bsrxmvn_4x4_kernelILj128ELj4E21rocsparse_complex_numIdEiiS2_S2_S2_EEvT3_20rocsparse_direction_NS_24const_host_device_scalarIT1_EES3_PKS3_PKT2_SC_S9_PKT4_PKT5_S7_PT6_21rocsparse_index_base_b.has_indirect_call, 0
	.section	.AMDGPU.csdata,"",@progbits
; Kernel info:
; codeLenInByte = 9972
; TotalNumSgprs: 18
; NumVgprs: 158
; ScratchSize: 0
; MemoryBound: 1
; FloatMode: 240
; IeeeMode: 1
; LDSByteSize: 0 bytes/workgroup (compile time only)
; SGPRBlocks: 0
; VGPRBlocks: 19
; NumSGPRsForWavesPerEU: 18
; NumVGPRsForWavesPerEU: 158
; Occupancy: 6
; WaveLimiterHint : 1
; COMPUTE_PGM_RSRC2:SCRATCH_EN: 0
; COMPUTE_PGM_RSRC2:USER_SGPR: 6
; COMPUTE_PGM_RSRC2:TRAP_HANDLER: 0
; COMPUTE_PGM_RSRC2:TGID_X_EN: 1
; COMPUTE_PGM_RSRC2:TGID_Y_EN: 0
; COMPUTE_PGM_RSRC2:TGID_Z_EN: 0
; COMPUTE_PGM_RSRC2:TIDIG_COMP_CNT: 0
	.section	.text._ZN9rocsparseL18bsrxmvn_4x4_kernelILj128ELj8E21rocsparse_complex_numIdEiiS2_S2_S2_EEvT3_20rocsparse_direction_NS_24const_host_device_scalarIT1_EES3_PKS3_PKT2_SC_S9_PKT4_PKT5_S7_PT6_21rocsparse_index_base_b,"axG",@progbits,_ZN9rocsparseL18bsrxmvn_4x4_kernelILj128ELj8E21rocsparse_complex_numIdEiiS2_S2_S2_EEvT3_20rocsparse_direction_NS_24const_host_device_scalarIT1_EES3_PKS3_PKT2_SC_S9_PKT4_PKT5_S7_PT6_21rocsparse_index_base_b,comdat
	.globl	_ZN9rocsparseL18bsrxmvn_4x4_kernelILj128ELj8E21rocsparse_complex_numIdEiiS2_S2_S2_EEvT3_20rocsparse_direction_NS_24const_host_device_scalarIT1_EES3_PKS3_PKT2_SC_S9_PKT4_PKT5_S7_PT6_21rocsparse_index_base_b ; -- Begin function _ZN9rocsparseL18bsrxmvn_4x4_kernelILj128ELj8E21rocsparse_complex_numIdEiiS2_S2_S2_EEvT3_20rocsparse_direction_NS_24const_host_device_scalarIT1_EES3_PKS3_PKT2_SC_S9_PKT4_PKT5_S7_PT6_21rocsparse_index_base_b
	.p2align	8
	.type	_ZN9rocsparseL18bsrxmvn_4x4_kernelILj128ELj8E21rocsparse_complex_numIdEiiS2_S2_S2_EEvT3_20rocsparse_direction_NS_24const_host_device_scalarIT1_EES3_PKS3_PKT2_SC_S9_PKT4_PKT5_S7_PT6_21rocsparse_index_base_b,@function
_ZN9rocsparseL18bsrxmvn_4x4_kernelILj128ELj8E21rocsparse_complex_numIdEiiS2_S2_S2_EEvT3_20rocsparse_direction_NS_24const_host_device_scalarIT1_EES3_PKS3_PKT2_SC_S9_PKT4_PKT5_S7_PT6_21rocsparse_index_base_b: ; @_ZN9rocsparseL18bsrxmvn_4x4_kernelILj128ELj8E21rocsparse_complex_numIdEiiS2_S2_S2_EEvT3_20rocsparse_direction_NS_24const_host_device_scalarIT1_EES3_PKS3_PKT2_SC_S9_PKT4_PKT5_S7_PT6_21rocsparse_index_base_b
; %bb.0:
	s_clause 0x1
	s_load_dwordx2 s[2:3], s[4:5], 0x68
	s_load_dwordx2 s[0:1], s[4:5], 0x8
	s_add_u32 s7, s4, 8
	s_addc_u32 s10, s5, 0
	s_add_u32 s11, s4, 0x50
	s_addc_u32 s12, s5, 0
	s_load_dwordx2 s[8:9], s[4:5], 0x50
	s_waitcnt lgkmcnt(0)
	s_bitcmp1_b32 s3, 0
	s_cselect_b32 s0, s7, s0
	s_cselect_b32 s1, s10, s1
	v_mov_b32_e32 v1, s0
	v_mov_b32_e32 v2, s1
	s_cselect_b32 s0, s11, s8
	s_cselect_b32 s1, s12, s9
	flat_load_dwordx4 v[5:8], v[1:2]
	v_mov_b32_e32 v1, s0
	v_mov_b32_e32 v2, s1
	flat_load_dwordx4 v[1:4], v[1:2]
	s_waitcnt vmcnt(1) lgkmcnt(1)
	v_cmp_eq_f64_e32 vcc_lo, 0, v[5:6]
	v_cmp_eq_f64_e64 s0, 0, v[7:8]
	s_and_b32 s3, vcc_lo, s0
	s_mov_b32 s0, -1
	s_and_saveexec_b32 s1, s3
	s_cbranch_execz .LBB16_2
; %bb.1:
	s_waitcnt vmcnt(0) lgkmcnt(0)
	v_cmp_neq_f64_e32 vcc_lo, 1.0, v[1:2]
	v_cmp_neq_f64_e64 s0, 0, v[3:4]
	s_or_b32 s0, vcc_lo, s0
	s_orn2_b32 s0, s0, exec_lo
.LBB16_2:
	s_or_b32 exec_lo, exec_lo, s1
	s_and_saveexec_b32 s1, s0
	s_cbranch_execz .LBB16_8
; %bb.3:
	s_clause 0x1
	s_load_dwordx2 s[8:9], s[4:5], 0x20
	s_load_dwordx2 s[0:1], s[4:5], 0x0
	v_lshrrev_b32_e32 v9, 3, v0
	v_lshl_or_b32 v93, s6, 4, v9
	s_waitcnt lgkmcnt(0)
	s_cmp_lg_u64 s[8:9], 0
	s_cbranch_scc0 .LBB16_9
; %bb.4:
	s_load_dword s3, s[4:5], 0x18
	s_mov_b32 s6, 0
                                        ; implicit-def: $vgpr9
	s_waitcnt lgkmcnt(0)
	v_cmp_gt_i32_e32 vcc_lo, s3, v93
	s_mov_b32 s3, 0
	s_and_saveexec_b32 s7, vcc_lo
	s_xor_b32 s7, exec_lo, s7
	s_cbranch_execz .LBB16_6
; %bb.5:
	v_ashrrev_i32_e32 v94, 31, v93
	s_mov_b32 s3, exec_lo
	v_lshlrev_b64 v[9:10], 2, v[93:94]
	v_add_co_u32 v9, vcc_lo, s8, v9
	v_add_co_ci_u32_e64 v10, null, s9, v10, vcc_lo
	global_load_dword v9, v[9:10], off
	s_waitcnt vmcnt(0)
	v_subrev_nc_u32_e32 v9, s2, v9
.LBB16_6:
	s_or_b32 exec_lo, exec_lo, s7
	s_and_b32 vcc_lo, exec_lo, s6
	s_cbranch_vccz .LBB16_10
.LBB16_7:
	v_cmp_gt_i32_e32 vcc_lo, s0, v93
	s_andn2_b32 s0, s3, exec_lo
	s_and_b32 s3, vcc_lo, exec_lo
	s_or_b32 s3, s0, s3
	s_and_b32 exec_lo, exec_lo, s3
	s_cbranch_execnz .LBB16_11
.LBB16_8:
	s_endpgm
.LBB16_9:
	s_mov_b32 s3, 0
                                        ; implicit-def: $vgpr9
	s_cbranch_execnz .LBB16_7
.LBB16_10:
	v_mov_b32_e32 v93, v9
	s_and_b32 exec_lo, exec_lo, s3
	s_cbranch_execz .LBB16_8
.LBB16_11:
	s_load_dwordx8 s[8:15], s[4:5], 0x28
	v_ashrrev_i32_e32 v94, 31, v93
	v_and_b32_e32 v0, 7, v0
	s_load_dwordx2 s[6:7], s[4:5], 0x48
	v_lshlrev_b64 v[9:10], 2, v[93:94]
	s_waitcnt lgkmcnt(0)
	v_add_co_u32 v11, vcc_lo, s8, v9
	v_add_co_ci_u32_e64 v12, null, s9, v10, vcc_lo
	v_add_co_u32 v9, vcc_lo, s10, v9
	v_add_co_ci_u32_e64 v10, null, s11, v10, vcc_lo
	global_load_dword v125, v[11:12], off
	v_add_co_u32 v11, vcc_lo, v11, 4
	v_add_co_ci_u32_e64 v12, null, 0, v12, vcc_lo
	s_cmp_eq_u64 s[10:11], 0
	s_cselect_b32 vcc_lo, -1, 0
	s_cmp_eq_u32 s1, 1
	v_cndmask_b32_e32 v10, v10, v12, vcc_lo
	v_cndmask_b32_e32 v9, v9, v11, vcc_lo
	global_load_dword v11, v[9:10], off
	s_waitcnt vmcnt(1)
	v_subrev_nc_u32_e32 v9, s2, v125
	v_add_nc_u32_e32 v94, v9, v0
	v_ashrrev_i32_e32 v95, 31, v94
	s_waitcnt vmcnt(0)
	v_subrev_nc_u32_e32 v124, s2, v11
	v_lshlrev_b64 v[9:10], 8, v[94:95]
	v_cmp_lt_i32_e64 s0, v94, v124
	v_add_co_u32 v96, vcc_lo, s14, v9
	v_add_co_ci_u32_e64 v97, null, s15, v10, vcc_lo
	s_cbranch_scc1 .LBB16_23
; %bb.12:
	v_mov_b32_e32 v102, 0
	v_mov_b32_e32 v110, 0
	;; [unrolled: 1-line block ×16, first 2 shown]
	s_and_saveexec_b32 s3, s0
	s_cbranch_execz .LBB16_22
; %bb.13:
	v_add_nc_u32_e32 v9, v125, v0
	v_not_b32_e32 v10, v125
	v_mov_b32_e32 v106, 0
	v_mov_b32_e32 v112, 0
	;; [unrolled: 1-line block ×3, first 2 shown]
	v_subrev_nc_u32_e32 v9, s2, v9
	v_mov_b32_e32 v104, 0
	v_mov_b32_e32 v98, 0
	;; [unrolled: 1-line block ×4, first 2 shown]
	v_add_nc_u32_e32 v9, 8, v9
	v_mov_b32_e32 v102, 0
	v_mov_b32_e32 v117, v97
	;; [unrolled: 1-line block ×4, first 2 shown]
	v_max_i32_e32 v9, v9, v124
	v_mov_b32_e32 v109, 0
	v_mov_b32_e32 v105, 0
	;; [unrolled: 1-line block ×4, first 2 shown]
	v_add3_u32 v9, s2, v9, v10
	v_mov_b32_e32 v111, 0
	v_mov_b32_e32 v103, 0
	;; [unrolled: 1-line block ×4, first 2 shown]
	v_sub_nc_u32_e32 v9, v9, v0
	s_mov_b32 s1, exec_lo
	v_and_b32_e32 v10, 24, v9
	v_cmpx_ne_u32_e32 24, v10
	s_cbranch_execz .LBB16_17
; %bb.14:
	v_lshrrev_b32_e32 v10, 3, v9
	v_mov_b32_e32 v102, 0
	v_mov_b32_e32 v110, 0
	;; [unrolled: 1-line block ×4, first 2 shown]
	v_add_nc_u32_e32 v10, 1, v10
	v_mov_b32_e32 v104, 0
	v_mov_b32_e32 v108, 0
	;; [unrolled: 1-line block ×4, first 2 shown]
	v_and_b32_e32 v10, 3, v10
	v_mov_b32_e32 v117, v97
	v_mov_b32_e32 v103, 0
	;; [unrolled: 1-line block ×10, first 2 shown]
	v_sub_nc_u32_e32 v10, 0, v10
	v_mov_b32_e32 v116, v96
	s_mov_b32 s8, 0
.LBB16_15:                              ; =>This Inner Loop Header: Depth=1
	v_ashrrev_i32_e32 v115, 31, v114
	v_add_co_u32 v10, s9, v10, 1
	s_or_b32 s8, s9, s8
	v_lshlrev_b64 v[11:12], 2, v[114:115]
	v_add_nc_u32_e32 v114, 8, v114
	v_add_co_u32 v11, vcc_lo, s12, v11
	v_add_co_ci_u32_e64 v12, null, s13, v12, vcc_lo
	global_load_dword v43, v[11:12], off
	s_clause 0x7
	global_load_dwordx4 v[11:14], v[116:117], off offset:16
	global_load_dwordx4 v[15:18], v[116:117], off
	global_load_dwordx4 v[19:22], v[116:117], off offset:80
	global_load_dwordx4 v[23:26], v[116:117], off offset:64
	;; [unrolled: 1-line block ×6, first 2 shown]
	s_waitcnt vmcnt(8)
	v_subrev_nc_u32_e32 v43, s2, v43
	v_lshlrev_b32_e32 v43, 2, v43
	v_ashrrev_i32_e32 v44, 31, v43
	v_lshlrev_b64 v[43:44], 4, v[43:44]
	v_add_co_u32 v87, vcc_lo, s6, v43
	v_add_co_ci_u32_e64 v88, null, s7, v44, vcc_lo
	s_clause 0x1
	global_load_dwordx4 v[43:46], v[87:88], off
	global_load_dwordx4 v[47:50], v[87:88], off offset:16
	s_clause 0x7
	global_load_dwordx4 v[51:54], v[116:117], off offset:48
	global_load_dwordx4 v[55:58], v[116:117], off offset:32
	;; [unrolled: 1-line block ×8, first 2 shown]
	s_clause 0x1
	global_load_dwordx4 v[83:86], v[87:88], off offset:32
	global_load_dwordx4 v[87:90], v[87:88], off offset:48
	v_add_co_u32 v116, vcc_lo, 0x800, v116
	v_add_co_ci_u32_e64 v117, null, 0, v117, vcc_lo
	s_waitcnt vmcnt(11)
	v_fma_f64 v[91:92], v[15:16], v[43:44], v[110:111]
	v_fma_f64 v[102:103], v[17:18], v[43:44], v[102:103]
	v_fma_f64 v[110:111], v[23:24], v[43:44], v[112:113]
	v_fma_f64 v[106:107], v[25:26], v[43:44], v[106:107]
	v_fma_f64 v[104:105], v[31:32], v[43:44], v[104:105]
	v_fma_f64 v[108:109], v[33:34], v[43:44], v[108:109]
	v_fma_f64 v[100:101], v[39:40], v[43:44], v[100:101]
	v_fma_f64 v[43:44], v[41:42], v[43:44], v[98:99]
	v_fma_f64 v[17:18], -v[17:18], v[45:46], v[91:92]
	v_fma_f64 v[15:16], v[15:16], v[45:46], v[102:103]
	v_fma_f64 v[25:26], -v[25:26], v[45:46], v[110:111]
	v_fma_f64 v[23:24], v[23:24], v[45:46], v[106:107]
	v_fma_f64 v[33:34], -v[33:34], v[45:46], v[104:105]
	v_fma_f64 v[31:32], v[31:32], v[45:46], v[108:109]
	v_fma_f64 v[41:42], -v[41:42], v[45:46], v[100:101]
	v_fma_f64 v[39:40], v[39:40], v[45:46], v[43:44]
	s_waitcnt vmcnt(10)
	v_fma_f64 v[17:18], v[11:12], v[47:48], v[17:18]
	v_fma_f64 v[15:16], v[13:14], v[47:48], v[15:16]
	v_fma_f64 v[25:26], v[19:20], v[47:48], v[25:26]
	v_fma_f64 v[23:24], v[21:22], v[47:48], v[23:24]
	v_fma_f64 v[33:34], v[27:28], v[47:48], v[33:34]
	v_fma_f64 v[31:32], v[29:30], v[47:48], v[31:32]
	v_fma_f64 v[41:42], v[35:36], v[47:48], v[41:42]
	v_fma_f64 v[39:40], v[37:38], v[47:48], v[39:40]
	v_fma_f64 v[13:14], -v[13:14], v[49:50], v[17:18]
	v_fma_f64 v[11:12], v[11:12], v[49:50], v[15:16]
	v_fma_f64 v[15:16], -v[21:22], v[49:50], v[25:26]
	v_fma_f64 v[17:18], v[19:20], v[49:50], v[23:24]
	v_fma_f64 v[19:20], -v[29:30], v[49:50], v[33:34]
	v_fma_f64 v[21:22], v[27:28], v[49:50], v[31:32]
	v_fma_f64 v[23:24], -v[37:38], v[49:50], v[41:42]
	v_fma_f64 v[25:26], v[35:36], v[49:50], v[39:40]
	;; [unrolled: 17-line block ×4, first 2 shown]
	s_andn2_b32 exec_lo, exec_lo, s8
	s_cbranch_execnz .LBB16_15
; %bb.16:
	s_or_b32 exec_lo, exec_lo, s8
.LBB16_17:
	s_or_b32 exec_lo, exec_lo, s1
	s_mov_b32 s8, exec_lo
	v_cmpx_lt_u32_e32 23, v9
	s_cbranch_execz .LBB16_21
; %bb.18:
	s_mov_b32 s9, 0
.LBB16_19:                              ; =>This Inner Loop Header: Depth=1
	v_ashrrev_i32_e32 v115, 31, v114
	v_add_co_u32 v118, vcc_lo, 0x800, v116
	v_add_co_ci_u32_e64 v119, null, 0, v117, vcc_lo
	v_add_co_u32 v146, vcc_lo, v116, 0x1000
	v_lshlrev_b64 v[138:139], 2, v[114:115]
	v_add_co_ci_u32_e64 v147, null, 0, v117, vcc_lo
	v_add_co_u32 v122, vcc_lo, 0x1000, v116
	v_add_co_ci_u32_e64 v123, null, 0, v117, vcc_lo
	v_add_co_u32 v120, vcc_lo, 0x1800, v116
	;; [unrolled: 2-line block ×3, first 2 shown]
	v_add_co_ci_u32_e64 v139, null, s13, v139, vcc_lo
	s_clause 0x17
	global_load_dwordx4 v[9:12], v[116:117], off offset:48
	global_load_dwordx4 v[13:16], v[116:117], off offset:32
	;; [unrolled: 1-line block ×3, first 2 shown]
	global_load_dwordx4 v[25:28], v[116:117], off
	global_load_dwordx4 v[21:24], v[116:117], off offset:112
	global_load_dwordx4 v[29:32], v[116:117], off offset:96
	;; [unrolled: 1-line block ×20, first 2 shown]
	s_clause 0x3
	global_load_dword v95, v[138:139], off
	global_load_dword v115, v[138:139], off offset:32
	global_load_dword v160, v[138:139], off offset:64
	;; [unrolled: 1-line block ×3, first 2 shown]
	v_add_nc_u32_e32 v114, 32, v114
	v_add_co_u32 v116, s1, 0x2000, v116
	v_add_co_ci_u32_e64 v117, null, 0, v117, s1
	s_waitcnt vmcnt(3)
	v_subrev_nc_u32_e32 v95, s2, v95
	v_lshlrev_b32_e32 v138, 2, v95
	s_waitcnt vmcnt(2)
	v_subrev_nc_u32_e32 v95, s2, v115
	v_ashrrev_i32_e32 v139, 31, v138
	v_lshlrev_b64 v[138:139], 4, v[138:139]
	v_add_co_u32 v148, vcc_lo, s6, v138
	v_add_co_ci_u32_e64 v149, null, s7, v139, vcc_lo
	s_clause 0x1
	global_load_dwordx4 v[138:141], v[148:149], off
	global_load_dwordx4 v[142:145], v[148:149], off offset:16
	s_waitcnt vmcnt(1)
	v_fma_f64 v[106:107], v[51:52], v[138:139], v[106:107]
	v_fma_f64 v[104:105], v[61:62], v[138:139], v[104:105]
	;; [unrolled: 1-line block ×9, first 2 shown]
	v_fma_f64 v[150:151], -v[63:64], v[140:141], v[104:105]
	v_fma_f64 v[108:109], v[61:62], v[140:141], v[108:109]
	v_fma_f64 v[110:111], -v[27:28], v[140:141], v[110:111]
	v_fma_f64 v[102:103], v[25:26], v[140:141], v[102:103]
	v_fma_f64 v[112:113], -v[51:52], v[140:141], v[112:113]
	v_fma_f64 v[138:139], -v[71:72], v[140:141], v[100:101]
	v_fma_f64 v[140:141], v[69:70], v[140:141], v[98:99]
	s_clause 0x4
	global_load_dwordx4 v[25:28], v[118:119], off offset:144
	global_load_dwordx4 v[49:52], v[118:119], off offset:128
	;; [unrolled: 1-line block ×5, first 2 shown]
	s_waitcnt vmcnt(5)
	v_fma_f64 v[106:107], v[39:40], v[142:143], v[106:107]
	v_fma_f64 v[108:109], v[55:56], v[142:143], v[108:109]
	;; [unrolled: 1-line block ×9, first 2 shown]
	v_fma_f64 v[152:153], -v[19:20], v[144:145], v[104:105]
	v_fma_f64 v[154:155], v[17:18], v[144:145], v[102:103]
	s_clause 0x1
	global_load_dwordx4 v[17:20], v[118:119], off offset:176
	global_load_dwordx4 v[102:105], v[118:119], off offset:192
	v_fma_f64 v[118:119], -v[39:40], v[144:145], v[110:111]
	global_load_dwordx4 v[37:40], v[146:147], off offset:-2048
	v_fma_f64 v[150:151], -v[55:56], v[144:145], v[106:107]
	v_fma_f64 v[106:107], v[65:66], v[142:143], v[138:139]
	global_load_dwordx4 v[53:56], v[146:147], off
	v_fma_f64 v[140:141], v[65:66], v[144:145], v[108:109]
	v_fma_f64 v[138:139], -v[67:68], v[144:145], v[106:107]
	global_load_dwordx4 v[65:68], v[122:123], off offset:48
	s_clause 0x1
	global_load_dwordx4 v[106:109], v[148:149], off offset:32
	global_load_dwordx4 v[110:113], v[148:149], off offset:48
	s_waitcnt vmcnt(1)
	v_fma_f64 v[148:149], v[41:42], v[106:107], v[150:151]
	v_fma_f64 v[150:151], v[43:44], v[106:107], v[158:159]
	;; [unrolled: 1-line block ×8, first 2 shown]
	v_fma_f64 v[148:149], -v[43:44], v[108:109], v[148:149]
	v_fma_f64 v[150:151], v[41:42], v[108:109], v[150:151]
	v_fma_f64 v[142:143], -v[15:16], v[108:109], v[142:143]
	v_fma_f64 v[144:145], v[13:14], v[108:109], v[144:145]
	;; [unrolled: 2-line block ×4, first 2 shown]
	s_clause 0x4
	global_load_dwordx4 v[13:16], v[122:123], off offset:32
	global_load_dwordx4 v[29:32], v[122:123], off offset:16
	;; [unrolled: 1-line block ×5, first 2 shown]
	s_waitcnt vmcnt(5)
	v_fma_f64 v[148:149], v[33:34], v[110:111], v[148:149]
	v_fma_f64 v[150:151], v[35:36], v[110:111], v[150:151]
	;; [unrolled: 1-line block ×6, first 2 shown]
	v_fma_f64 v[148:149], -v[35:36], v[112:113], v[148:149]
	v_fma_f64 v[150:151], v[33:34], v[112:113], v[150:151]
	v_lshlrev_b32_e32 v33, 2, v95
	v_fma_f64 v[35:36], v[47:48], v[110:111], v[140:141]
	v_fma_f64 v[142:143], -v[11:12], v[112:113], v[142:143]
	v_fma_f64 v[144:145], v[9:10], v[112:113], v[144:145]
	global_load_dwordx4 v[9:12], v[122:123], off offset:64
	v_ashrrev_i32_e32 v34, 31, v33
	v_fma_f64 v[118:119], -v[23:24], v[112:113], v[118:119]
	v_fma_f64 v[146:147], v[21:22], v[112:113], v[146:147]
	global_load_dwordx4 v[21:24], v[122:123], off offset:160
	v_subrev_nc_u32_e32 v95, s2, v160
	v_lshlrev_b64 v[33:34], 4, v[33:34]
	v_add_co_u32 v152, vcc_lo, s6, v33
	v_add_co_ci_u32_e64 v153, null, s7, v34, vcc_lo
	v_fma_f64 v[33:34], v[45:46], v[110:111], v[138:139]
	v_fma_f64 v[140:141], v[45:46], v[112:113], v[35:36]
	v_fma_f64 v[138:139], -v[47:48], v[112:113], v[33:34]
	s_clause 0x1
	global_load_dwordx4 v[33:36], v[152:153], off
	global_load_dwordx4 v[45:48], v[152:153], off offset:16
	s_waitcnt vmcnt(1)
	v_fma_f64 v[112:113], v[39:40], v[33:34], v[144:145]
	v_fma_f64 v[110:111], v[37:38], v[33:34], v[142:143]
	;; [unrolled: 1-line block ×4, first 2 shown]
	v_fma_f64 v[142:143], -v[39:40], v[35:36], v[110:111]
	v_fma_f64 v[110:111], v[130:131], v[33:34], v[118:119]
	global_load_dwordx4 v[37:40], v[122:123], off offset:144
	v_fma_f64 v[146:147], v[130:131], v[35:36], v[112:113]
	v_fma_f64 v[130:131], v[49:50], v[33:34], v[148:149]
	v_fma_f64 v[118:119], -v[132:133], v[35:36], v[110:111]
	v_fma_f64 v[132:133], v[51:52], v[33:34], v[150:151]
	global_load_dwordx4 v[110:113], v[122:123], off offset:128
	v_fma_f64 v[148:149], -v[51:52], v[35:36], v[130:131]
	v_fma_f64 v[130:131], v[102:103], v[33:34], v[138:139]
	v_fma_f64 v[33:34], v[104:105], v[33:34], v[140:141]
	;; [unrolled: 1-line block ×3, first 2 shown]
	s_waitcnt vmcnt(2)
	v_fma_f64 v[132:133], v[91:92], v[45:46], v[144:145]
	global_load_dwordx4 v[49:52], v[122:123], off offset:240
	v_fma_f64 v[118:119], v[126:127], v[45:46], v[118:119]
	v_fma_f64 v[138:139], -v[104:105], v[35:36], v[130:131]
	v_fma_f64 v[140:141], v[102:103], v[35:36], v[33:34]
	v_fma_f64 v[130:131], v[89:90], v[45:46], v[142:143]
	s_clause 0x1
	global_load_dwordx4 v[33:36], v[122:123], off offset:224
	global_load_dwordx4 v[102:105], v[122:123], off offset:208
	v_fma_f64 v[144:145], v[89:90], v[47:48], v[132:133]
	v_fma_f64 v[118:119], -v[128:129], v[47:48], v[118:119]
	v_fma_f64 v[138:139], v[98:99], v[45:46], v[138:139]
	v_fma_f64 v[142:143], -v[91:92], v[47:48], v[130:131]
	s_clause 0x1
	global_load_dwordx4 v[89:92], v[122:123], off offset:176
	global_load_dwordx4 v[130:133], v[122:123], off offset:192
	v_fma_f64 v[122:123], v[128:129], v[45:46], v[146:147]
	v_fma_f64 v[146:147], v[25:26], v[45:46], v[148:149]
	;; [unrolled: 1-line block ×4, first 2 shown]
	v_lshlrev_b32_e32 v150, 2, v95
	v_subrev_nc_u32_e32 v95, s2, v161
	v_ashrrev_i32_e32 v151, 31, v150
	v_lshlrev_b64 v[150:151], 4, v[150:151]
	v_fma_f64 v[138:139], -v[100:101], v[47:48], v[138:139]
	v_add_co_u32 v150, vcc_lo, s6, v150
	v_fma_f64 v[122:123], v[126:127], v[47:48], v[122:123]
	global_load_dwordx4 v[126:129], v[120:121], off
	v_fma_f64 v[146:147], -v[27:28], v[47:48], v[146:147]
	v_fma_f64 v[148:149], v[25:26], v[47:48], v[148:149]
	global_load_dwordx4 v[25:28], v[120:121], off offset:48
	v_fma_f64 v[140:141], v[98:99], v[47:48], v[45:46]
	s_clause 0x1
	global_load_dwordx4 v[45:48], v[152:153], off offset:32
	global_load_dwordx4 v[98:101], v[152:153], off offset:48
	v_add_co_ci_u32_e64 v151, null, s7, v151, vcc_lo
	s_waitcnt vmcnt(1)
	v_fma_f64 v[142:143], v[77:78], v[45:46], v[142:143]
	v_fma_f64 v[144:145], v[79:80], v[45:46], v[144:145]
	;; [unrolled: 1-line block ×8, first 2 shown]
	v_fma_f64 v[142:143], -v[79:80], v[47:48], v[142:143]
	v_fma_f64 v[144:145], v[77:78], v[47:48], v[144:145]
	v_fma_f64 v[118:119], -v[87:88], v[47:48], v[118:119]
	v_fma_f64 v[122:123], v[85:86], v[47:48], v[122:123]
	;; [unrolled: 2-line block ×4, first 2 shown]
	s_clause 0x4
	global_load_dwordx4 v[77:80], v[120:121], off offset:32
	global_load_dwordx4 v[85:88], v[120:121], off offset:16
	;; [unrolled: 1-line block ×5, first 2 shown]
	s_waitcnt vmcnt(5)
	v_fma_f64 v[142:143], v[81:82], v[98:99], v[142:143]
	v_fma_f64 v[144:145], v[83:84], v[98:99], v[144:145]
	;; [unrolled: 1-line block ×8, first 2 shown]
	v_fma_f64 v[142:143], -v[83:84], v[100:101], v[142:143]
	v_fma_f64 v[144:145], v[81:82], v[100:101], v[144:145]
	global_load_dwordx4 v[81:84], v[120:121], off offset:128
	v_fma_f64 v[118:119], -v[75:76], v[100:101], v[118:119]
	v_fma_f64 v[122:123], v[73:74], v[100:101], v[122:123]
	global_load_dwordx4 v[73:76], v[120:121], off offset:208
	;; [unrolled: 3-line block ×3, first 2 shown]
	v_fma_f64 v[152:153], -v[63:64], v[100:101], v[138:139]
	v_fma_f64 v[154:155], v[61:62], v[100:101], v[98:99]
	s_clause 0x1
	global_load_dwordx4 v[61:64], v[150:151], off
	global_load_dwordx4 v[98:101], v[150:151], off offset:16
	s_waitcnt vmcnt(1)
	v_fma_f64 v[138:139], v[53:54], v[61:62], v[142:143]
	v_fma_f64 v[140:141], v[55:56], v[61:62], v[144:145]
	;; [unrolled: 1-line block ×4, first 2 shown]
	v_fma_f64 v[142:143], -v[55:56], v[63:64], v[138:139]
	v_fma_f64 v[144:145], v[53:54], v[63:64], v[140:141]
	global_load_dwordx4 v[53:56], v[150:151], off offset:32
	v_fma_f64 v[138:139], v[110:111], v[61:62], v[146:147]
	v_fma_f64 v[140:141], v[112:113], v[61:62], v[148:149]
	v_fma_f64 v[118:119], -v[11:12], v[63:64], v[118:119]
	v_fma_f64 v[122:123], v[9:10], v[63:64], v[122:123]
	global_load_dwordx4 v[9:12], v[120:121], off offset:96
	s_waitcnt vmcnt(2)
	v_fma_f64 v[142:143], v[29:30], v[98:99], v[142:143]
	v_fma_f64 v[144:145], v[31:32], v[98:99], v[144:145]
	v_fma_f64 v[146:147], -v[112:113], v[63:64], v[138:139]
	v_fma_f64 v[148:149], v[110:111], v[63:64], v[140:141]
	global_load_dwordx4 v[138:141], v[150:151], off offset:48
	v_fma_f64 v[150:151], v[130:131], v[61:62], v[152:153]
	v_fma_f64 v[61:62], v[132:133], v[61:62], v[154:155]
	;; [unrolled: 1-line block ×4, first 2 shown]
	global_load_dwordx4 v[110:113], v[120:121], off offset:160
	v_fma_f64 v[142:143], -v[31:32], v[100:101], v[142:143]
	v_fma_f64 v[144:145], v[29:30], v[100:101], v[144:145]
	v_fma_f64 v[132:133], -v[132:133], v[63:64], v[150:151]
	v_fma_f64 v[130:131], v[130:131], v[63:64], v[61:62]
	v_lshlrev_b32_e32 v61, 2, v95
	v_fma_f64 v[152:153], -v[108:109], v[100:101], v[118:119]
	v_fma_f64 v[118:119], v[37:38], v[98:99], v[146:147]
	v_fma_f64 v[146:147], v[39:40], v[98:99], v[148:149]
	;; [unrolled: 1-line block ×3, first 2 shown]
	v_ashrrev_i32_e32 v62, 31, v61
	global_load_dwordx4 v[106:109], v[120:121], off offset:224
	v_lshlrev_b64 v[61:62], 4, v[61:62]
	v_add_co_u32 v150, vcc_lo, s6, v61
	v_add_co_ci_u32_e64 v151, null, s7, v62, vcc_lo
	v_cmp_ge_i32_e32 vcc_lo, v114, v124
	s_clause 0x1
	global_load_dwordx4 v[61:64], v[150:151], off
	global_load_dwordx4 v[29:32], v[150:151], off offset:16
	v_fma_f64 v[148:149], -v[39:40], v[100:101], v[118:119]
	v_fma_f64 v[146:147], v[37:38], v[100:101], v[146:147]
	global_load_dwordx4 v[37:40], v[150:151], off offset:32
	v_fma_f64 v[118:119], v[102:103], v[98:99], v[132:133]
	v_fma_f64 v[98:99], v[104:105], v[98:99], v[130:131]
	s_or_b32 s9, vcc_lo, s9
	v_fma_f64 v[104:105], -v[104:105], v[100:101], v[118:119]
	v_fma_f64 v[102:103], v[102:103], v[100:101], v[98:99]
	s_clause 0x2
	global_load_dwordx4 v[98:101], v[120:121], off offset:112
	global_load_dwordx4 v[130:133], v[120:121], off offset:176
	;; [unrolled: 1-line block ×3, first 2 shown]
	s_waitcnt vmcnt(10)
	v_fma_f64 v[142:143], v[13:14], v[53:54], v[142:143]
	v_fma_f64 v[144:145], v[15:16], v[53:54], v[144:145]
	;; [unrolled: 1-line block ×6, first 2 shown]
	v_fma_f64 v[142:143], -v[15:16], v[55:56], v[142:143]
	v_fma_f64 v[144:145], v[13:14], v[55:56], v[144:145]
	global_load_dwordx4 v[13:16], v[150:151], off offset:48
	v_fma_f64 v[150:151], v[57:58], v[53:54], v[152:153]
	v_fma_f64 v[53:54], v[35:36], v[53:54], v[102:103]
	;; [unrolled: 1-line block ×3, first 2 shown]
	v_fma_f64 v[23:24], -v[23:24], v[55:56], v[148:149]
	v_fma_f64 v[21:22], v[21:22], v[55:56], v[146:147]
	v_fma_f64 v[35:36], -v[35:36], v[55:56], v[104:105]
	v_fma_f64 v[59:60], -v[59:60], v[55:56], v[150:151]
	v_fma_f64 v[33:34], v[33:34], v[55:56], v[53:54]
	s_waitcnt vmcnt(9)
	v_fma_f64 v[53:54], v[65:66], v[138:139], v[142:143]
	v_fma_f64 v[55:56], v[67:68], v[138:139], v[144:145]
	v_fma_f64 v[57:58], v[43:44], v[138:139], v[57:58]
	v_fma_f64 v[23:24], v[89:90], v[138:139], v[23:24]
	v_fma_f64 v[21:22], v[91:92], v[138:139], v[21:22]
	v_fma_f64 v[35:36], v[49:50], v[138:139], v[35:36]
	v_fma_f64 v[59:60], v[41:42], v[138:139], v[59:60]
	v_fma_f64 v[33:34], v[51:52], v[138:139], v[33:34]
	v_fma_f64 v[53:54], -v[67:68], v[140:141], v[53:54]
	v_fma_f64 v[55:56], v[65:66], v[140:141], v[55:56]
	v_fma_f64 v[41:42], v[41:42], v[140:141], v[57:58]
	v_fma_f64 v[23:24], -v[91:92], v[140:141], v[23:24]
	v_fma_f64 v[21:22], v[89:90], v[140:141], v[21:22]
	v_fma_f64 v[35:36], -v[51:52], v[140:141], v[35:36]
	v_fma_f64 v[43:44], -v[43:44], v[140:141], v[59:60]
	v_fma_f64 v[33:34], v[49:50], v[140:141], v[33:34]
	s_waitcnt vmcnt(6)
	v_fma_f64 v[49:50], v[126:127], v[61:62], v[53:54]
	v_fma_f64 v[51:52], v[128:129], v[61:62], v[55:56]
	v_fma_f64 v[41:42], v[47:48], v[61:62], v[41:42]
	v_fma_f64 v[23:24], v[81:82], v[61:62], v[23:24]
	v_fma_f64 v[21:22], v[83:84], v[61:62], v[21:22]
	v_fma_f64 v[35:36], v[17:18], v[61:62], v[35:36]
	v_fma_f64 v[43:44], v[45:46], v[61:62], v[43:44]
	v_fma_f64 v[33:34], v[19:20], v[61:62], v[33:34]
	v_fma_f64 v[49:50], -v[128:129], v[63:64], v[49:50]
	v_fma_f64 v[51:52], v[126:127], v[63:64], v[51:52]
	v_fma_f64 v[41:42], v[45:46], v[63:64], v[41:42]
	;; [unrolled: 17-line block ×3, first 2 shown]
	v_fma_f64 v[23:24], -v[71:72], v[31:32], v[23:24]
	v_fma_f64 v[21:22], v[69:70], v[31:32], v[21:22]
	v_fma_f64 v[19:20], -v[75:76], v[31:32], v[19:20]
	v_fma_f64 v[35:36], -v[136:137], v[31:32], v[43:44]
	v_fma_f64 v[17:18], v[73:74], v[31:32], v[17:18]
	s_waitcnt vmcnt(4)
	v_fma_f64 v[29:30], v[77:78], v[37:38], v[29:30]
	v_fma_f64 v[31:32], v[79:80], v[37:38], v[33:34]
	;; [unrolled: 1-line block ×8, first 2 shown]
	v_fma_f64 v[29:30], -v[79:80], v[39:40], v[29:30]
	v_fma_f64 v[31:32], v[77:78], v[39:40], v[31:32]
	v_fma_f64 v[23:24], -v[112:113], v[39:40], v[23:24]
	v_fma_f64 v[21:22], v[110:111], v[39:40], v[21:22]
	v_fma_f64 v[19:20], -v[108:109], v[39:40], v[19:20]
	v_fma_f64 v[11:12], -v[11:12], v[39:40], v[33:34]
	v_fma_f64 v[9:10], v[9:10], v[39:40], v[35:36]
	v_fma_f64 v[17:18], v[106:107], v[39:40], v[17:18]
	s_waitcnt vmcnt(0)
	v_fma_f64 v[29:30], v[25:26], v[13:14], v[29:30]
	v_fma_f64 v[31:32], v[27:28], v[13:14], v[31:32]
	;; [unrolled: 1-line block ×8, first 2 shown]
	v_fma_f64 v[110:111], -v[27:28], v[15:16], v[29:30]
	v_fma_f64 v[102:103], v[25:26], v[15:16], v[31:32]
	v_fma_f64 v[112:113], -v[100:101], v[15:16], v[11:12]
	v_fma_f64 v[106:107], v[98:99], v[15:16], v[9:10]
	;; [unrolled: 2-line block ×4, first 2 shown]
	s_andn2_b32 exec_lo, exec_lo, s9
	s_cbranch_execnz .LBB16_19
; %bb.20:
	s_or_b32 exec_lo, exec_lo, s9
.LBB16_21:
	s_or_b32 exec_lo, exec_lo, s8
.LBB16_22:
	s_or_b32 exec_lo, exec_lo, s3
	s_cbranch_execz .LBB16_24
	s_branch .LBB16_35
.LBB16_23:
                                        ; implicit-def: $vgpr102_vgpr103
                                        ; implicit-def: $vgpr110_vgpr111
                                        ; implicit-def: $vgpr100_vgpr101
                                        ; implicit-def: $vgpr98_vgpr99
                                        ; implicit-def: $vgpr104_vgpr105
                                        ; implicit-def: $vgpr108_vgpr109
                                        ; implicit-def: $vgpr112_vgpr113
                                        ; implicit-def: $vgpr106_vgpr107
.LBB16_24:
	v_mov_b32_e32 v102, 0
	v_mov_b32_e32 v110, 0
	;; [unrolled: 1-line block ×16, first 2 shown]
	s_and_saveexec_b32 s1, s0
	s_cbranch_execz .LBB16_34
; %bb.25:
	v_add_nc_u32_e32 v9, v125, v0
	v_not_b32_e32 v10, v125
	v_mov_b32_e32 v106, 0
	v_mov_b32_e32 v112, 0
	;; [unrolled: 1-line block ×3, first 2 shown]
	v_subrev_nc_u32_e32 v9, s2, v9
	v_mov_b32_e32 v104, 0
	v_mov_b32_e32 v98, 0
	;; [unrolled: 1-line block ×4, first 2 shown]
	v_add_nc_u32_e32 v9, 8, v9
	v_mov_b32_e32 v102, 0
	v_mov_b32_e32 v107, 0
	;; [unrolled: 1-line block ×4, first 2 shown]
	v_max_i32_e32 v9, v9, v124
	v_mov_b32_e32 v105, 0
	v_mov_b32_e32 v99, 0
	;; [unrolled: 1-line block ×4, first 2 shown]
	v_add3_u32 v9, s2, v9, v10
	v_mov_b32_e32 v103, 0
	s_mov_b32 s0, exec_lo
	v_sub_nc_u32_e32 v9, v9, v0
	v_and_b32_e32 v10, 24, v9
	v_cmpx_ne_u32_e32 24, v10
	s_cbranch_execz .LBB16_29
; %bb.26:
	v_lshrrev_b32_e32 v10, 3, v9
	v_mov_b32_e32 v102, 0
	v_mov_b32_e32 v110, 0
	;; [unrolled: 1-line block ×4, first 2 shown]
	v_add_nc_u32_e32 v10, 1, v10
	v_mov_b32_e32 v104, 0
	v_mov_b32_e32 v108, 0
	;; [unrolled: 1-line block ×4, first 2 shown]
	v_and_b32_e32 v10, 3, v10
	v_mov_b32_e32 v103, 0
	v_mov_b32_e32 v111, 0
	;; [unrolled: 1-line block ×8, first 2 shown]
	v_sub_nc_u32_e32 v10, 0, v10
	s_mov_b32 s3, 0
.LBB16_27:                              ; =>This Inner Loop Header: Depth=1
	v_ashrrev_i32_e32 v95, 31, v94
	v_add_co_u32 v10, s8, v10, 1
	s_or_b32 s3, s8, s3
	v_lshlrev_b64 v[11:12], 2, v[94:95]
	v_add_nc_u32_e32 v94, 8, v94
	v_add_co_u32 v11, vcc_lo, s12, v11
	v_add_co_ci_u32_e64 v12, null, s13, v12, vcc_lo
	global_load_dword v27, v[11:12], off
	s_clause 0x3
	global_load_dwordx4 v[11:14], v[96:97], off offset:48
	global_load_dwordx4 v[15:18], v[96:97], off offset:32
	;; [unrolled: 1-line block ×3, first 2 shown]
	global_load_dwordx4 v[23:26], v[96:97], off
	s_waitcnt vmcnt(4)
	v_subrev_nc_u32_e32 v27, s2, v27
	v_lshlrev_b32_e32 v27, 2, v27
	v_ashrrev_i32_e32 v28, 31, v27
	v_lshlrev_b64 v[27:28], 4, v[27:28]
	v_add_co_u32 v71, vcc_lo, s6, v27
	v_add_co_ci_u32_e64 v72, null, s7, v28, vcc_lo
	global_load_dwordx4 v[27:30], v[71:72], off
	s_clause 0x3
	global_load_dwordx4 v[31:34], v[96:97], off offset:112
	global_load_dwordx4 v[35:38], v[96:97], off offset:96
	;; [unrolled: 1-line block ×5, first 2 shown]
	s_clause 0x3
	global_load_dwordx4 v[51:54], v[96:97], off offset:176
	global_load_dwordx4 v[55:58], v[96:97], off offset:160
	;; [unrolled: 1-line block ×4, first 2 shown]
	s_clause 0x1
	global_load_dwordx4 v[67:70], v[71:72], off offset:32
	global_load_dwordx4 v[71:74], v[71:72], off offset:48
	s_clause 0x3
	global_load_dwordx4 v[75:78], v[96:97], off offset:192
	global_load_dwordx4 v[79:82], v[96:97], off offset:208
	;; [unrolled: 1-line block ×4, first 2 shown]
	v_add_co_u32 v96, vcc_lo, 0x800, v96
	v_add_co_ci_u32_e64 v97, null, 0, v97, vcc_lo
	s_waitcnt vmcnt(15)
	v_fma_f64 v[91:92], v[23:24], v[27:28], v[110:111]
	v_fma_f64 v[102:103], v[25:26], v[27:28], v[102:103]
	v_fma_f64 v[110:111], v[19:20], v[27:28], v[112:113]
	v_fma_f64 v[106:107], v[21:22], v[27:28], v[106:107]
	v_fma_f64 v[104:105], v[15:16], v[27:28], v[104:105]
	v_fma_f64 v[108:109], v[17:18], v[27:28], v[108:109]
	v_fma_f64 v[100:101], v[11:12], v[27:28], v[100:101]
	v_fma_f64 v[27:28], v[13:14], v[27:28], v[98:99]
	v_fma_f64 v[25:26], -v[25:26], v[29:30], v[91:92]
	v_fma_f64 v[23:24], v[23:24], v[29:30], v[102:103]
	v_fma_f64 v[21:22], -v[21:22], v[29:30], v[110:111]
	v_fma_f64 v[19:20], v[19:20], v[29:30], v[106:107]
	v_fma_f64 v[17:18], -v[17:18], v[29:30], v[104:105]
	v_fma_f64 v[15:16], v[15:16], v[29:30], v[108:109]
	v_fma_f64 v[13:14], -v[13:14], v[29:30], v[100:101]
	v_fma_f64 v[11:12], v[11:12], v[29:30], v[27:28]
	s_waitcnt vmcnt(10)
	v_fma_f64 v[25:26], v[43:44], v[47:48], v[25:26]
	v_fma_f64 v[23:24], v[45:46], v[47:48], v[23:24]
	v_fma_f64 v[21:22], v[39:40], v[47:48], v[21:22]
	v_fma_f64 v[19:20], v[41:42], v[47:48], v[19:20]
	v_fma_f64 v[17:18], v[35:36], v[47:48], v[17:18]
	v_fma_f64 v[15:16], v[37:38], v[47:48], v[15:16]
	v_fma_f64 v[13:14], v[31:32], v[47:48], v[13:14]
	v_fma_f64 v[11:12], v[33:34], v[47:48], v[11:12]
	v_fma_f64 v[25:26], -v[45:46], v[49:50], v[25:26]
	v_fma_f64 v[23:24], v[43:44], v[49:50], v[23:24]
	v_fma_f64 v[21:22], -v[41:42], v[49:50], v[21:22]
	v_fma_f64 v[19:20], v[39:40], v[49:50], v[19:20]
	v_fma_f64 v[17:18], -v[37:38], v[49:50], v[17:18]
	v_fma_f64 v[15:16], v[35:36], v[49:50], v[15:16]
	v_fma_f64 v[13:14], -v[33:34], v[49:50], v[13:14]
	v_fma_f64 v[11:12], v[31:32], v[49:50], v[11:12]
	;; [unrolled: 17-line block ×3, first 2 shown]
	s_waitcnt vmcnt(3)
	v_fma_f64 v[25:26], v[75:76], v[71:72], v[25:26]
	v_fma_f64 v[23:24], v[77:78], v[71:72], v[23:24]
	s_waitcnt vmcnt(2)
	v_fma_f64 v[21:22], v[79:80], v[71:72], v[21:22]
	v_fma_f64 v[19:20], v[81:82], v[71:72], v[19:20]
	;; [unrolled: 3-line block ×4, first 2 shown]
	v_fma_f64 v[110:111], -v[77:78], v[73:74], v[25:26]
	v_fma_f64 v[102:103], v[75:76], v[73:74], v[23:24]
	v_fma_f64 v[112:113], -v[81:82], v[73:74], v[21:22]
	v_fma_f64 v[106:107], v[79:80], v[73:74], v[19:20]
	;; [unrolled: 2-line block ×4, first 2 shown]
	s_andn2_b32 exec_lo, exec_lo, s3
	s_cbranch_execnz .LBB16_27
; %bb.28:
	s_or_b32 exec_lo, exec_lo, s3
.LBB16_29:
	s_or_b32 exec_lo, exec_lo, s0
	s_mov_b32 s3, exec_lo
	v_cmpx_lt_u32_e32 23, v9
	s_cbranch_execz .LBB16_33
; %bb.30:
	s_mov_b32 s8, 0
.LBB16_31:                              ; =>This Inner Loop Header: Depth=1
	v_ashrrev_i32_e32 v95, 31, v94
	v_add_co_u32 v91, vcc_lo, 0x800, v96
	v_add_co_ci_u32_e64 v92, null, 0, v97, vcc_lo
	v_add_co_u32 v122, vcc_lo, v96, 0x1000
	v_lshlrev_b64 v[114:115], 2, v[94:95]
	v_add_co_ci_u32_e64 v123, null, 0, v97, vcc_lo
	v_add_co_u32 v125, vcc_lo, 0x1000, v96
	v_add_co_ci_u32_e64 v126, null, 0, v97, vcc_lo
	v_add_co_u32 v69, vcc_lo, 0x1800, v96
	;; [unrolled: 2-line block ×3, first 2 shown]
	v_add_co_ci_u32_e64 v115, null, s13, v115, vcc_lo
	s_clause 0x13
	global_load_dwordx4 v[9:12], v[96:97], off offset:48
	global_load_dwordx4 v[17:20], v[96:97], off offset:32
	;; [unrolled: 1-line block ×3, first 2 shown]
	global_load_dwordx4 v[45:48], v[96:97], off
	global_load_dwordx4 v[33:36], v[96:97], off offset:112
	global_load_dwordx4 v[49:52], v[96:97], off offset:96
	;; [unrolled: 1-line block ×16, first 2 shown]
	s_clause 0x3
	global_load_dword v95, v[114:115], off
	global_load_dword v137, v[114:115], off offset:32
	global_load_dword v138, v[114:115], off offset:64
	;; [unrolled: 1-line block ×3, first 2 shown]
	v_add_nc_u32_e32 v94, 32, v94
	v_add_co_u32 v96, s0, 0x2000, v96
	v_add_co_ci_u32_e64 v97, null, 0, v97, s0
	s_waitcnt vmcnt(3)
	v_subrev_nc_u32_e32 v95, s2, v95
	v_lshlrev_b32_e32 v114, 2, v95
	s_waitcnt vmcnt(2)
	v_subrev_nc_u32_e32 v95, s2, v137
	v_ashrrev_i32_e32 v115, 31, v114
	v_lshlrev_b64 v[114:115], 4, v[114:115]
	v_add_co_u32 v127, vcc_lo, s6, v114
	v_add_co_ci_u32_e64 v128, null, s7, v115, vcc_lo
	s_clause 0x1
	global_load_dwordx4 v[114:117], v[127:128], off
	global_load_dwordx4 v[118:121], v[127:128], off offset:16
	s_waitcnt vmcnt(1)
	v_fma_f64 v[102:103], v[47:48], v[114:115], v[102:103]
	v_fma_f64 v[112:113], v[29:30], v[114:115], v[112:113]
	;; [unrolled: 1-line block ×9, first 2 shown]
	v_fma_f64 v[112:113], -v[31:32], v[116:117], v[112:113]
	v_fma_f64 v[106:107], v[29:30], v[116:117], v[106:107]
	v_fma_f64 v[110:111], -v[47:48], v[116:117], v[110:111]
	v_fma_f64 v[104:105], -v[19:20], v[116:117], v[104:105]
	v_fma_f64 v[108:109], v[17:18], v[116:117], v[108:109]
	v_fma_f64 v[114:115], -v[11:12], v[116:117], v[100:101]
	v_fma_f64 v[116:117], v[9:10], v[116:117], v[98:99]
	s_clause 0x4
	global_load_dwordx4 v[45:48], v[91:92], off offset:96
	global_load_dwordx4 v[29:32], v[91:92], off offset:80
	global_load_dwordx4 v[17:20], v[91:92], off offset:64
	global_load_dwordx4 v[9:12], v[91:92], off offset:160
	global_load_dwordx4 v[98:101], v[91:92], off offset:144
	s_waitcnt vmcnt(5)
	v_fma_f64 v[102:103], v[63:64], v[118:119], v[102:103]
	v_fma_f64 v[106:107], v[59:60], v[118:119], v[106:107]
	;; [unrolled: 1-line block ×7, first 2 shown]
	v_fma_f64 v[110:111], -v[63:64], v[120:121], v[110:111]
	global_load_dwordx4 v[61:64], v[91:92], off offset:128
	v_fma_f64 v[112:113], -v[59:60], v[120:121], v[102:103]
	v_fma_f64 v[102:103], v[49:50], v[118:119], v[104:105]
	v_fma_f64 v[104:105], v[51:52], v[118:119], v[108:109]
	;; [unrolled: 1-line block ×3, first 2 shown]
	global_load_dwordx4 v[57:60], v[91:92], off offset:240
	v_fma_f64 v[114:115], -v[35:36], v[120:121], v[106:107]
	v_fma_f64 v[133:134], -v[51:52], v[120:121], v[102:103]
	v_fma_f64 v[135:136], v[49:50], v[120:121], v[104:105]
	s_clause 0x1
	global_load_dwordx4 v[49:52], v[122:123], off offset:-2048
	global_load_dwordx4 v[102:105], v[122:123], off
	v_fma_f64 v[116:117], v[33:34], v[120:121], v[108:109]
	s_clause 0x1
	global_load_dwordx4 v[33:36], v[127:128], off offset:32
	global_load_dwordx4 v[106:109], v[127:128], off offset:48
	s_waitcnt vmcnt(1)
	v_fma_f64 v[110:111], v[65:66], v[33:34], v[110:111]
	v_fma_f64 v[118:119], v[67:68], v[33:34], v[129:130]
	v_fma_f64 v[120:121], -v[67:68], v[35:36], v[110:111]
	v_fma_f64 v[110:111], v[53:54], v[33:34], v[112:113]
	v_fma_f64 v[112:113], v[55:56], v[33:34], v[131:132]
	;; [unrolled: 1-line block ×3, first 2 shown]
	global_load_dwordx4 v[65:68], v[91:92], off offset:224
	v_fma_f64 v[122:123], -v[55:56], v[35:36], v[110:111]
	v_fma_f64 v[127:128], v[53:54], v[35:36], v[112:113]
	v_fma_f64 v[110:111], v[37:38], v[33:34], v[133:134]
	;; [unrolled: 1-line block ×3, first 2 shown]
	global_load_dwordx4 v[53:56], v[91:92], off offset:208
	s_waitcnt vmcnt(2)
	v_fma_f64 v[118:119], v[73:74], v[106:107], v[118:119]
	v_fma_f64 v[129:130], -v[39:40], v[35:36], v[110:111]
	v_fma_f64 v[131:132], v[37:38], v[35:36], v[112:113]
	s_clause 0x1
	global_load_dwordx4 v[37:40], v[91:92], off offset:176
	global_load_dwordx4 v[110:113], v[91:92], off offset:192
	v_fma_f64 v[91:92], v[21:22], v[33:34], v[114:115]
	v_fma_f64 v[33:34], v[23:24], v[33:34], v[116:117]
	;; [unrolled: 1-line block ×8, first 2 shown]
	v_fma_f64 v[91:92], -v[23:24], v[35:36], v[91:92]
	v_fma_f64 v[114:115], v[21:22], v[35:36], v[33:34]
	s_clause 0x1
	global_load_dwordx4 v[21:24], v[125:126], off offset:48
	global_load_dwordx4 v[33:36], v[125:126], off offset:32
	v_fma_f64 v[116:117], -v[73:74], v[108:109], v[116:117]
	global_load_dwordx4 v[71:74], v[125:126], off offset:16
	v_fma_f64 v[120:121], -v[43:44], v[108:109], v[120:121]
	v_fma_f64 v[122:123], v[41:42], v[108:109], v[122:123]
	global_load_dwordx4 v[41:44], v[125:126], off offset:112
	v_fma_f64 v[127:128], -v[27:28], v[108:109], v[127:128]
	v_fma_f64 v[129:130], v[25:26], v[108:109], v[129:130]
	v_lshlrev_b32_e32 v25, 2, v95
	v_subrev_nc_u32_e32 v95, s2, v138
	v_fma_f64 v[27:28], v[15:16], v[106:107], v[114:115]
	v_ashrrev_i32_e32 v26, 31, v25
	v_lshlrev_b64 v[25:26], 4, v[25:26]
	v_add_co_u32 v131, vcc_lo, s6, v25
	v_add_co_ci_u32_e64 v132, null, s7, v26, vcc_lo
	v_fma_f64 v[25:26], v[13:14], v[106:107], v[91:92]
	v_fma_f64 v[106:107], v[13:14], v[108:109], v[27:28]
	v_fma_f64 v[91:92], -v[15:16], v[108:109], v[25:26]
	s_clause 0x1
	global_load_dwordx4 v[13:16], v[131:132], off
	global_load_dwordx4 v[25:28], v[131:132], off offset:16
	s_waitcnt vmcnt(1)
	v_fma_f64 v[108:109], v[49:50], v[13:14], v[116:117]
	v_fma_f64 v[116:117], v[83:84], v[13:14], v[120:121]
	;; [unrolled: 1-line block ×8, first 2 shown]
	v_fma_f64 v[108:109], -v[51:52], v[15:16], v[108:109]
	v_fma_f64 v[116:117], -v[85:86], v[15:16], v[116:117]
	v_fma_f64 v[114:115], v[49:50], v[15:16], v[114:115]
	v_fma_f64 v[118:119], v[83:84], v[15:16], v[118:119]
	v_fma_f64 v[120:121], -v[81:82], v[15:16], v[120:121]
	v_fma_f64 v[122:123], v[79:80], v[15:16], v[122:123]
	v_fma_f64 v[91:92], -v[77:78], v[15:16], v[91:92]
	v_fma_f64 v[106:107], v[75:76], v[15:16], v[13:14]
	s_clause 0x4
	global_load_dwordx4 v[49:52], v[125:126], off offset:96
	global_load_dwordx4 v[83:86], v[125:126], off offset:80
	global_load_dwordx4 v[79:82], v[125:126], off offset:64
	global_load_dwordx4 v[13:16], v[125:126], off offset:176
	global_load_dwordx4 v[75:78], v[125:126], off offset:160
	s_waitcnt vmcnt(5)
	v_fma_f64 v[108:109], v[17:18], v[25:26], v[108:109]
	v_fma_f64 v[114:115], v[19:20], v[25:26], v[114:115]
	;; [unrolled: 1-line block ×3, first 2 shown]
	v_fma_f64 v[127:128], -v[19:20], v[27:28], v[108:109]
	v_fma_f64 v[108:109], v[29:30], v[25:26], v[116:117]
	v_fma_f64 v[116:117], v[31:32], v[25:26], v[118:119]
	;; [unrolled: 1-line block ×3, first 2 shown]
	global_load_dwordx4 v[17:20], v[125:126], off offset:144
	v_fma_f64 v[91:92], -v[89:90], v[27:28], v[91:92]
	v_fma_f64 v[118:119], -v[31:32], v[27:28], v[108:109]
	v_fma_f64 v[108:109], v[45:46], v[25:26], v[120:121]
	v_fma_f64 v[120:121], v[47:48], v[25:26], v[122:123]
	;; [unrolled: 1-line block ×4, first 2 shown]
	global_load_dwordx4 v[29:32], v[125:126], off offset:128
	v_fma_f64 v[122:123], -v[47:48], v[27:28], v[108:109]
	v_fma_f64 v[120:121], v[45:46], v[27:28], v[120:121]
	global_load_dwordx4 v[45:48], v[125:126], off offset:240
	v_fma_f64 v[129:130], v[87:88], v[27:28], v[25:26]
	global_load_dwordx4 v[25:28], v[125:126], off offset:224
	s_clause 0x1
	global_load_dwordx4 v[87:90], v[131:132], off offset:32
	global_load_dwordx4 v[106:109], v[131:132], off offset:48
	s_waitcnt vmcnt(1)
	v_fma_f64 v[127:128], v[61:62], v[87:88], v[127:128]
	v_fma_f64 v[114:115], v[63:64], v[87:88], v[114:115]
	;; [unrolled: 1-line block ×8, first 2 shown]
	v_lshlrev_b32_e32 v129, 2, v95
	v_subrev_nc_u32_e32 v95, s2, v139
	v_ashrrev_i32_e32 v130, 31, v129
	v_lshlrev_b32_e32 v131, 2, v95
	v_lshlrev_b64 v[129:130], 4, v[129:130]
	v_ashrrev_i32_e32 v132, 31, v131
	v_fma_f64 v[127:128], -v[63:64], v[89:90], v[127:128]
	v_fma_f64 v[114:115], v[61:62], v[89:90], v[114:115]
	global_load_dwordx4 v[61:64], v[125:126], off offset:208
	v_fma_f64 v[118:119], -v[100:101], v[89:90], v[118:119]
	v_fma_f64 v[116:117], v[98:99], v[89:90], v[116:117]
	global_load_dwordx4 v[98:101], v[125:126], off offset:192
	v_fma_f64 v[122:123], -v[11:12], v[89:90], v[122:123]
	v_fma_f64 v[120:121], v[9:10], v[89:90], v[120:121]
	global_load_dwordx4 v[9:12], v[69:70], off
	v_fma_f64 v[91:92], -v[39:40], v[89:90], v[91:92]
	v_fma_f64 v[125:126], v[37:38], v[89:90], v[87:88]
	v_add_co_u32 v129, vcc_lo, s6, v129
	v_add_co_ci_u32_e64 v130, null, s7, v130, vcc_lo
	s_clause 0x1
	global_load_dwordx4 v[37:40], v[69:70], off offset:48
	global_load_dwordx4 v[87:90], v[69:70], off offset:32
	s_waitcnt vmcnt(5)
	v_fma_f64 v[127:128], v[110:111], v[106:107], v[127:128]
	v_fma_f64 v[114:115], v[112:113], v[106:107], v[114:115]
	;; [unrolled: 1-line block ×8, first 2 shown]
	v_fma_f64 v[127:128], -v[112:113], v[108:109], v[127:128]
	v_fma_f64 v[114:115], v[110:111], v[108:109], v[114:115]
	global_load_dwordx4 v[110:113], v[69:70], off offset:16
	v_fma_f64 v[118:119], -v[55:56], v[108:109], v[118:119]
	v_fma_f64 v[116:117], v[53:54], v[108:109], v[116:117]
	global_load_dwordx4 v[53:56], v[69:70], off offset:112
	;; [unrolled: 3-line block ×3, first 2 shown]
	v_fma_f64 v[91:92], -v[59:60], v[108:109], v[91:92]
	v_fma_f64 v[125:126], v[57:58], v[108:109], v[106:107]
	s_clause 0x1
	global_load_dwordx4 v[57:60], v[129:130], off
	global_load_dwordx4 v[106:109], v[129:130], off offset:16
	s_waitcnt vmcnt(1)
	v_fma_f64 v[127:128], v[102:103], v[57:58], v[127:128]
	v_fma_f64 v[114:115], v[104:105], v[57:58], v[114:115]
	;; [unrolled: 1-line block ×8, first 2 shown]
	v_fma_f64 v[127:128], -v[104:105], v[59:60], v[127:128]
	v_fma_f64 v[114:115], v[102:103], v[59:60], v[114:115]
	v_fma_f64 v[118:119], -v[73:74], v[59:60], v[118:119]
	v_fma_f64 v[116:117], v[71:72], v[59:60], v[116:117]
	;; [unrolled: 2-line block ×4, first 2 shown]
	global_load_dwordx4 v[21:24], v[129:130], off offset:32
	v_lshlrev_b64 v[57:58], 4, v[131:132]
	s_clause 0x2
	global_load_dwordx4 v[102:105], v[69:70], off offset:80
	global_load_dwordx4 v[71:74], v[69:70], off offset:64
	global_load_dwordx4 v[33:36], v[69:70], off offset:176
	v_add_co_u32 v131, vcc_lo, s6, v57
	v_add_co_ci_u32_e64 v132, null, s7, v58, vcc_lo
	global_load_dwordx4 v[57:60], v[69:70], off offset:160
	v_cmp_ge_i32_e32 vcc_lo, v94, v124
	s_waitcnt vmcnt(5)
	v_fma_f64 v[127:128], v[79:80], v[106:107], v[127:128]
	v_fma_f64 v[114:115], v[81:82], v[106:107], v[114:115]
	;; [unrolled: 1-line block ×8, first 2 shown]
	s_or_b32 s8, vcc_lo, s8
	v_fma_f64 v[127:128], -v[81:82], v[108:109], v[127:128]
	v_fma_f64 v[114:115], v[79:80], v[108:109], v[114:115]
	global_load_dwordx4 v[79:82], v[129:130], off offset:48
	v_fma_f64 v[118:119], -v[85:86], v[108:109], v[118:119]
	v_fma_f64 v[116:117], v[83:84], v[108:109], v[116:117]
	global_load_dwordx4 v[83:86], v[131:132], off
	v_fma_f64 v[122:123], -v[51:52], v[108:109], v[122:123]
	v_fma_f64 v[120:121], v[49:50], v[108:109], v[120:121]
	global_load_dwordx4 v[49:52], v[69:70], off offset:144
	v_fma_f64 v[91:92], -v[43:44], v[108:109], v[91:92]
	v_fma_f64 v[125:126], v[41:42], v[108:109], v[106:107]
	global_load_dwordx4 v[41:44], v[69:70], off offset:128
	global_load_dwordx4 v[106:109], v[131:132], off offset:16
	s_waitcnt vmcnt(9)
	v_fma_f64 v[114:115], v[31:32], v[21:22], v[114:115]
	v_fma_f64 v[127:128], v[29:30], v[21:22], v[127:128]
	;; [unrolled: 1-line block ×8, first 2 shown]
	v_fma_f64 v[127:128], -v[31:32], v[23:24], v[127:128]
	global_load_dwordx4 v[29:32], v[69:70], off offset:208
	v_fma_f64 v[133:134], v[17:18], v[23:24], v[116:117]
	v_fma_f64 v[21:22], v[15:16], v[21:22], v[125:126]
	v_fma_f64 v[122:123], -v[77:78], v[23:24], v[122:123]
	v_fma_f64 v[120:121], v[75:76], v[23:24], v[120:121]
	v_fma_f64 v[91:92], -v[15:16], v[23:24], v[91:92]
	v_fma_f64 v[118:119], -v[19:20], v[23:24], v[114:115]
	s_clause 0x1
	global_load_dwordx4 v[17:20], v[131:132], off offset:48
	global_load_dwordx4 v[114:117], v[131:132], off offset:32
	;; [unrolled: 1-line block ×3, first 2 shown]
	v_fma_f64 v[125:126], v[13:14], v[23:24], v[21:22]
	s_clause 0x1
	global_load_dwordx4 v[13:16], v[69:70], off offset:224
	global_load_dwordx4 v[21:24], v[69:70], off offset:240
	s_waitcnt vmcnt(10)
	v_fma_f64 v[69:70], v[98:99], v[79:80], v[127:128]
	v_fma_f64 v[127:128], v[100:101], v[79:80], v[129:130]
	v_fma_f64 v[129:130], v[63:64], v[79:80], v[133:134]
	v_fma_f64 v[122:123], v[25:26], v[79:80], v[122:123]
	v_fma_f64 v[120:121], v[27:28], v[79:80], v[120:121]
	v_fma_f64 v[91:92], v[45:46], v[79:80], v[91:92]
	v_fma_f64 v[118:119], v[61:62], v[79:80], v[118:119]
	v_fma_f64 v[79:80], v[47:48], v[79:80], v[125:126]
	v_fma_f64 v[69:70], -v[100:101], v[81:82], v[69:70]
	v_fma_f64 v[98:99], v[98:99], v[81:82], v[127:128]
	v_fma_f64 v[61:62], v[61:62], v[81:82], v[129:130]
	v_fma_f64 v[27:28], -v[27:28], v[81:82], v[122:123]
	v_fma_f64 v[25:26], v[25:26], v[81:82], v[120:121]
	v_fma_f64 v[47:48], -v[47:48], v[81:82], v[91:92]
	v_fma_f64 v[63:64], -v[63:64], v[81:82], v[118:119]
	v_fma_f64 v[45:46], v[45:46], v[81:82], v[79:80]
	s_waitcnt vmcnt(9)
	v_fma_f64 v[69:70], v[9:10], v[83:84], v[69:70]
	v_fma_f64 v[79:80], v[11:12], v[83:84], v[98:99]
	v_fma_f64 v[61:62], v[112:113], v[83:84], v[61:62]
	v_fma_f64 v[27:28], v[87:88], v[83:84], v[27:28]
	v_fma_f64 v[25:26], v[89:90], v[83:84], v[25:26]
	v_fma_f64 v[47:48], v[37:38], v[83:84], v[47:48]
	v_fma_f64 v[63:64], v[110:111], v[83:84], v[63:64]
	v_fma_f64 v[45:46], v[39:40], v[83:84], v[45:46]
	v_fma_f64 v[11:12], -v[11:12], v[85:86], v[69:70]
	v_fma_f64 v[9:10], v[9:10], v[85:86], v[79:80]
	v_fma_f64 v[61:62], v[110:111], v[85:86], v[61:62]
	v_fma_f64 v[27:28], -v[89:90], v[85:86], v[27:28]
	v_fma_f64 v[25:26], v[87:88], v[85:86], v[25:26]
	v_fma_f64 v[39:40], -v[39:40], v[85:86], v[47:48]
	v_fma_f64 v[63:64], -v[112:113], v[85:86], v[63:64]
	v_fma_f64 v[37:38], v[37:38], v[85:86], v[45:46]
	;; [unrolled: 17-line block ×3, first 2 shown]
	s_waitcnt vmcnt(3)
	v_fma_f64 v[11:12], v[41:42], v[114:115], v[11:12]
	v_fma_f64 v[9:10], v[43:44], v[114:115], v[9:10]
	;; [unrolled: 1-line block ×8, first 2 shown]
	v_fma_f64 v[11:12], -v[43:44], v[116:117], v[11:12]
	v_fma_f64 v[9:10], v[41:42], v[116:117], v[9:10]
	v_fma_f64 v[41:42], -v[51:52], v[116:117], v[45:46]
	v_fma_f64 v[43:44], v[49:50], v[116:117], v[47:48]
	;; [unrolled: 2-line block ×4, first 2 shown]
	s_waitcnt vmcnt(2)
	v_fma_f64 v[11:12], v[75:76], v[17:18], v[11:12]
	v_fma_f64 v[9:10], v[77:78], v[17:18], v[9:10]
	;; [unrolled: 1-line block ×4, first 2 shown]
	s_waitcnt vmcnt(1)
	v_fma_f64 v[27:28], v[13:14], v[17:18], v[27:28]
	v_fma_f64 v[25:26], v[15:16], v[17:18], v[25:26]
	s_waitcnt vmcnt(0)
	v_fma_f64 v[35:36], v[21:22], v[17:18], v[35:36]
	v_fma_f64 v[17:18], v[23:24], v[17:18], v[33:34]
	v_fma_f64 v[110:111], -v[77:78], v[19:20], v[11:12]
	v_fma_f64 v[102:103], v[75:76], v[19:20], v[9:10]
	v_fma_f64 v[112:113], -v[31:32], v[19:20], v[37:38]
	;; [unrolled: 2-line block ×4, first 2 shown]
	v_fma_f64 v[98:99], v[21:22], v[19:20], v[17:18]
	s_andn2_b32 exec_lo, exec_lo, s8
	s_cbranch_execnz .LBB16_31
; %bb.32:
	s_or_b32 exec_lo, exec_lo, s8
.LBB16_33:
	s_or_b32 exec_lo, exec_lo, s3
.LBB16_34:
	s_or_b32 exec_lo, exec_lo, s1
.LBB16_35:
	v_mbcnt_lo_u32_b32 v41, -1, 0
	v_xor_b32_e32 v9, 4, v41
	v_xor_b32_e32 v25, 2, v41
	v_cmp_gt_i32_e32 vcc_lo, 32, v9
	v_cndmask_b32_e32 v9, v41, v9, vcc_lo
	v_cmp_gt_i32_e32 vcc_lo, 32, v25
	v_lshlrev_b32_e32 v24, 2, v9
	v_cndmask_b32_e32 v27, v41, v25, vcc_lo
	ds_bpermute_b32 v9, v24, v110
	ds_bpermute_b32 v10, v24, v111
	;; [unrolled: 1-line block ×16, first 2 shown]
	v_lshlrev_b32_e32 v40, 2, v27
	s_waitcnt lgkmcnt(14)
	v_add_f64 v[9:10], v[110:111], v[9:10]
	s_waitcnt lgkmcnt(12)
	v_add_f64 v[11:12], v[102:103], v[11:12]
	;; [unrolled: 2-line block ×8, first 2 shown]
	ds_bpermute_b32 v23, v40, v9
	ds_bpermute_b32 v24, v40, v10
	;; [unrolled: 1-line block ×16, first 2 shown]
	s_waitcnt lgkmcnt(14)
	v_add_f64 v[9:10], v[9:10], v[23:24]
	s_waitcnt lgkmcnt(12)
	v_add_f64 v[27:28], v[11:12], v[27:28]
	;; [unrolled: 2-line block ×3, first 2 shown]
	v_xor_b32_e32 v29, 1, v41
	s_waitcnt lgkmcnt(8)
	v_add_f64 v[23:24], v[15:16], v[31:32]
	s_waitcnt lgkmcnt(6)
	v_add_f64 v[13:14], v[17:18], v[33:34]
	;; [unrolled: 2-line block ×3, first 2 shown]
	v_cmp_gt_i32_e32 vcc_lo, 32, v29
	s_waitcnt lgkmcnt(2)
	v_add_f64 v[15:16], v[21:22], v[37:38]
	s_waitcnt lgkmcnt(0)
	v_add_f64 v[19:20], v[25:26], v[39:40]
	v_cndmask_b32_e32 v29, v41, v29, vcc_lo
	v_cmp_eq_u32_e32 vcc_lo, 7, v0
	v_lshlrev_b32_e32 v34, 2, v29
	ds_bpermute_b32 v21, v34, v9
	ds_bpermute_b32 v22, v34, v10
	;; [unrolled: 1-line block ×16, first 2 shown]
	s_and_b32 exec_lo, exec_lo, vcc_lo
	s_cbranch_execz .LBB16_8
; %bb.36:
	s_waitcnt lgkmcnt(12)
	v_add_f64 v[27:28], v[27:28], v[39:40]
	s_waitcnt lgkmcnt(8)
	v_add_f64 v[23:24], v[23:24], v[37:38]
	;; [unrolled: 2-line block ×4, first 2 shown]
	v_add_f64 v[9:10], v[9:10], v[21:22]
	v_add_f64 v[11:12], v[11:12], v[25:26]
	;; [unrolled: 1-line block ×4, first 2 shown]
	v_cmp_eq_f64_e32 vcc_lo, 0, v[1:2]
	v_cmp_eq_f64_e64 s0, 0, v[3:4]
	s_load_dwordx2 s[2:3], s[4:5], 0x60
	v_mul_f64 v[13:14], v[27:28], -v[7:8]
	v_mul_f64 v[15:16], v[5:6], v[27:28]
	v_mul_f64 v[27:28], v[23:24], -v[7:8]
	v_mul_f64 v[23:24], v[5:6], v[23:24]
	;; [unrolled: 2-line block ×4, first 2 shown]
	s_and_b32 s0, vcc_lo, s0
	v_fma_f64 v[17:18], v[5:6], v[9:10], v[13:14]
	v_fma_f64 v[19:20], v[7:8], v[9:10], v[15:16]
	v_fma_f64 v[13:14], v[5:6], v[11:12], v[27:28]
	v_fma_f64 v[15:16], v[7:8], v[11:12], v[23:24]
	v_fma_f64 v[9:10], v[5:6], v[21:22], v[29:30]
	v_fma_f64 v[11:12], v[7:8], v[21:22], v[31:32]
	v_fma_f64 v[5:6], v[5:6], v[25:26], v[33:34]
	v_fma_f64 v[7:8], v[7:8], v[25:26], v[35:36]
	v_lshlrev_b32_e32 v21, 2, v93
	s_and_saveexec_b32 s1, s0
	s_xor_b32 s0, exec_lo, s1
	s_cbranch_execz .LBB16_38
; %bb.37:
	v_ashrrev_i32_e32 v22, 31, v21
	v_lshlrev_b64 v[0:1], 4, v[21:22]
                                        ; implicit-def: $vgpr21
	s_waitcnt lgkmcnt(0)
	v_add_co_u32 v0, vcc_lo, s2, v0
	v_add_co_ci_u32_e64 v1, null, s3, v1, vcc_lo
	global_store_dwordx4 v[0:1], v[17:20], off
	global_store_dwordx4 v[0:1], v[13:16], off offset:16
	global_store_dwordx4 v[0:1], v[9:12], off offset:32
	;; [unrolled: 1-line block ×3, first 2 shown]
                                        ; implicit-def: $vgpr3_vgpr4
                                        ; implicit-def: $vgpr17_vgpr18
                                        ; implicit-def: $vgpr13_vgpr14
                                        ; implicit-def: $vgpr9_vgpr10
                                        ; implicit-def: $vgpr5_vgpr6
.LBB16_38:
	s_andn2_saveexec_b32 s0, s0
	s_cbranch_execz .LBB16_8
; %bb.39:
	v_ashrrev_i32_e32 v22, 31, v21
	v_lshlrev_b64 v[21:22], 4, v[21:22]
	s_waitcnt lgkmcnt(0)
	v_add_co_u32 v37, vcc_lo, s2, v21
	v_add_co_ci_u32_e64 v38, null, s3, v22, vcc_lo
	s_clause 0x3
	global_load_dwordx4 v[21:24], v[37:38], off
	global_load_dwordx4 v[25:28], v[37:38], off offset:16
	global_load_dwordx4 v[29:32], v[37:38], off offset:32
	;; [unrolled: 1-line block ×3, first 2 shown]
	s_waitcnt vmcnt(3)
	v_fma_f64 v[17:18], v[1:2], v[21:22], v[17:18]
	v_fma_f64 v[19:20], v[3:4], v[21:22], v[19:20]
	s_waitcnt vmcnt(2)
	v_fma_f64 v[13:14], v[1:2], v[25:26], v[13:14]
	v_fma_f64 v[15:16], v[3:4], v[25:26], v[15:16]
	;; [unrolled: 3-line block ×4, first 2 shown]
	v_fma_f64 v[5:6], -v[3:4], v[23:24], v[17:18]
	v_fma_f64 v[7:8], v[1:2], v[23:24], v[19:20]
	v_fma_f64 v[9:10], -v[3:4], v[27:28], v[13:14]
	v_fma_f64 v[11:12], v[1:2], v[27:28], v[15:16]
	;; [unrolled: 2-line block ×4, first 2 shown]
	global_store_dwordx4 v[37:38], v[5:8], off
	global_store_dwordx4 v[37:38], v[9:12], off offset:16
	global_store_dwordx4 v[37:38], v[13:16], off offset:32
	;; [unrolled: 1-line block ×3, first 2 shown]
	s_endpgm
	.section	.rodata,"a",@progbits
	.p2align	6, 0x0
	.amdhsa_kernel _ZN9rocsparseL18bsrxmvn_4x4_kernelILj128ELj8E21rocsparse_complex_numIdEiiS2_S2_S2_EEvT3_20rocsparse_direction_NS_24const_host_device_scalarIT1_EES3_PKS3_PKT2_SC_S9_PKT4_PKT5_S7_PT6_21rocsparse_index_base_b
		.amdhsa_group_segment_fixed_size 0
		.amdhsa_private_segment_fixed_size 0
		.amdhsa_kernarg_size 112
		.amdhsa_user_sgpr_count 6
		.amdhsa_user_sgpr_private_segment_buffer 1
		.amdhsa_user_sgpr_dispatch_ptr 0
		.amdhsa_user_sgpr_queue_ptr 0
		.amdhsa_user_sgpr_kernarg_segment_ptr 1
		.amdhsa_user_sgpr_dispatch_id 0
		.amdhsa_user_sgpr_flat_scratch_init 0
		.amdhsa_user_sgpr_private_segment_size 0
		.amdhsa_wavefront_size32 1
		.amdhsa_uses_dynamic_stack 0
		.amdhsa_system_sgpr_private_segment_wavefront_offset 0
		.amdhsa_system_sgpr_workgroup_id_x 1
		.amdhsa_system_sgpr_workgroup_id_y 0
		.amdhsa_system_sgpr_workgroup_id_z 0
		.amdhsa_system_sgpr_workgroup_info 0
		.amdhsa_system_vgpr_workitem_id 0
		.amdhsa_next_free_vgpr 162
		.amdhsa_next_free_sgpr 16
		.amdhsa_reserve_vcc 1
		.amdhsa_reserve_flat_scratch 0
		.amdhsa_float_round_mode_32 0
		.amdhsa_float_round_mode_16_64 0
		.amdhsa_float_denorm_mode_32 3
		.amdhsa_float_denorm_mode_16_64 3
		.amdhsa_dx10_clamp 1
		.amdhsa_ieee_mode 1
		.amdhsa_fp16_overflow 0
		.amdhsa_workgroup_processor_mode 1
		.amdhsa_memory_ordered 1
		.amdhsa_forward_progress 1
		.amdhsa_shared_vgpr_count 0
		.amdhsa_exception_fp_ieee_invalid_op 0
		.amdhsa_exception_fp_denorm_src 0
		.amdhsa_exception_fp_ieee_div_zero 0
		.amdhsa_exception_fp_ieee_overflow 0
		.amdhsa_exception_fp_ieee_underflow 0
		.amdhsa_exception_fp_ieee_inexact 0
		.amdhsa_exception_int_div_zero 0
	.end_amdhsa_kernel
	.section	.text._ZN9rocsparseL18bsrxmvn_4x4_kernelILj128ELj8E21rocsparse_complex_numIdEiiS2_S2_S2_EEvT3_20rocsparse_direction_NS_24const_host_device_scalarIT1_EES3_PKS3_PKT2_SC_S9_PKT4_PKT5_S7_PT6_21rocsparse_index_base_b,"axG",@progbits,_ZN9rocsparseL18bsrxmvn_4x4_kernelILj128ELj8E21rocsparse_complex_numIdEiiS2_S2_S2_EEvT3_20rocsparse_direction_NS_24const_host_device_scalarIT1_EES3_PKS3_PKT2_SC_S9_PKT4_PKT5_S7_PT6_21rocsparse_index_base_b,comdat
.Lfunc_end16:
	.size	_ZN9rocsparseL18bsrxmvn_4x4_kernelILj128ELj8E21rocsparse_complex_numIdEiiS2_S2_S2_EEvT3_20rocsparse_direction_NS_24const_host_device_scalarIT1_EES3_PKS3_PKT2_SC_S9_PKT4_PKT5_S7_PT6_21rocsparse_index_base_b, .Lfunc_end16-_ZN9rocsparseL18bsrxmvn_4x4_kernelILj128ELj8E21rocsparse_complex_numIdEiiS2_S2_S2_EEvT3_20rocsparse_direction_NS_24const_host_device_scalarIT1_EES3_PKS3_PKT2_SC_S9_PKT4_PKT5_S7_PT6_21rocsparse_index_base_b
                                        ; -- End function
	.set _ZN9rocsparseL18bsrxmvn_4x4_kernelILj128ELj8E21rocsparse_complex_numIdEiiS2_S2_S2_EEvT3_20rocsparse_direction_NS_24const_host_device_scalarIT1_EES3_PKS3_PKT2_SC_S9_PKT4_PKT5_S7_PT6_21rocsparse_index_base_b.num_vgpr, 162
	.set _ZN9rocsparseL18bsrxmvn_4x4_kernelILj128ELj8E21rocsparse_complex_numIdEiiS2_S2_S2_EEvT3_20rocsparse_direction_NS_24const_host_device_scalarIT1_EES3_PKS3_PKT2_SC_S9_PKT4_PKT5_S7_PT6_21rocsparse_index_base_b.num_agpr, 0
	.set _ZN9rocsparseL18bsrxmvn_4x4_kernelILj128ELj8E21rocsparse_complex_numIdEiiS2_S2_S2_EEvT3_20rocsparse_direction_NS_24const_host_device_scalarIT1_EES3_PKS3_PKT2_SC_S9_PKT4_PKT5_S7_PT6_21rocsparse_index_base_b.numbered_sgpr, 16
	.set _ZN9rocsparseL18bsrxmvn_4x4_kernelILj128ELj8E21rocsparse_complex_numIdEiiS2_S2_S2_EEvT3_20rocsparse_direction_NS_24const_host_device_scalarIT1_EES3_PKS3_PKT2_SC_S9_PKT4_PKT5_S7_PT6_21rocsparse_index_base_b.num_named_barrier, 0
	.set _ZN9rocsparseL18bsrxmvn_4x4_kernelILj128ELj8E21rocsparse_complex_numIdEiiS2_S2_S2_EEvT3_20rocsparse_direction_NS_24const_host_device_scalarIT1_EES3_PKS3_PKT2_SC_S9_PKT4_PKT5_S7_PT6_21rocsparse_index_base_b.private_seg_size, 0
	.set _ZN9rocsparseL18bsrxmvn_4x4_kernelILj128ELj8E21rocsparse_complex_numIdEiiS2_S2_S2_EEvT3_20rocsparse_direction_NS_24const_host_device_scalarIT1_EES3_PKS3_PKT2_SC_S9_PKT4_PKT5_S7_PT6_21rocsparse_index_base_b.uses_vcc, 1
	.set _ZN9rocsparseL18bsrxmvn_4x4_kernelILj128ELj8E21rocsparse_complex_numIdEiiS2_S2_S2_EEvT3_20rocsparse_direction_NS_24const_host_device_scalarIT1_EES3_PKS3_PKT2_SC_S9_PKT4_PKT5_S7_PT6_21rocsparse_index_base_b.uses_flat_scratch, 0
	.set _ZN9rocsparseL18bsrxmvn_4x4_kernelILj128ELj8E21rocsparse_complex_numIdEiiS2_S2_S2_EEvT3_20rocsparse_direction_NS_24const_host_device_scalarIT1_EES3_PKS3_PKT2_SC_S9_PKT4_PKT5_S7_PT6_21rocsparse_index_base_b.has_dyn_sized_stack, 0
	.set _ZN9rocsparseL18bsrxmvn_4x4_kernelILj128ELj8E21rocsparse_complex_numIdEiiS2_S2_S2_EEvT3_20rocsparse_direction_NS_24const_host_device_scalarIT1_EES3_PKS3_PKT2_SC_S9_PKT4_PKT5_S7_PT6_21rocsparse_index_base_b.has_recursion, 0
	.set _ZN9rocsparseL18bsrxmvn_4x4_kernelILj128ELj8E21rocsparse_complex_numIdEiiS2_S2_S2_EEvT3_20rocsparse_direction_NS_24const_host_device_scalarIT1_EES3_PKS3_PKT2_SC_S9_PKT4_PKT5_S7_PT6_21rocsparse_index_base_b.has_indirect_call, 0
	.section	.AMDGPU.csdata,"",@progbits
; Kernel info:
; codeLenInByte = 10356
; TotalNumSgprs: 18
; NumVgprs: 162
; ScratchSize: 0
; MemoryBound: 1
; FloatMode: 240
; IeeeMode: 1
; LDSByteSize: 0 bytes/workgroup (compile time only)
; SGPRBlocks: 0
; VGPRBlocks: 20
; NumSGPRsForWavesPerEU: 18
; NumVGPRsForWavesPerEU: 162
; Occupancy: 5
; WaveLimiterHint : 1
; COMPUTE_PGM_RSRC2:SCRATCH_EN: 0
; COMPUTE_PGM_RSRC2:USER_SGPR: 6
; COMPUTE_PGM_RSRC2:TRAP_HANDLER: 0
; COMPUTE_PGM_RSRC2:TGID_X_EN: 1
; COMPUTE_PGM_RSRC2:TGID_Y_EN: 0
; COMPUTE_PGM_RSRC2:TGID_Z_EN: 0
; COMPUTE_PGM_RSRC2:TIDIG_COMP_CNT: 0
	.section	.text._ZN9rocsparseL18bsrxmvn_4x4_kernelILj128ELj16E21rocsparse_complex_numIdEiiS2_S2_S2_EEvT3_20rocsparse_direction_NS_24const_host_device_scalarIT1_EES3_PKS3_PKT2_SC_S9_PKT4_PKT5_S7_PT6_21rocsparse_index_base_b,"axG",@progbits,_ZN9rocsparseL18bsrxmvn_4x4_kernelILj128ELj16E21rocsparse_complex_numIdEiiS2_S2_S2_EEvT3_20rocsparse_direction_NS_24const_host_device_scalarIT1_EES3_PKS3_PKT2_SC_S9_PKT4_PKT5_S7_PT6_21rocsparse_index_base_b,comdat
	.globl	_ZN9rocsparseL18bsrxmvn_4x4_kernelILj128ELj16E21rocsparse_complex_numIdEiiS2_S2_S2_EEvT3_20rocsparse_direction_NS_24const_host_device_scalarIT1_EES3_PKS3_PKT2_SC_S9_PKT4_PKT5_S7_PT6_21rocsparse_index_base_b ; -- Begin function _ZN9rocsparseL18bsrxmvn_4x4_kernelILj128ELj16E21rocsparse_complex_numIdEiiS2_S2_S2_EEvT3_20rocsparse_direction_NS_24const_host_device_scalarIT1_EES3_PKS3_PKT2_SC_S9_PKT4_PKT5_S7_PT6_21rocsparse_index_base_b
	.p2align	8
	.type	_ZN9rocsparseL18bsrxmvn_4x4_kernelILj128ELj16E21rocsparse_complex_numIdEiiS2_S2_S2_EEvT3_20rocsparse_direction_NS_24const_host_device_scalarIT1_EES3_PKS3_PKT2_SC_S9_PKT4_PKT5_S7_PT6_21rocsparse_index_base_b,@function
_ZN9rocsparseL18bsrxmvn_4x4_kernelILj128ELj16E21rocsparse_complex_numIdEiiS2_S2_S2_EEvT3_20rocsparse_direction_NS_24const_host_device_scalarIT1_EES3_PKS3_PKT2_SC_S9_PKT4_PKT5_S7_PT6_21rocsparse_index_base_b: ; @_ZN9rocsparseL18bsrxmvn_4x4_kernelILj128ELj16E21rocsparse_complex_numIdEiiS2_S2_S2_EEvT3_20rocsparse_direction_NS_24const_host_device_scalarIT1_EES3_PKS3_PKT2_SC_S9_PKT4_PKT5_S7_PT6_21rocsparse_index_base_b
; %bb.0:
	s_clause 0x1
	s_load_dwordx2 s[2:3], s[4:5], 0x68
	s_load_dwordx2 s[0:1], s[4:5], 0x8
	s_add_u32 s7, s4, 8
	s_addc_u32 s10, s5, 0
	s_add_u32 s11, s4, 0x50
	s_addc_u32 s12, s5, 0
	s_load_dwordx2 s[8:9], s[4:5], 0x50
	s_waitcnt lgkmcnt(0)
	s_bitcmp1_b32 s3, 0
	s_cselect_b32 s0, s7, s0
	s_cselect_b32 s1, s10, s1
	v_mov_b32_e32 v1, s0
	v_mov_b32_e32 v2, s1
	s_cselect_b32 s0, s11, s8
	s_cselect_b32 s1, s12, s9
	flat_load_dwordx4 v[5:8], v[1:2]
	v_mov_b32_e32 v1, s0
	v_mov_b32_e32 v2, s1
	flat_load_dwordx4 v[1:4], v[1:2]
	s_waitcnt vmcnt(1) lgkmcnt(1)
	v_cmp_eq_f64_e32 vcc_lo, 0, v[5:6]
	v_cmp_eq_f64_e64 s0, 0, v[7:8]
	s_and_b32 s3, vcc_lo, s0
	s_mov_b32 s0, -1
	s_and_saveexec_b32 s1, s3
	s_cbranch_execz .LBB17_2
; %bb.1:
	s_waitcnt vmcnt(0) lgkmcnt(0)
	v_cmp_neq_f64_e32 vcc_lo, 1.0, v[1:2]
	v_cmp_neq_f64_e64 s0, 0, v[3:4]
	s_or_b32 s0, vcc_lo, s0
	s_orn2_b32 s0, s0, exec_lo
.LBB17_2:
	s_or_b32 exec_lo, exec_lo, s1
	s_and_saveexec_b32 s1, s0
	s_cbranch_execz .LBB17_8
; %bb.3:
	s_clause 0x1
	s_load_dwordx2 s[8:9], s[4:5], 0x20
	s_load_dwordx2 s[0:1], s[4:5], 0x0
	v_lshrrev_b32_e32 v9, 4, v0
	v_lshl_or_b32 v93, s6, 3, v9
	s_waitcnt lgkmcnt(0)
	s_cmp_lg_u64 s[8:9], 0
	s_cbranch_scc0 .LBB17_9
; %bb.4:
	s_load_dword s3, s[4:5], 0x18
	s_mov_b32 s6, 0
                                        ; implicit-def: $vgpr9
	s_waitcnt lgkmcnt(0)
	v_cmp_gt_i32_e32 vcc_lo, s3, v93
	s_mov_b32 s3, 0
	s_and_saveexec_b32 s7, vcc_lo
	s_xor_b32 s7, exec_lo, s7
	s_cbranch_execz .LBB17_6
; %bb.5:
	v_ashrrev_i32_e32 v94, 31, v93
	s_mov_b32 s3, exec_lo
	v_lshlrev_b64 v[9:10], 2, v[93:94]
	v_add_co_u32 v9, vcc_lo, s8, v9
	v_add_co_ci_u32_e64 v10, null, s9, v10, vcc_lo
	global_load_dword v9, v[9:10], off
	s_waitcnt vmcnt(0)
	v_subrev_nc_u32_e32 v9, s2, v9
.LBB17_6:
	s_or_b32 exec_lo, exec_lo, s7
	s_and_b32 vcc_lo, exec_lo, s6
	s_cbranch_vccz .LBB17_10
.LBB17_7:
	v_cmp_gt_i32_e32 vcc_lo, s0, v93
	s_andn2_b32 s0, s3, exec_lo
	s_and_b32 s3, vcc_lo, exec_lo
	s_or_b32 s3, s0, s3
	s_and_b32 exec_lo, exec_lo, s3
	s_cbranch_execnz .LBB17_11
.LBB17_8:
	s_endpgm
.LBB17_9:
	s_mov_b32 s3, 0
                                        ; implicit-def: $vgpr9
	s_cbranch_execnz .LBB17_7
.LBB17_10:
	v_mov_b32_e32 v93, v9
	s_and_b32 exec_lo, exec_lo, s3
	s_cbranch_execz .LBB17_8
.LBB17_11:
	s_load_dwordx8 s[8:15], s[4:5], 0x28
	v_ashrrev_i32_e32 v94, 31, v93
	v_and_b32_e32 v0, 15, v0
	s_load_dwordx2 s[6:7], s[4:5], 0x48
	v_lshlrev_b64 v[9:10], 2, v[93:94]
	s_waitcnt lgkmcnt(0)
	v_add_co_u32 v11, vcc_lo, s8, v9
	v_add_co_ci_u32_e64 v12, null, s9, v10, vcc_lo
	v_add_co_u32 v9, vcc_lo, s10, v9
	v_add_co_ci_u32_e64 v10, null, s11, v10, vcc_lo
	global_load_dword v125, v[11:12], off
	v_add_co_u32 v11, vcc_lo, v11, 4
	v_add_co_ci_u32_e64 v12, null, 0, v12, vcc_lo
	s_cmp_eq_u64 s[10:11], 0
	s_cselect_b32 vcc_lo, -1, 0
	s_cmp_eq_u32 s1, 1
	v_cndmask_b32_e32 v10, v10, v12, vcc_lo
	v_cndmask_b32_e32 v9, v9, v11, vcc_lo
	global_load_dword v11, v[9:10], off
	s_waitcnt vmcnt(1)
	v_subrev_nc_u32_e32 v9, s2, v125
	v_add_nc_u32_e32 v94, v9, v0
	v_ashrrev_i32_e32 v95, 31, v94
	s_waitcnt vmcnt(0)
	v_subrev_nc_u32_e32 v124, s2, v11
	v_lshlrev_b64 v[9:10], 8, v[94:95]
	v_cmp_lt_i32_e64 s0, v94, v124
	v_add_co_u32 v96, vcc_lo, s14, v9
	v_add_co_ci_u32_e64 v97, null, s15, v10, vcc_lo
	s_cbranch_scc1 .LBB17_23
; %bb.12:
	v_mov_b32_e32 v102, 0
	v_mov_b32_e32 v110, 0
	;; [unrolled: 1-line block ×16, first 2 shown]
	s_and_saveexec_b32 s3, s0
	s_cbranch_execz .LBB17_22
; %bb.13:
	v_add_nc_u32_e32 v9, v125, v0
	v_not_b32_e32 v10, v125
	v_mov_b32_e32 v108, 0
	v_mov_b32_e32 v112, 0
	v_mov_b32_e32 v106, 0
	v_subrev_nc_u32_e32 v9, s2, v9
	v_mov_b32_e32 v104, 0
	v_mov_b32_e32 v98, 0
	;; [unrolled: 1-line block ×4, first 2 shown]
	v_add_nc_u32_e32 v9, 16, v9
	v_mov_b32_e32 v102, 0
	v_mov_b32_e32 v117, v97
	v_mov_b32_e32 v109, 0
	v_mov_b32_e32 v113, 0
	v_max_i32_e32 v9, v9, v124
	v_mov_b32_e32 v107, 0
	v_mov_b32_e32 v105, 0
	;; [unrolled: 1-line block ×4, first 2 shown]
	v_add3_u32 v9, s2, v9, v10
	v_mov_b32_e32 v111, 0
	v_mov_b32_e32 v103, 0
	;; [unrolled: 1-line block ×4, first 2 shown]
	v_sub_nc_u32_e32 v9, v9, v0
	s_mov_b32 s1, exec_lo
	v_and_b32_e32 v10, 48, v9
	v_cmpx_ne_u32_e32 48, v10
	s_cbranch_execz .LBB17_17
; %bb.14:
	v_lshrrev_b32_e32 v10, 4, v9
	v_mov_b32_e32 v102, 0
	v_mov_b32_e32 v110, 0
	v_mov_b32_e32 v100, 0
	v_mov_b32_e32 v98, 0
	v_add_nc_u32_e32 v10, 1, v10
	v_mov_b32_e32 v104, 0
	v_mov_b32_e32 v106, 0
	;; [unrolled: 1-line block ×4, first 2 shown]
	v_and_b32_e32 v10, 3, v10
	v_mov_b32_e32 v117, v97
	v_mov_b32_e32 v103, 0
	;; [unrolled: 1-line block ×10, first 2 shown]
	v_sub_nc_u32_e32 v10, 0, v10
	v_mov_b32_e32 v116, v96
	s_mov_b32 s8, 0
.LBB17_15:                              ; =>This Inner Loop Header: Depth=1
	v_ashrrev_i32_e32 v115, 31, v114
	v_add_co_u32 v10, s9, v10, 1
	s_or_b32 s8, s9, s8
	v_lshlrev_b64 v[11:12], 2, v[114:115]
	v_add_nc_u32_e32 v114, 16, v114
	v_add_co_u32 v11, vcc_lo, s12, v11
	v_add_co_ci_u32_e64 v12, null, s13, v12, vcc_lo
	global_load_dword v43, v[11:12], off
	s_clause 0x7
	global_load_dwordx4 v[11:14], v[116:117], off offset:16
	global_load_dwordx4 v[15:18], v[116:117], off
	global_load_dwordx4 v[19:22], v[116:117], off offset:80
	global_load_dwordx4 v[23:26], v[116:117], off offset:64
	;; [unrolled: 1-line block ×6, first 2 shown]
	s_waitcnt vmcnt(8)
	v_subrev_nc_u32_e32 v43, s2, v43
	v_lshlrev_b32_e32 v43, 2, v43
	v_ashrrev_i32_e32 v44, 31, v43
	v_lshlrev_b64 v[43:44], 4, v[43:44]
	v_add_co_u32 v87, vcc_lo, s6, v43
	v_add_co_ci_u32_e64 v88, null, s7, v44, vcc_lo
	s_clause 0x1
	global_load_dwordx4 v[43:46], v[87:88], off
	global_load_dwordx4 v[47:50], v[87:88], off offset:16
	s_clause 0x7
	global_load_dwordx4 v[51:54], v[116:117], off offset:48
	global_load_dwordx4 v[55:58], v[116:117], off offset:32
	;; [unrolled: 1-line block ×8, first 2 shown]
	s_clause 0x1
	global_load_dwordx4 v[83:86], v[87:88], off offset:32
	global_load_dwordx4 v[87:90], v[87:88], off offset:48
	v_add_co_u32 v116, vcc_lo, 0x1000, v116
	v_add_co_ci_u32_e64 v117, null, 0, v117, vcc_lo
	s_waitcnt vmcnt(11)
	v_fma_f64 v[91:92], v[15:16], v[43:44], v[110:111]
	v_fma_f64 v[102:103], v[17:18], v[43:44], v[102:103]
	v_fma_f64 v[110:111], v[23:24], v[43:44], v[112:113]
	v_fma_f64 v[108:109], v[25:26], v[43:44], v[108:109]
	v_fma_f64 v[104:105], v[31:32], v[43:44], v[104:105]
	v_fma_f64 v[106:107], v[33:34], v[43:44], v[106:107]
	v_fma_f64 v[100:101], v[39:40], v[43:44], v[100:101]
	v_fma_f64 v[43:44], v[41:42], v[43:44], v[98:99]
	v_fma_f64 v[17:18], -v[17:18], v[45:46], v[91:92]
	v_fma_f64 v[15:16], v[15:16], v[45:46], v[102:103]
	v_fma_f64 v[25:26], -v[25:26], v[45:46], v[110:111]
	v_fma_f64 v[23:24], v[23:24], v[45:46], v[108:109]
	v_fma_f64 v[33:34], -v[33:34], v[45:46], v[104:105]
	v_fma_f64 v[31:32], v[31:32], v[45:46], v[106:107]
	v_fma_f64 v[41:42], -v[41:42], v[45:46], v[100:101]
	v_fma_f64 v[39:40], v[39:40], v[45:46], v[43:44]
	s_waitcnt vmcnt(10)
	v_fma_f64 v[17:18], v[11:12], v[47:48], v[17:18]
	v_fma_f64 v[15:16], v[13:14], v[47:48], v[15:16]
	v_fma_f64 v[25:26], v[19:20], v[47:48], v[25:26]
	v_fma_f64 v[23:24], v[21:22], v[47:48], v[23:24]
	v_fma_f64 v[33:34], v[27:28], v[47:48], v[33:34]
	v_fma_f64 v[31:32], v[29:30], v[47:48], v[31:32]
	v_fma_f64 v[41:42], v[35:36], v[47:48], v[41:42]
	v_fma_f64 v[39:40], v[37:38], v[47:48], v[39:40]
	v_fma_f64 v[13:14], -v[13:14], v[49:50], v[17:18]
	v_fma_f64 v[11:12], v[11:12], v[49:50], v[15:16]
	v_fma_f64 v[15:16], -v[21:22], v[49:50], v[25:26]
	v_fma_f64 v[17:18], v[19:20], v[49:50], v[23:24]
	v_fma_f64 v[19:20], -v[29:30], v[49:50], v[33:34]
	v_fma_f64 v[21:22], v[27:28], v[49:50], v[31:32]
	v_fma_f64 v[23:24], -v[37:38], v[49:50], v[41:42]
	v_fma_f64 v[25:26], v[35:36], v[49:50], v[39:40]
	s_waitcnt vmcnt(1)
	v_fma_f64 v[13:14], v[55:56], v[83:84], v[13:14]
	v_fma_f64 v[11:12], v[57:58], v[83:84], v[11:12]
	v_fma_f64 v[15:16], v[63:64], v[83:84], v[15:16]
	v_fma_f64 v[17:18], v[65:66], v[83:84], v[17:18]
	v_fma_f64 v[19:20], v[71:72], v[83:84], v[19:20]
	v_fma_f64 v[21:22], v[73:74], v[83:84], v[21:22]
	v_fma_f64 v[23:24], v[79:80], v[83:84], v[23:24]
	v_fma_f64 v[25:26], v[81:82], v[83:84], v[25:26]
	v_fma_f64 v[13:14], -v[57:58], v[85:86], v[13:14]
	v_fma_f64 v[11:12], v[55:56], v[85:86], v[11:12]
	v_fma_f64 v[15:16], -v[65:66], v[85:86], v[15:16]
	v_fma_f64 v[17:18], v[63:64], v[85:86], v[17:18]
	v_fma_f64 v[19:20], -v[73:74], v[85:86], v[19:20]
	v_fma_f64 v[21:22], v[71:72], v[85:86], v[21:22]
	v_fma_f64 v[23:24], -v[81:82], v[85:86], v[23:24]
	v_fma_f64 v[25:26], v[79:80], v[85:86], v[25:26]
	s_waitcnt vmcnt(0)
	v_fma_f64 v[13:14], v[51:52], v[87:88], v[13:14]
	v_fma_f64 v[11:12], v[53:54], v[87:88], v[11:12]
	v_fma_f64 v[15:16], v[59:60], v[87:88], v[15:16]
	v_fma_f64 v[17:18], v[61:62], v[87:88], v[17:18]
	v_fma_f64 v[19:20], v[67:68], v[87:88], v[19:20]
	v_fma_f64 v[21:22], v[69:70], v[87:88], v[21:22]
	v_fma_f64 v[23:24], v[75:76], v[87:88], v[23:24]
	v_fma_f64 v[25:26], v[77:78], v[87:88], v[25:26]
	v_fma_f64 v[110:111], -v[53:54], v[89:90], v[13:14]
	v_fma_f64 v[102:103], v[51:52], v[89:90], v[11:12]
	v_fma_f64 v[112:113], -v[61:62], v[89:90], v[15:16]
	v_fma_f64 v[108:109], v[59:60], v[89:90], v[17:18]
	v_fma_f64 v[104:105], -v[69:70], v[89:90], v[19:20]
	v_fma_f64 v[106:107], v[67:68], v[89:90], v[21:22]
	v_fma_f64 v[100:101], -v[77:78], v[89:90], v[23:24]
	v_fma_f64 v[98:99], v[75:76], v[89:90], v[25:26]
	s_andn2_b32 exec_lo, exec_lo, s8
	s_cbranch_execnz .LBB17_15
; %bb.16:
	s_or_b32 exec_lo, exec_lo, s8
.LBB17_17:
	s_or_b32 exec_lo, exec_lo, s1
	s_mov_b32 s8, exec_lo
	v_cmpx_lt_u32_e32 47, v9
	s_cbranch_execz .LBB17_21
; %bb.18:
	s_mov_b32 s9, 0
.LBB17_19:                              ; =>This Inner Loop Header: Depth=1
	v_ashrrev_i32_e32 v115, 31, v114
	v_add_co_u32 v118, vcc_lo, 0x1000, v116
	v_add_co_ci_u32_e64 v119, null, 0, v117, vcc_lo
	v_lshlrev_b64 v[142:143], 2, v[114:115]
	v_add_co_u32 v122, vcc_lo, 0x2000, v116
	v_add_co_ci_u32_e64 v123, null, 0, v117, vcc_lo
	v_add_co_u32 v120, vcc_lo, 0x3000, v116
	v_add_co_ci_u32_e64 v121, null, 0, v117, vcc_lo
	;; [unrolled: 2-line block ×3, first 2 shown]
	s_clause 0x18
	global_load_dwordx4 v[9:12], v[116:117], off offset:48
	global_load_dwordx4 v[13:16], v[116:117], off offset:32
	;; [unrolled: 1-line block ×3, first 2 shown]
	global_load_dwordx4 v[25:28], v[116:117], off
	global_load_dwordx4 v[21:24], v[116:117], off offset:112
	global_load_dwordx4 v[29:32], v[116:117], off offset:96
	;; [unrolled: 1-line block ×14, first 2 shown]
	global_load_dwordx4 v[126:129], v[118:119], off
	global_load_dwordx4 v[130:133], v[118:119], off offset:16
	global_load_dwordx4 v[77:80], v[118:119], off offset:112
	;; [unrolled: 1-line block ×6, first 2 shown]
	s_clause 0x3
	global_load_dword v95, v[142:143], off
	global_load_dword v115, v[142:143], off offset:64
	global_load_dword v158, v[142:143], off offset:128
	;; [unrolled: 1-line block ×3, first 2 shown]
	v_add_nc_u32_e32 v114, 64, v114
	v_add_co_u32 v116, s1, 0x4000, v116
	v_add_co_ci_u32_e64 v117, null, 0, v117, s1
	s_waitcnt vmcnt(3)
	v_subrev_nc_u32_e32 v95, s2, v95
	v_lshlrev_b32_e32 v142, 2, v95
	s_waitcnt vmcnt(2)
	v_subrev_nc_u32_e32 v95, s2, v115
	v_ashrrev_i32_e32 v143, 31, v142
	v_lshlrev_b64 v[142:143], 4, v[142:143]
	v_add_co_u32 v150, vcc_lo, s6, v142
	v_add_co_ci_u32_e64 v151, null, s7, v143, vcc_lo
	s_clause 0x1
	global_load_dwordx4 v[142:145], v[150:151], off
	global_load_dwordx4 v[146:149], v[150:151], off offset:16
	s_waitcnt vmcnt(1)
	v_fma_f64 v[102:103], v[27:28], v[142:143], v[102:103]
	v_fma_f64 v[112:113], v[49:50], v[142:143], v[112:113]
	;; [unrolled: 1-line block ×9, first 2 shown]
	v_fma_f64 v[112:113], -v[51:52], v[144:145], v[112:113]
	v_fma_f64 v[110:111], -v[27:28], v[144:145], v[110:111]
	v_fma_f64 v[108:109], v[49:50], v[144:145], v[108:109]
	v_fma_f64 v[104:105], -v[63:64], v[144:145], v[104:105]
	v_fma_f64 v[106:107], v[61:62], v[144:145], v[106:107]
	;; [unrolled: 2-line block ×3, first 2 shown]
	s_clause 0x4
	global_load_dwordx4 v[25:28], v[118:119], off offset:160
	global_load_dwordx4 v[49:52], v[118:119], off offset:144
	;; [unrolled: 1-line block ×5, first 2 shown]
	s_waitcnt vmcnt(5)
	v_fma_f64 v[102:103], v[19:20], v[146:147], v[102:103]
	v_fma_f64 v[110:111], v[17:18], v[146:147], v[110:111]
	;; [unrolled: 1-line block ×5, first 2 shown]
	v_fma_f64 v[110:111], -v[19:20], v[148:149], v[110:111]
	global_load_dwordx4 v[17:20], v[118:119], off offset:208
	v_fma_f64 v[154:155], v[37:38], v[148:149], v[108:109]
	v_fma_f64 v[112:113], -v[39:40], v[148:149], v[102:103]
	v_fma_f64 v[102:103], v[53:54], v[146:147], v[104:105]
	v_fma_f64 v[104:105], v[55:56], v[146:147], v[106:107]
	global_load_dwordx4 v[37:40], v[118:119], off offset:192
	v_fma_f64 v[118:119], -v[55:56], v[148:149], v[102:103]
	v_fma_f64 v[156:157], v[53:54], v[148:149], v[104:105]
	v_fma_f64 v[102:103], v[65:66], v[146:147], v[142:143]
	;; [unrolled: 1-line block ×3, first 2 shown]
	global_load_dwordx4 v[53:56], v[122:123], off
	v_fma_f64 v[142:143], -v[67:68], v[148:149], v[102:103]
	v_fma_f64 v[144:145], v[65:66], v[148:149], v[104:105]
	global_load_dwordx4 v[65:68], v[122:123], off offset:48
	s_clause 0x1
	global_load_dwordx4 v[102:105], v[150:151], off offset:32
	global_load_dwordx4 v[106:109], v[150:151], off offset:48
	s_waitcnt vmcnt(1)
	v_fma_f64 v[150:151], v[43:44], v[102:103], v[156:157]
	v_fma_f64 v[118:119], v[41:42], v[102:103], v[118:119]
	;; [unrolled: 1-line block ×9, first 2 shown]
	v_fma_f64 v[118:119], -v[43:44], v[104:105], v[118:119]
	v_fma_f64 v[110:111], -v[15:16], v[104:105], v[110:111]
	v_fma_f64 v[146:147], v[13:14], v[104:105], v[146:147]
	v_fma_f64 v[112:113], -v[31:32], v[104:105], v[112:113]
	v_fma_f64 v[148:149], v[29:30], v[104:105], v[148:149]
	;; [unrolled: 2-line block ×3, first 2 shown]
	s_clause 0x4
	global_load_dwordx4 v[13:16], v[122:123], off offset:32
	global_load_dwordx4 v[29:32], v[122:123], off offset:16
	;; [unrolled: 1-line block ×5, first 2 shown]
	s_waitcnt vmcnt(5)
	v_fma_f64 v[150:151], v[35:36], v[106:107], v[150:151]
	v_fma_f64 v[118:119], v[33:34], v[106:107], v[118:119]
	;; [unrolled: 1-line block ×7, first 2 shown]
	v_lshlrev_b32_e32 v33, 2, v95
	v_fma_f64 v[118:119], -v[35:36], v[108:109], v[118:119]
	v_fma_f64 v[35:36], v[47:48], v[106:107], v[144:145]
	v_fma_f64 v[110:111], -v[11:12], v[108:109], v[110:111]
	v_fma_f64 v[146:147], v[9:10], v[108:109], v[146:147]
	v_ashrrev_i32_e32 v34, 31, v33
	global_load_dwordx4 v[9:12], v[122:123], off offset:64
	v_fma_f64 v[112:113], -v[23:24], v[108:109], v[112:113]
	v_fma_f64 v[148:149], v[21:22], v[108:109], v[148:149]
	global_load_dwordx4 v[21:24], v[122:123], off offset:176
	v_lshlrev_b64 v[33:34], 4, v[33:34]
	v_subrev_nc_u32_e32 v95, s2, v158
	v_add_co_u32 v152, vcc_lo, s6, v33
	v_add_co_ci_u32_e64 v153, null, s7, v34, vcc_lo
	v_fma_f64 v[33:34], v[45:46], v[106:107], v[142:143]
	v_fma_f64 v[144:145], v[45:46], v[108:109], v[35:36]
	v_fma_f64 v[142:143], -v[47:48], v[108:109], v[33:34]
	s_clause 0x1
	global_load_dwordx4 v[33:36], v[152:153], off
	global_load_dwordx4 v[45:48], v[152:153], off offset:16
	s_waitcnt vmcnt(1)
	v_fma_f64 v[106:107], v[126:127], v[33:34], v[110:111]
	v_fma_f64 v[108:109], v[128:129], v[33:34], v[146:147]
	v_fma_f64 v[110:111], v[138:139], v[33:34], v[112:113]
	v_fma_f64 v[112:113], v[140:141], v[33:34], v[148:149]
	v_fma_f64 v[118:119], v[61:62], v[33:34], v[118:119]
	v_fma_f64 v[146:147], v[63:64], v[33:34], v[150:151]
	v_fma_f64 v[142:143], v[37:38], v[33:34], v[142:143]
	v_fma_f64 v[33:34], v[39:40], v[33:34], v[144:145]
	v_fma_f64 v[128:129], -v[128:129], v[35:36], v[106:107]
	v_fma_f64 v[126:127], v[126:127], v[35:36], v[108:109]
	v_fma_f64 v[140:141], -v[140:141], v[35:36], v[110:111]
	v_fma_f64 v[138:139], v[138:139], v[35:36], v[112:113]
	;; [unrolled: 2-line block ×4, first 2 shown]
	s_clause 0x4
	global_load_dwordx4 v[106:109], v[122:123], off offset:160
	global_load_dwordx4 v[110:113], v[122:123], off offset:144
	;; [unrolled: 1-line block ×5, first 2 shown]
	s_waitcnt vmcnt(5)
	v_fma_f64 v[128:129], v[130:131], v[45:46], v[128:129]
	v_fma_f64 v[126:127], v[132:133], v[45:46], v[126:127]
	;; [unrolled: 1-line block ×5, first 2 shown]
	v_fma_f64 v[148:149], -v[132:133], v[47:48], v[128:129]
	v_fma_f64 v[150:151], v[130:131], v[47:48], v[126:127]
	s_clause 0x1
	global_load_dwordx4 v[126:129], v[122:123], off offset:208
	global_load_dwordx4 v[130:133], v[122:123], off offset:192
	v_fma_f64 v[122:123], v[134:135], v[45:46], v[140:141]
	v_fma_f64 v[140:141], v[51:52], v[45:46], v[146:147]
	;; [unrolled: 1-line block ×4, first 2 shown]
	v_fma_f64 v[118:119], -v[51:52], v[47:48], v[118:119]
	v_fma_f64 v[142:143], -v[19:20], v[47:48], v[142:143]
	;; [unrolled: 1-line block ×3, first 2 shown]
	global_load_dwordx4 v[134:137], v[120:121], off
	v_fma_f64 v[140:141], v[49:50], v[47:48], v[140:141]
	global_load_dwordx4 v[49:52], v[120:121], off offset:48
	v_fma_f64 v[144:145], v[17:18], v[47:48], v[45:46]
	s_clause 0x1
	global_load_dwordx4 v[17:20], v[152:153], off offset:32
	global_load_dwordx4 v[45:48], v[152:153], off offset:48
	s_waitcnt vmcnt(1)
	v_fma_f64 v[146:147], v[81:82], v[17:18], v[148:149]
	v_fma_f64 v[148:149], v[83:84], v[17:18], v[150:151]
	;; [unrolled: 1-line block ×8, first 2 shown]
	v_lshlrev_b32_e32 v150, 2, v95
	v_subrev_nc_u32_e32 v95, s2, v159
	v_ashrrev_i32_e32 v151, 31, v150
	v_lshlrev_b64 v[150:151], 4, v[150:151]
	v_fma_f64 v[146:147], -v[83:84], v[19:20], v[146:147]
	v_fma_f64 v[148:149], v[81:82], v[19:20], v[148:149]
	v_fma_f64 v[122:123], -v[91:92], v[19:20], v[122:123]
	v_fma_f64 v[138:139], v[89:90], v[19:20], v[138:139]
	v_fma_f64 v[118:119], -v[27:28], v[19:20], v[118:119]
	v_fma_f64 v[140:141], v[25:26], v[19:20], v[140:141]
	v_fma_f64 v[142:143], -v[100:101], v[19:20], v[142:143]
	v_fma_f64 v[144:145], v[98:99], v[19:20], v[17:18]
	v_add_co_u32 v150, vcc_lo, s6, v150
	v_add_co_ci_u32_e64 v151, null, s7, v151, vcc_lo
	s_clause 0x4
	global_load_dwordx4 v[81:84], v[120:121], off offset:32
	global_load_dwordx4 v[89:92], v[120:121], off offset:16
	;; [unrolled: 1-line block ×5, first 2 shown]
	s_waitcnt vmcnt(5)
	v_fma_f64 v[146:147], v[73:74], v[45:46], v[146:147]
	v_fma_f64 v[148:149], v[75:76], v[45:46], v[148:149]
	;; [unrolled: 1-line block ×8, first 2 shown]
	v_fma_f64 v[146:147], -v[75:76], v[47:48], v[146:147]
	v_fma_f64 v[148:149], v[73:74], v[47:48], v[148:149]
	global_load_dwordx4 v[73:76], v[120:121], off offset:128
	v_fma_f64 v[122:123], -v[79:80], v[47:48], v[122:123]
	v_fma_f64 v[138:139], v[77:78], v[47:48], v[138:139]
	global_load_dwordx4 v[77:80], v[120:121], off offset:208
	;; [unrolled: 3-line block ×3, first 2 shown]
	v_fma_f64 v[142:143], -v[71:72], v[47:48], v[142:143]
	v_fma_f64 v[144:145], v[69:70], v[47:48], v[45:46]
	s_clause 0x1
	global_load_dwordx4 v[45:48], v[150:151], off
	global_load_dwordx4 v[69:72], v[150:151], off offset:16
	s_waitcnt vmcnt(1)
	v_fma_f64 v[146:147], v[53:54], v[45:46], v[146:147]
	v_fma_f64 v[148:149], v[55:56], v[45:46], v[148:149]
	;; [unrolled: 1-line block ×6, first 2 shown]
	v_fma_f64 v[146:147], -v[55:56], v[47:48], v[146:147]
	v_fma_f64 v[148:149], v[53:54], v[47:48], v[148:149]
	global_load_dwordx4 v[53:56], v[150:151], off offset:32
	v_fma_f64 v[152:153], v[9:10], v[47:48], v[138:139]
	v_fma_f64 v[138:139], v[63:64], v[45:46], v[140:141]
	;; [unrolled: 1-line block ×3, first 2 shown]
	v_fma_f64 v[132:133], -v[132:133], v[47:48], v[142:143]
	v_fma_f64 v[122:123], -v[11:12], v[47:48], v[122:123]
	;; [unrolled: 1-line block ×3, first 2 shown]
	global_load_dwordx4 v[9:12], v[120:121], off offset:96
	s_waitcnt vmcnt(2)
	v_fma_f64 v[144:145], v[29:30], v[69:70], v[146:147]
	v_fma_f64 v[146:147], v[31:32], v[69:70], v[148:149]
	;; [unrolled: 1-line block ×4, first 2 shown]
	global_load_dwordx4 v[138:141], v[150:151], off offset:48
	v_fma_f64 v[130:131], v[130:131], v[47:48], v[45:46]
	v_lshlrev_b32_e32 v45, 2, v95
	v_fma_f64 v[122:123], v[102:103], v[69:70], v[122:123]
	v_fma_f64 v[118:119], v[110:111], v[69:70], v[118:119]
	global_load_dwordx4 v[61:64], v[120:121], off offset:160
	v_ashrrev_i32_e32 v46, 31, v45
	v_lshlrev_b64 v[45:46], 4, v[45:46]
	v_fma_f64 v[144:145], -v[31:32], v[71:72], v[144:145]
	v_add_co_u32 v142, vcc_lo, s6, v45
	v_add_co_ci_u32_e64 v143, null, s7, v46, vcc_lo
	v_fma_f64 v[146:147], v[29:30], v[71:72], v[146:147]
	v_fma_f64 v[150:151], v[112:113], v[69:70], v[154:155]
	;; [unrolled: 1-line block ×3, first 2 shown]
	s_clause 0x1
	global_load_dwordx4 v[45:48], v[142:143], off
	global_load_dwordx4 v[29:32], v[142:143], off offset:16
	v_fma_f64 v[122:123], -v[104:105], v[71:72], v[122:123]
	global_load_dwordx4 v[102:105], v[120:121], off offset:224
	v_fma_f64 v[152:153], -v[112:113], v[71:72], v[118:119]
	v_fma_f64 v[118:119], v[126:127], v[69:70], v[132:133]
	v_fma_f64 v[69:70], v[128:129], v[69:70], v[130:131]
	v_cmp_ge_i32_e32 vcc_lo, v114, v124
	s_or_b32 s9, vcc_lo, s9
	v_fma_f64 v[150:151], v[110:111], v[71:72], v[150:151]
	global_load_dwordx4 v[110:113], v[142:143], off offset:32
	v_fma_f64 v[130:131], -v[128:129], v[71:72], v[118:119]
	v_fma_f64 v[132:133], v[126:127], v[71:72], v[69:70]
	s_clause 0x2
	global_load_dwordx4 v[69:72], v[120:121], off offset:112
	global_load_dwordx4 v[126:129], v[120:121], off offset:176
	;; [unrolled: 1-line block ×3, first 2 shown]
	s_waitcnt vmcnt(10)
	v_fma_f64 v[144:145], v[13:14], v[53:54], v[144:145]
	v_fma_f64 v[146:147], v[15:16], v[53:54], v[146:147]
	;; [unrolled: 1-line block ×5, first 2 shown]
	v_fma_f64 v[144:145], -v[15:16], v[55:56], v[144:145]
	v_fma_f64 v[146:147], v[13:14], v[55:56], v[146:147]
	global_load_dwordx4 v[13:16], v[142:143], off offset:48
	v_fma_f64 v[142:143], v[59:60], v[53:54], v[148:149]
	v_fma_f64 v[148:149], v[106:107], v[53:54], v[152:153]
	;; [unrolled: 1-line block ×3, first 2 shown]
	v_fma_f64 v[59:60], -v[59:60], v[55:56], v[122:123]
	v_fma_f64 v[106:107], v[106:107], v[55:56], v[150:151]
	v_fma_f64 v[39:40], -v[39:40], v[55:56], v[130:131]
	v_fma_f64 v[57:58], v[57:58], v[55:56], v[142:143]
	v_fma_f64 v[108:109], -v[108:109], v[55:56], v[148:149]
	v_fma_f64 v[37:38], v[37:38], v[55:56], v[53:54]
	s_waitcnt vmcnt(9)
	v_fma_f64 v[53:54], v[65:66], v[138:139], v[144:145]
	v_fma_f64 v[55:56], v[67:68], v[138:139], v[146:147]
	v_fma_f64 v[59:60], v[41:42], v[138:139], v[59:60]
	v_fma_f64 v[106:107], v[23:24], v[138:139], v[106:107]
	v_fma_f64 v[39:40], v[33:34], v[138:139], v[39:40]
	v_fma_f64 v[57:58], v[43:44], v[138:139], v[57:58]
	v_fma_f64 v[108:109], v[21:22], v[138:139], v[108:109]
	v_fma_f64 v[37:38], v[35:36], v[138:139], v[37:38]
	v_fma_f64 v[53:54], -v[67:68], v[140:141], v[53:54]
	v_fma_f64 v[55:56], v[65:66], v[140:141], v[55:56]
	v_fma_f64 v[43:44], -v[43:44], v[140:141], v[59:60]
	v_fma_f64 v[21:22], v[21:22], v[140:141], v[106:107]
	v_fma_f64 v[35:36], -v[35:36], v[140:141], v[39:40]
	v_fma_f64 v[41:42], v[41:42], v[140:141], v[57:58]
	v_fma_f64 v[23:24], -v[23:24], v[140:141], v[108:109]
	v_fma_f64 v[33:34], v[33:34], v[140:141], v[37:38]
	s_waitcnt vmcnt(7)
	v_fma_f64 v[37:38], v[134:135], v[45:46], v[53:54]
	v_fma_f64 v[39:40], v[136:137], v[45:46], v[55:56]
	v_fma_f64 v[43:44], v[17:18], v[45:46], v[43:44]
	v_fma_f64 v[21:22], v[75:76], v[45:46], v[21:22]
	v_fma_f64 v[35:36], v[85:86], v[45:46], v[35:36]
	v_fma_f64 v[41:42], v[19:20], v[45:46], v[41:42]
	v_fma_f64 v[23:24], v[73:74], v[45:46], v[23:24]
	v_fma_f64 v[33:34], v[87:88], v[45:46], v[33:34]
	v_fma_f64 v[37:38], -v[136:137], v[47:48], v[37:38]
	v_fma_f64 v[39:40], v[134:135], v[47:48], v[39:40]
	;; [unrolled: 17-line block ×3, first 2 shown]
	v_fma_f64 v[19:20], -v[27:28], v[31:32], v[19:20]
	v_fma_f64 v[21:22], v[98:99], v[31:32], v[21:22]
	v_fma_f64 v[17:18], v[25:26], v[31:32], v[17:18]
	v_fma_f64 v[23:24], -v[100:101], v[31:32], v[23:24]
	v_fma_f64 v[25:26], -v[79:80], v[31:32], v[35:36]
	v_fma_f64 v[27:28], v[77:78], v[31:32], v[29:30]
	s_waitcnt vmcnt(4)
	v_fma_f64 v[29:30], v[81:82], v[110:111], v[33:34]
	v_fma_f64 v[31:32], v[83:84], v[110:111], v[37:38]
	v_fma_f64 v[19:20], v[9:10], v[110:111], v[19:20]
	v_fma_f64 v[21:22], v[63:64], v[110:111], v[21:22]
	v_fma_f64 v[17:18], v[11:12], v[110:111], v[17:18]
	v_fma_f64 v[23:24], v[61:62], v[110:111], v[23:24]
	v_fma_f64 v[25:26], v[102:103], v[110:111], v[25:26]
	v_fma_f64 v[27:28], v[104:105], v[110:111], v[27:28]
	v_fma_f64 v[29:30], -v[83:84], v[112:113], v[29:30]
	v_fma_f64 v[31:32], v[81:82], v[112:113], v[31:32]
	v_fma_f64 v[11:12], -v[11:12], v[112:113], v[19:20]
	v_fma_f64 v[19:20], v[61:62], v[112:113], v[21:22]
	v_fma_f64 v[9:10], v[9:10], v[112:113], v[17:18]
	v_fma_f64 v[17:18], -v[63:64], v[112:113], v[23:24]
	v_fma_f64 v[21:22], -v[104:105], v[112:113], v[25:26]
	v_fma_f64 v[23:24], v[102:103], v[112:113], v[27:28]
	s_waitcnt vmcnt(0)
	v_fma_f64 v[25:26], v[49:50], v[13:14], v[29:30]
	v_fma_f64 v[27:28], v[51:52], v[13:14], v[31:32]
	v_fma_f64 v[11:12], v[69:70], v[13:14], v[11:12]
	v_fma_f64 v[9:10], v[71:72], v[13:14], v[9:10]
	v_fma_f64 v[17:18], v[126:127], v[13:14], v[17:18]
	v_fma_f64 v[19:20], v[128:129], v[13:14], v[19:20]
	v_fma_f64 v[21:22], v[118:119], v[13:14], v[21:22]
	v_fma_f64 v[13:14], v[120:121], v[13:14], v[23:24]
	v_fma_f64 v[110:111], -v[51:52], v[15:16], v[25:26]
	v_fma_f64 v[102:103], v[49:50], v[15:16], v[27:28]
	v_fma_f64 v[112:113], -v[71:72], v[15:16], v[11:12]
	v_fma_f64 v[108:109], v[69:70], v[15:16], v[9:10]
	;; [unrolled: 2-line block ×4, first 2 shown]
	s_andn2_b32 exec_lo, exec_lo, s9
	s_cbranch_execnz .LBB17_19
; %bb.20:
	s_or_b32 exec_lo, exec_lo, s9
.LBB17_21:
	s_or_b32 exec_lo, exec_lo, s8
.LBB17_22:
	s_or_b32 exec_lo, exec_lo, s3
	s_cbranch_execz .LBB17_24
	s_branch .LBB17_35
.LBB17_23:
                                        ; implicit-def: $vgpr102_vgpr103
                                        ; implicit-def: $vgpr110_vgpr111
                                        ; implicit-def: $vgpr100_vgpr101
                                        ; implicit-def: $vgpr98_vgpr99
                                        ; implicit-def: $vgpr104_vgpr105
                                        ; implicit-def: $vgpr106_vgpr107
                                        ; implicit-def: $vgpr112_vgpr113
                                        ; implicit-def: $vgpr108_vgpr109
.LBB17_24:
	v_mov_b32_e32 v102, 0
	v_mov_b32_e32 v110, 0
	;; [unrolled: 1-line block ×16, first 2 shown]
	s_and_saveexec_b32 s1, s0
	s_cbranch_execz .LBB17_34
; %bb.25:
	v_add_nc_u32_e32 v9, v125, v0
	v_not_b32_e32 v10, v125
	v_mov_b32_e32 v108, 0
	v_mov_b32_e32 v112, 0
	;; [unrolled: 1-line block ×3, first 2 shown]
	v_subrev_nc_u32_e32 v9, s2, v9
	v_mov_b32_e32 v104, 0
	v_mov_b32_e32 v98, 0
	v_mov_b32_e32 v100, 0
	v_mov_b32_e32 v110, 0
	v_add_nc_u32_e32 v9, 16, v9
	v_mov_b32_e32 v102, 0
	v_mov_b32_e32 v109, 0
	;; [unrolled: 1-line block ×4, first 2 shown]
	v_max_i32_e32 v9, v9, v124
	v_mov_b32_e32 v105, 0
	v_mov_b32_e32 v99, 0
	v_mov_b32_e32 v101, 0
	v_mov_b32_e32 v111, 0
	v_add3_u32 v9, s2, v9, v10
	v_mov_b32_e32 v103, 0
	s_mov_b32 s0, exec_lo
	v_sub_nc_u32_e32 v9, v9, v0
	v_and_b32_e32 v10, 48, v9
	v_cmpx_ne_u32_e32 48, v10
	s_cbranch_execz .LBB17_29
; %bb.26:
	v_lshrrev_b32_e32 v10, 4, v9
	v_mov_b32_e32 v102, 0
	v_mov_b32_e32 v110, 0
	;; [unrolled: 1-line block ×4, first 2 shown]
	v_add_nc_u32_e32 v10, 1, v10
	v_mov_b32_e32 v104, 0
	v_mov_b32_e32 v106, 0
	v_mov_b32_e32 v112, 0
	v_mov_b32_e32 v108, 0
	v_and_b32_e32 v10, 3, v10
	v_mov_b32_e32 v103, 0
	v_mov_b32_e32 v111, 0
	;; [unrolled: 1-line block ×8, first 2 shown]
	v_sub_nc_u32_e32 v10, 0, v10
	s_mov_b32 s3, 0
.LBB17_27:                              ; =>This Inner Loop Header: Depth=1
	v_ashrrev_i32_e32 v95, 31, v94
	v_add_co_u32 v10, s8, v10, 1
	s_or_b32 s3, s8, s3
	v_lshlrev_b64 v[11:12], 2, v[94:95]
	v_add_nc_u32_e32 v94, 16, v94
	v_add_co_u32 v11, vcc_lo, s12, v11
	v_add_co_ci_u32_e64 v12, null, s13, v12, vcc_lo
	global_load_dword v27, v[11:12], off
	s_clause 0x3
	global_load_dwordx4 v[11:14], v[96:97], off offset:48
	global_load_dwordx4 v[15:18], v[96:97], off offset:32
	;; [unrolled: 1-line block ×3, first 2 shown]
	global_load_dwordx4 v[23:26], v[96:97], off
	s_waitcnt vmcnt(4)
	v_subrev_nc_u32_e32 v27, s2, v27
	v_lshlrev_b32_e32 v27, 2, v27
	v_ashrrev_i32_e32 v28, 31, v27
	v_lshlrev_b64 v[27:28], 4, v[27:28]
	v_add_co_u32 v71, vcc_lo, s6, v27
	v_add_co_ci_u32_e64 v72, null, s7, v28, vcc_lo
	global_load_dwordx4 v[27:30], v[71:72], off
	s_clause 0x3
	global_load_dwordx4 v[31:34], v[96:97], off offset:112
	global_load_dwordx4 v[35:38], v[96:97], off offset:96
	;; [unrolled: 1-line block ×5, first 2 shown]
	s_clause 0x3
	global_load_dwordx4 v[51:54], v[96:97], off offset:176
	global_load_dwordx4 v[55:58], v[96:97], off offset:160
	;; [unrolled: 1-line block ×4, first 2 shown]
	s_clause 0x1
	global_load_dwordx4 v[67:70], v[71:72], off offset:32
	global_load_dwordx4 v[71:74], v[71:72], off offset:48
	s_clause 0x3
	global_load_dwordx4 v[75:78], v[96:97], off offset:192
	global_load_dwordx4 v[79:82], v[96:97], off offset:208
	global_load_dwordx4 v[83:86], v[96:97], off offset:224
	global_load_dwordx4 v[87:90], v[96:97], off offset:240
	v_add_co_u32 v96, vcc_lo, 0x1000, v96
	v_add_co_ci_u32_e64 v97, null, 0, v97, vcc_lo
	s_waitcnt vmcnt(15)
	v_fma_f64 v[91:92], v[23:24], v[27:28], v[110:111]
	v_fma_f64 v[102:103], v[25:26], v[27:28], v[102:103]
	v_fma_f64 v[110:111], v[19:20], v[27:28], v[112:113]
	v_fma_f64 v[108:109], v[21:22], v[27:28], v[108:109]
	v_fma_f64 v[104:105], v[15:16], v[27:28], v[104:105]
	v_fma_f64 v[106:107], v[17:18], v[27:28], v[106:107]
	v_fma_f64 v[100:101], v[11:12], v[27:28], v[100:101]
	v_fma_f64 v[27:28], v[13:14], v[27:28], v[98:99]
	v_fma_f64 v[25:26], -v[25:26], v[29:30], v[91:92]
	v_fma_f64 v[23:24], v[23:24], v[29:30], v[102:103]
	v_fma_f64 v[21:22], -v[21:22], v[29:30], v[110:111]
	v_fma_f64 v[19:20], v[19:20], v[29:30], v[108:109]
	v_fma_f64 v[17:18], -v[17:18], v[29:30], v[104:105]
	v_fma_f64 v[15:16], v[15:16], v[29:30], v[106:107]
	v_fma_f64 v[13:14], -v[13:14], v[29:30], v[100:101]
	v_fma_f64 v[11:12], v[11:12], v[29:30], v[27:28]
	s_waitcnt vmcnt(10)
	v_fma_f64 v[25:26], v[43:44], v[47:48], v[25:26]
	v_fma_f64 v[23:24], v[45:46], v[47:48], v[23:24]
	v_fma_f64 v[21:22], v[39:40], v[47:48], v[21:22]
	v_fma_f64 v[19:20], v[41:42], v[47:48], v[19:20]
	v_fma_f64 v[17:18], v[35:36], v[47:48], v[17:18]
	v_fma_f64 v[15:16], v[37:38], v[47:48], v[15:16]
	v_fma_f64 v[13:14], v[31:32], v[47:48], v[13:14]
	v_fma_f64 v[11:12], v[33:34], v[47:48], v[11:12]
	v_fma_f64 v[25:26], -v[45:46], v[49:50], v[25:26]
	v_fma_f64 v[23:24], v[43:44], v[49:50], v[23:24]
	v_fma_f64 v[21:22], -v[41:42], v[49:50], v[21:22]
	v_fma_f64 v[19:20], v[39:40], v[49:50], v[19:20]
	v_fma_f64 v[17:18], -v[37:38], v[49:50], v[17:18]
	v_fma_f64 v[15:16], v[35:36], v[49:50], v[15:16]
	v_fma_f64 v[13:14], -v[33:34], v[49:50], v[13:14]
	v_fma_f64 v[11:12], v[31:32], v[49:50], v[11:12]
	;; [unrolled: 17-line block ×3, first 2 shown]
	s_waitcnt vmcnt(3)
	v_fma_f64 v[25:26], v[75:76], v[71:72], v[25:26]
	v_fma_f64 v[23:24], v[77:78], v[71:72], v[23:24]
	s_waitcnt vmcnt(2)
	v_fma_f64 v[21:22], v[79:80], v[71:72], v[21:22]
	v_fma_f64 v[19:20], v[81:82], v[71:72], v[19:20]
	s_waitcnt vmcnt(1)
	v_fma_f64 v[17:18], v[83:84], v[71:72], v[17:18]
	v_fma_f64 v[15:16], v[85:86], v[71:72], v[15:16]
	s_waitcnt vmcnt(0)
	v_fma_f64 v[13:14], v[87:88], v[71:72], v[13:14]
	v_fma_f64 v[11:12], v[89:90], v[71:72], v[11:12]
	v_fma_f64 v[110:111], -v[77:78], v[73:74], v[25:26]
	v_fma_f64 v[102:103], v[75:76], v[73:74], v[23:24]
	v_fma_f64 v[112:113], -v[81:82], v[73:74], v[21:22]
	v_fma_f64 v[108:109], v[79:80], v[73:74], v[19:20]
	;; [unrolled: 2-line block ×4, first 2 shown]
	s_andn2_b32 exec_lo, exec_lo, s3
	s_cbranch_execnz .LBB17_27
; %bb.28:
	s_or_b32 exec_lo, exec_lo, s3
.LBB17_29:
	s_or_b32 exec_lo, exec_lo, s0
	s_mov_b32 s3, exec_lo
	v_cmpx_lt_u32_e32 47, v9
	s_cbranch_execz .LBB17_33
; %bb.30:
	s_mov_b32 s8, 0
.LBB17_31:                              ; =>This Inner Loop Header: Depth=1
	v_ashrrev_i32_e32 v95, 31, v94
	v_add_co_u32 v91, vcc_lo, 0x1000, v96
	v_add_co_ci_u32_e64 v92, null, 0, v97, vcc_lo
	v_lshlrev_b64 v[118:119], 2, v[94:95]
	v_add_co_u32 v122, vcc_lo, 0x2000, v96
	v_add_co_ci_u32_e64 v123, null, 0, v97, vcc_lo
	v_add_co_u32 v69, vcc_lo, 0x3000, v96
	v_add_co_ci_u32_e64 v70, null, 0, v97, vcc_lo
	;; [unrolled: 2-line block ×3, first 2 shown]
	s_clause 0x14
	global_load_dwordx4 v[9:12], v[96:97], off offset:48
	global_load_dwordx4 v[17:20], v[96:97], off offset:32
	;; [unrolled: 1-line block ×3, first 2 shown]
	global_load_dwordx4 v[45:48], v[96:97], off
	global_load_dwordx4 v[33:36], v[96:97], off offset:112
	global_load_dwordx4 v[49:52], v[96:97], off offset:96
	;; [unrolled: 1-line block ×14, first 2 shown]
	global_load_dwordx4 v[83:86], v[91:92], off
	global_load_dwordx4 v[87:90], v[91:92], off offset:16
	global_load_dwordx4 v[114:117], v[91:92], off offset:112
	s_clause 0x3
	global_load_dword v95, v[118:119], off
	global_load_dword v137, v[118:119], off offset:64
	global_load_dword v138, v[118:119], off offset:128
	;; [unrolled: 1-line block ×3, first 2 shown]
	v_add_nc_u32_e32 v94, 64, v94
	v_add_co_u32 v96, s0, 0x4000, v96
	v_add_co_ci_u32_e64 v97, null, 0, v97, s0
	s_waitcnt vmcnt(3)
	v_subrev_nc_u32_e32 v95, s2, v95
	v_lshlrev_b32_e32 v118, 2, v95
	s_waitcnt vmcnt(2)
	v_subrev_nc_u32_e32 v95, s2, v137
	v_ashrrev_i32_e32 v119, 31, v118
	v_lshlrev_b64 v[118:119], 4, v[118:119]
	v_add_co_u32 v129, vcc_lo, s6, v118
	v_add_co_ci_u32_e64 v130, null, s7, v119, vcc_lo
	s_clause 0x1
	global_load_dwordx4 v[118:121], v[129:130], off
	global_load_dwordx4 v[125:128], v[129:130], off offset:16
	s_waitcnt vmcnt(1)
	v_fma_f64 v[102:103], v[47:48], v[118:119], v[102:103]
	v_fma_f64 v[112:113], v[29:30], v[118:119], v[112:113]
	;; [unrolled: 1-line block ×9, first 2 shown]
	v_fma_f64 v[112:113], -v[31:32], v[120:121], v[112:113]
	v_fma_f64 v[104:105], -v[19:20], v[120:121], v[104:105]
	v_fma_f64 v[106:107], v[17:18], v[120:121], v[106:107]
	v_fma_f64 v[110:111], -v[47:48], v[120:121], v[110:111]
	v_fma_f64 v[108:109], v[29:30], v[120:121], v[108:109]
	;; [unrolled: 2-line block ×3, first 2 shown]
	s_clause 0x4
	global_load_dwordx4 v[45:48], v[91:92], off offset:96
	global_load_dwordx4 v[29:32], v[91:92], off offset:80
	;; [unrolled: 1-line block ×5, first 2 shown]
	s_waitcnt vmcnt(5)
	v_fma_f64 v[102:103], v[63:64], v[125:126], v[102:103]
	v_fma_f64 v[110:111], v[61:62], v[125:126], v[110:111]
	;; [unrolled: 1-line block ×5, first 2 shown]
	v_fma_f64 v[110:111], -v[63:64], v[127:128], v[110:111]
	global_load_dwordx4 v[61:64], v[91:92], off offset:144
	v_fma_f64 v[108:109], v[53:54], v[127:128], v[108:109]
	v_fma_f64 v[112:113], -v[55:56], v[127:128], v[102:103]
	v_fma_f64 v[102:103], v[49:50], v[125:126], v[104:105]
	v_fma_f64 v[104:105], v[51:52], v[125:126], v[106:107]
	global_load_dwordx4 v[53:56], v[91:92], off offset:128
	v_fma_f64 v[133:134], -v[51:52], v[127:128], v[102:103]
	v_fma_f64 v[135:136], v[49:50], v[127:128], v[104:105]
	v_fma_f64 v[102:103], v[33:34], v[125:126], v[118:119]
	;; [unrolled: 1-line block ×3, first 2 shown]
	global_load_dwordx4 v[49:52], v[91:92], off offset:240
	v_fma_f64 v[118:119], -v[35:36], v[127:128], v[102:103]
	v_fma_f64 v[120:121], v[33:34], v[127:128], v[104:105]
	s_clause 0x1
	global_load_dwordx4 v[33:36], v[129:130], off offset:32
	global_load_dwordx4 v[102:105], v[129:130], off offset:48
	s_waitcnt vmcnt(1)
	v_fma_f64 v[106:107], v[65:66], v[33:34], v[110:111]
	v_fma_f64 v[110:111], v[67:68], v[33:34], v[131:132]
	;; [unrolled: 1-line block ×5, first 2 shown]
	v_fma_f64 v[125:126], -v[67:68], v[35:36], v[106:107]
	v_fma_f64 v[106:107], v[57:58], v[33:34], v[112:113]
	v_fma_f64 v[110:111], v[65:66], v[35:36], v[110:111]
	global_load_dwordx4 v[65:68], v[91:92], off offset:224
	v_fma_f64 v[127:128], v[57:58], v[35:36], v[108:109]
	v_fma_f64 v[129:130], v[37:38], v[35:36], v[129:130]
	v_fma_f64 v[118:119], -v[23:24], v[35:36], v[118:119]
	s_waitcnt vmcnt(1)
	v_fma_f64 v[125:126], v[71:72], v[102:103], v[125:126]
	v_fma_f64 v[112:113], -v[59:60], v[35:36], v[106:107]
	s_clause 0x1
	global_load_dwordx4 v[57:60], v[91:92], off offset:208
	global_load_dwordx4 v[106:109], v[91:92], off offset:192
	v_fma_f64 v[91:92], v[37:38], v[33:34], v[133:134]
	v_fma_f64 v[33:34], v[23:24], v[33:34], v[120:121]
	;; [unrolled: 1-line block ×5, first 2 shown]
	v_fma_f64 v[125:126], -v[73:74], v[104:105], v[125:126]
	v_fma_f64 v[112:113], v[41:42], v[102:103], v[112:113]
	v_fma_f64 v[91:92], -v[39:40], v[35:36], v[91:92]
	v_fma_f64 v[120:121], v[21:22], v[35:36], v[33:34]
	v_fma_f64 v[129:130], v[25:26], v[104:105], v[129:130]
	s_clause 0x2
	global_load_dwordx4 v[37:40], v[122:123], off
	global_load_dwordx4 v[21:24], v[122:123], off offset:48
	global_load_dwordx4 v[33:36], v[122:123], off offset:32
	v_fma_f64 v[110:111], v[71:72], v[104:105], v[110:111]
	global_load_dwordx4 v[71:74], v[122:123], off offset:16
	v_fma_f64 v[127:128], v[41:42], v[104:105], v[127:128]
	v_fma_f64 v[112:113], -v[43:44], v[104:105], v[112:113]
	global_load_dwordx4 v[41:44], v[122:123], off offset:112
	v_fma_f64 v[91:92], v[25:26], v[102:103], v[91:92]
	v_lshlrev_b32_e32 v25, 2, v95
	v_subrev_nc_u32_e32 v95, s2, v138
	v_ashrrev_i32_e32 v26, 31, v25
	v_lshlrev_b64 v[25:26], 4, v[25:26]
	v_add_co_u32 v131, vcc_lo, s6, v25
	v_add_co_ci_u32_e64 v132, null, s7, v26, vcc_lo
	v_fma_f64 v[25:26], v[13:14], v[102:103], v[118:119]
	v_fma_f64 v[91:92], -v[27:28], v[104:105], v[91:92]
	v_fma_f64 v[27:28], v[15:16], v[102:103], v[120:121]
	v_fma_f64 v[102:103], -v[15:16], v[104:105], v[25:26]
	v_fma_f64 v[104:105], v[13:14], v[104:105], v[27:28]
	s_clause 0x1
	global_load_dwordx4 v[13:16], v[131:132], off
	global_load_dwordx4 v[25:28], v[131:132], off offset:16
	s_waitcnt vmcnt(1)
	v_fma_f64 v[110:111], v[85:86], v[13:14], v[110:111]
	v_fma_f64 v[112:113], v[87:88], v[13:14], v[112:113]
	;; [unrolled: 1-line block ×9, first 2 shown]
	v_fma_f64 v[112:113], -v[89:90], v[15:16], v[112:113]
	v_fma_f64 v[118:119], -v[85:86], v[15:16], v[118:119]
	v_fma_f64 v[120:121], v[87:88], v[15:16], v[120:121]
	v_fma_f64 v[91:92], -v[81:82], v[15:16], v[91:92]
	v_fma_f64 v[125:126], v[79:80], v[15:16], v[125:126]
	;; [unrolled: 2-line block ×3, first 2 shown]
	s_clause 0x4
	global_load_dwordx4 v[83:86], v[122:123], off offset:96
	global_load_dwordx4 v[87:90], v[122:123], off offset:80
	;; [unrolled: 1-line block ×5, first 2 shown]
	s_waitcnt vmcnt(5)
	v_fma_f64 v[110:111], v[19:20], v[25:26], v[110:111]
	v_fma_f64 v[118:119], v[17:18], v[25:26], v[118:119]
	;; [unrolled: 1-line block ×7, first 2 shown]
	v_fma_f64 v[118:119], -v[19:20], v[27:28], v[118:119]
	global_load_dwordx4 v[17:20], v[122:123], off offset:144
	v_fma_f64 v[91:92], -v[47:48], v[27:28], v[91:92]
	v_fma_f64 v[120:121], -v[31:32], v[27:28], v[110:111]
	v_fma_f64 v[110:111], v[47:48], v[25:26], v[125:126]
	v_fma_f64 v[25:26], v[116:117], v[25:26], v[104:105]
	;; [unrolled: 1-line block ×3, first 2 shown]
	global_load_dwordx4 v[29:32], v[122:123], off offset:128
	v_fma_f64 v[116:117], -v[116:117], v[27:28], v[102:103]
	v_fma_f64 v[125:126], v[45:46], v[27:28], v[110:111]
	global_load_dwordx4 v[45:48], v[122:123], off offset:240
	v_fma_f64 v[114:115], v[114:115], v[27:28], v[25:26]
	global_load_dwordx4 v[25:28], v[122:123], off offset:224
	s_clause 0x1
	global_load_dwordx4 v[102:105], v[131:132], off offset:32
	global_load_dwordx4 v[110:113], v[131:132], off offset:48
	s_waitcnt vmcnt(1)
	v_fma_f64 v[118:119], v[53:54], v[102:103], v[118:119]
	v_fma_f64 v[127:128], v[55:56], v[102:103], v[127:128]
	v_fma_f64 v[120:121], v[61:62], v[102:103], v[120:121]
	v_fma_f64 v[129:130], v[63:64], v[102:103], v[129:130]
	v_fma_f64 v[91:92], v[98:99], v[102:103], v[91:92]
	v_fma_f64 v[116:117], v[9:10], v[102:103], v[116:117]
	v_fma_f64 v[118:119], -v[55:56], v[104:105], v[118:119]
	v_fma_f64 v[127:128], v[53:54], v[104:105], v[127:128]
	global_load_dwordx4 v[53:56], v[122:123], off offset:208
	v_fma_f64 v[120:121], -v[63:64], v[104:105], v[120:121]
	v_fma_f64 v[129:130], v[61:62], v[104:105], v[129:130]
	global_load_dwordx4 v[61:64], v[122:123], off offset:192
	v_fma_f64 v[122:123], v[100:101], v[102:103], v[125:126]
	v_fma_f64 v[102:103], v[11:12], v[102:103], v[114:115]
	v_fma_f64 v[91:92], -v[100:101], v[104:105], v[91:92]
	v_fma_f64 v[114:115], -v[11:12], v[104:105], v[116:117]
	s_waitcnt vmcnt(2)
	v_fma_f64 v[118:119], v[106:107], v[110:111], v[118:119]
	v_fma_f64 v[125:126], v[108:109], v[110:111], v[127:128]
	;; [unrolled: 1-line block ×4, first 2 shown]
	v_lshlrev_b32_e32 v129, 2, v95
	v_fma_f64 v[122:123], v[98:99], v[104:105], v[122:123]
	v_fma_f64 v[116:117], v[9:10], v[104:105], v[102:103]
	;; [unrolled: 1-line block ×4, first 2 shown]
	v_ashrrev_i32_e32 v130, 31, v129
	s_clause 0x2
	global_load_dwordx4 v[98:101], v[69:70], off
	global_load_dwordx4 v[9:12], v[69:70], off offset:48
	global_load_dwordx4 v[102:105], v[69:70], off offset:32
	v_subrev_nc_u32_e32 v95, s2, v139
	v_lshlrev_b64 v[129:130], 4, v[129:130]
	v_lshlrev_b32_e32 v131, 2, v95
	v_add_co_u32 v129, vcc_lo, s6, v129
	v_add_co_ci_u32_e64 v130, null, s7, v130, vcc_lo
	v_fma_f64 v[118:119], -v[108:109], v[112:113], v[118:119]
	v_fma_f64 v[125:126], v[106:107], v[112:113], v[125:126]
	global_load_dwordx4 v[106:109], v[69:70], off offset:16
	v_fma_f64 v[122:123], v[67:68], v[110:111], v[122:123]
	v_fma_f64 v[110:111], v[51:52], v[110:111], v[116:117]
	v_fma_f64 v[120:121], -v[59:60], v[112:113], v[120:121]
	v_fma_f64 v[127:128], v[57:58], v[112:113], v[127:128]
	global_load_dwordx4 v[57:60], v[69:70], off offset:112
	v_fma_f64 v[91:92], -v[67:68], v[112:113], v[91:92]
	v_fma_f64 v[114:115], -v[51:52], v[112:113], v[114:115]
	v_ashrrev_i32_e32 v132, 31, v131
	v_fma_f64 v[122:123], v[65:66], v[112:113], v[122:123]
	global_load_dwordx4 v[65:68], v[69:70], off offset:96
	v_fma_f64 v[116:117], v[49:50], v[112:113], v[110:111]
	s_clause 0x1
	global_load_dwordx4 v[49:52], v[129:130], off
	global_load_dwordx4 v[110:113], v[129:130], off offset:16
	s_waitcnt vmcnt(1)
	v_fma_f64 v[118:119], v[37:38], v[49:50], v[118:119]
	v_fma_f64 v[125:126], v[39:40], v[49:50], v[125:126]
	;; [unrolled: 1-line block ×8, first 2 shown]
	v_fma_f64 v[118:119], -v[39:40], v[51:52], v[118:119]
	v_fma_f64 v[125:126], v[37:38], v[51:52], v[125:126]
	v_fma_f64 v[120:121], -v[73:74], v[51:52], v[120:121]
	v_fma_f64 v[127:128], v[71:72], v[51:52], v[127:128]
	;; [unrolled: 2-line block ×4, first 2 shown]
	global_load_dwordx4 v[21:24], v[129:130], off offset:32
	v_lshlrev_b64 v[49:50], 4, v[131:132]
	s_clause 0x2
	global_load_dwordx4 v[37:40], v[69:70], off offset:80
	global_load_dwordx4 v[71:74], v[69:70], off offset:64
	;; [unrolled: 1-line block ×3, first 2 shown]
	v_add_co_u32 v131, vcc_lo, s6, v49
	v_add_co_ci_u32_e64 v132, null, s7, v50, vcc_lo
	global_load_dwordx4 v[49:52], v[69:70], off offset:160
	v_cmp_ge_i32_e32 vcc_lo, v94, v124
	s_waitcnt vmcnt(5)
	v_fma_f64 v[118:119], v[79:80], v[110:111], v[118:119]
	v_fma_f64 v[125:126], v[81:82], v[110:111], v[125:126]
	;; [unrolled: 1-line block ×8, first 2 shown]
	s_or_b32 s8, vcc_lo, s8
	v_fma_f64 v[118:119], -v[81:82], v[112:113], v[118:119]
	v_fma_f64 v[125:126], v[79:80], v[112:113], v[125:126]
	global_load_dwordx4 v[79:82], v[129:130], off offset:48
	v_fma_f64 v[120:121], -v[89:90], v[112:113], v[120:121]
	v_fma_f64 v[127:128], v[87:88], v[112:113], v[127:128]
	global_load_dwordx4 v[87:90], v[131:132], off
	v_fma_f64 v[91:92], -v[85:86], v[112:113], v[91:92]
	v_fma_f64 v[122:123], v[83:84], v[112:113], v[122:123]
	global_load_dwordx4 v[83:86], v[69:70], off offset:144
	v_fma_f64 v[129:130], -v[43:44], v[112:113], v[114:115]
	v_fma_f64 v[133:134], v[41:42], v[112:113], v[110:111]
	global_load_dwordx4 v[41:44], v[69:70], off offset:128
	global_load_dwordx4 v[110:113], v[131:132], off offset:16
	s_waitcnt vmcnt(9)
	v_fma_f64 v[114:115], v[29:30], v[21:22], v[118:119]
	v_fma_f64 v[116:117], v[31:32], v[21:22], v[125:126]
	;; [unrolled: 1-line block ×5, first 2 shown]
	v_fma_f64 v[118:119], -v[31:32], v[23:24], v[114:115]
	v_fma_f64 v[125:126], v[29:30], v[23:24], v[116:117]
	v_fma_f64 v[114:115], v[17:18], v[21:22], v[120:121]
	;; [unrolled: 1-line block ×3, first 2 shown]
	global_load_dwordx4 v[29:32], v[69:70], off offset:208
	v_fma_f64 v[21:22], v[15:16], v[21:22], v[133:134]
	v_fma_f64 v[91:92], -v[77:78], v[23:24], v[91:92]
	v_fma_f64 v[122:123], v[75:76], v[23:24], v[122:123]
	v_fma_f64 v[129:130], -v[15:16], v[23:24], v[129:130]
	v_fma_f64 v[120:121], -v[19:20], v[23:24], v[114:115]
	v_fma_f64 v[127:128], v[17:18], v[23:24], v[116:117]
	s_clause 0x1
	global_load_dwordx4 v[17:20], v[131:132], off offset:48
	global_load_dwordx4 v[114:117], v[131:132], off offset:32
	global_load_dwordx4 v[75:78], v[69:70], off offset:192
	v_fma_f64 v[131:132], v[13:14], v[23:24], v[21:22]
	s_clause 0x1
	global_load_dwordx4 v[13:16], v[69:70], off offset:224
	global_load_dwordx4 v[21:24], v[69:70], off offset:240
	s_waitcnt vmcnt(10)
	v_fma_f64 v[69:70], v[61:62], v[79:80], v[118:119]
	v_fma_f64 v[118:119], v[63:64], v[79:80], v[125:126]
	v_fma_f64 v[91:92], v[25:26], v[79:80], v[91:92]
	v_fma_f64 v[122:123], v[27:28], v[79:80], v[122:123]
	v_fma_f64 v[120:121], v[53:54], v[79:80], v[120:121]
	v_fma_f64 v[125:126], v[55:56], v[79:80], v[127:128]
	v_fma_f64 v[127:128], v[45:46], v[79:80], v[129:130]
	v_fma_f64 v[79:80], v[47:48], v[79:80], v[131:132]
	v_fma_f64 v[63:64], -v[63:64], v[81:82], v[69:70]
	v_fma_f64 v[61:62], v[61:62], v[81:82], v[118:119]
	v_fma_f64 v[27:28], -v[27:28], v[81:82], v[91:92]
	v_fma_f64 v[25:26], v[25:26], v[81:82], v[122:123]
	v_fma_f64 v[55:56], -v[55:56], v[81:82], v[120:121]
	v_fma_f64 v[53:54], v[53:54], v[81:82], v[125:126]
	v_fma_f64 v[47:48], -v[47:48], v[81:82], v[127:128]
	v_fma_f64 v[45:46], v[45:46], v[81:82], v[79:80]
	s_waitcnt vmcnt(9)
	v_fma_f64 v[63:64], v[98:99], v[87:88], v[63:64]
	v_fma_f64 v[61:62], v[100:101], v[87:88], v[61:62]
	v_fma_f64 v[27:28], v[102:103], v[87:88], v[27:28]
	v_fma_f64 v[25:26], v[104:105], v[87:88], v[25:26]
	v_fma_f64 v[55:56], v[106:107], v[87:88], v[55:56]
	v_fma_f64 v[53:54], v[108:109], v[87:88], v[53:54]
	v_fma_f64 v[47:48], v[9:10], v[87:88], v[47:48]
	v_fma_f64 v[45:46], v[11:12], v[87:88], v[45:46]
	v_fma_f64 v[63:64], -v[100:101], v[89:90], v[63:64]
	v_fma_f64 v[61:62], v[98:99], v[89:90], v[61:62]
	v_fma_f64 v[27:28], -v[104:105], v[89:90], v[27:28]
	v_fma_f64 v[25:26], v[102:103], v[89:90], v[25:26]
	v_fma_f64 v[55:56], -v[108:109], v[89:90], v[55:56]
	v_fma_f64 v[53:54], v[106:107], v[89:90], v[53:54]
	v_fma_f64 v[11:12], -v[11:12], v[89:90], v[47:48]
	v_fma_f64 v[9:10], v[9:10], v[89:90], v[45:46]
	;; [unrolled: 17-line block ×4, first 2 shown]
	s_waitcnt vmcnt(2)
	v_fma_f64 v[33:34], v[75:76], v[17:18], v[43:44]
	v_fma_f64 v[35:36], v[77:78], v[17:18], v[41:42]
	;; [unrolled: 1-line block ×4, first 2 shown]
	s_waitcnt vmcnt(1)
	v_fma_f64 v[27:28], v[13:14], v[17:18], v[27:28]
	v_fma_f64 v[25:26], v[15:16], v[17:18], v[25:26]
	s_waitcnt vmcnt(0)
	v_fma_f64 v[11:12], v[21:22], v[17:18], v[11:12]
	v_fma_f64 v[9:10], v[23:24], v[17:18], v[9:10]
	v_fma_f64 v[110:111], -v[77:78], v[19:20], v[33:34]
	v_fma_f64 v[102:103], v[75:76], v[19:20], v[35:36]
	v_fma_f64 v[112:113], -v[31:32], v[19:20], v[39:40]
	;; [unrolled: 2-line block ×4, first 2 shown]
	v_fma_f64 v[98:99], v[21:22], v[19:20], v[9:10]
	s_andn2_b32 exec_lo, exec_lo, s8
	s_cbranch_execnz .LBB17_31
; %bb.32:
	s_or_b32 exec_lo, exec_lo, s8
.LBB17_33:
	s_or_b32 exec_lo, exec_lo, s3
.LBB17_34:
	s_or_b32 exec_lo, exec_lo, s1
.LBB17_35:
	v_mbcnt_lo_u32_b32 v41, -1, 0
	v_xor_b32_e32 v9, 8, v41
	v_xor_b32_e32 v25, 4, v41
	v_cmp_gt_i32_e32 vcc_lo, 32, v9
	v_cndmask_b32_e32 v9, v41, v9, vcc_lo
	v_cmp_gt_i32_e32 vcc_lo, 32, v25
	v_lshlrev_b32_e32 v24, 2, v9
	v_cndmask_b32_e32 v25, v41, v25, vcc_lo
	ds_bpermute_b32 v9, v24, v110
	ds_bpermute_b32 v10, v24, v111
	;; [unrolled: 1-line block ×16, first 2 shown]
	v_lshlrev_b32_e32 v40, 2, v25
	s_waitcnt lgkmcnt(14)
	v_add_f64 v[9:10], v[110:111], v[9:10]
	s_waitcnt lgkmcnt(12)
	v_add_f64 v[11:12], v[102:103], v[11:12]
	;; [unrolled: 2-line block ×8, first 2 shown]
	ds_bpermute_b32 v25, v40, v9
	ds_bpermute_b32 v26, v40, v10
	;; [unrolled: 1-line block ×16, first 2 shown]
	s_waitcnt lgkmcnt(14)
	v_add_f64 v[9:10], v[9:10], v[25:26]
	v_xor_b32_e32 v25, 2, v41
	s_waitcnt lgkmcnt(12)
	v_add_f64 v[11:12], v[11:12], v[27:28]
	s_waitcnt lgkmcnt(10)
	v_add_f64 v[13:14], v[13:14], v[29:30]
	v_cmp_gt_i32_e32 vcc_lo, 32, v25
	s_waitcnt lgkmcnt(8)
	v_add_f64 v[15:16], v[15:16], v[31:32]
	s_waitcnt lgkmcnt(6)
	v_add_f64 v[17:18], v[17:18], v[33:34]
	s_waitcnt lgkmcnt(4)
	v_add_f64 v[19:20], v[19:20], v[35:36]
	v_cndmask_b32_e32 v27, v41, v25, vcc_lo
	s_waitcnt lgkmcnt(2)
	v_add_f64 v[21:22], v[21:22], v[37:38]
	s_waitcnt lgkmcnt(0)
	v_add_f64 v[25:26], v[23:24], v[39:40]
	v_lshlrev_b32_e32 v40, 2, v27
	ds_bpermute_b32 v23, v40, v9
	ds_bpermute_b32 v24, v40, v10
	;; [unrolled: 1-line block ×16, first 2 shown]
	s_waitcnt lgkmcnt(14)
	v_add_f64 v[9:10], v[9:10], v[23:24]
	s_waitcnt lgkmcnt(12)
	v_add_f64 v[27:28], v[11:12], v[27:28]
	;; [unrolled: 2-line block ×3, first 2 shown]
	v_xor_b32_e32 v29, 1, v41
	s_waitcnt lgkmcnt(8)
	v_add_f64 v[23:24], v[15:16], v[31:32]
	s_waitcnt lgkmcnt(6)
	v_add_f64 v[13:14], v[17:18], v[33:34]
	v_cmp_gt_i32_e32 vcc_lo, 32, v29
	s_waitcnt lgkmcnt(4)
	v_add_f64 v[17:18], v[19:20], v[35:36]
	s_waitcnt lgkmcnt(2)
	v_add_f64 v[15:16], v[21:22], v[37:38]
	;; [unrolled: 2-line block ×3, first 2 shown]
	v_cndmask_b32_e32 v29, v41, v29, vcc_lo
	v_cmp_eq_u32_e32 vcc_lo, 15, v0
	v_lshlrev_b32_e32 v34, 2, v29
	ds_bpermute_b32 v21, v34, v9
	ds_bpermute_b32 v22, v34, v10
	ds_bpermute_b32 v39, v34, v27
	ds_bpermute_b32 v40, v34, v28
	ds_bpermute_b32 v25, v34, v11
	ds_bpermute_b32 v26, v34, v12
	ds_bpermute_b32 v37, v34, v23
	ds_bpermute_b32 v38, v34, v24
	ds_bpermute_b32 v29, v34, v13
	ds_bpermute_b32 v30, v34, v14
	ds_bpermute_b32 v35, v34, v17
	ds_bpermute_b32 v36, v34, v18
	ds_bpermute_b32 v31, v34, v15
	ds_bpermute_b32 v32, v34, v16
	ds_bpermute_b32 v33, v34, v19
	ds_bpermute_b32 v34, v34, v20
	s_and_b32 exec_lo, exec_lo, vcc_lo
	s_cbranch_execz .LBB17_8
; %bb.36:
	s_waitcnt lgkmcnt(12)
	v_add_f64 v[27:28], v[27:28], v[39:40]
	s_waitcnt lgkmcnt(8)
	v_add_f64 v[23:24], v[23:24], v[37:38]
	;; [unrolled: 2-line block ×4, first 2 shown]
	v_add_f64 v[9:10], v[9:10], v[21:22]
	v_add_f64 v[11:12], v[11:12], v[25:26]
	;; [unrolled: 1-line block ×4, first 2 shown]
	v_cmp_eq_f64_e32 vcc_lo, 0, v[1:2]
	v_cmp_eq_f64_e64 s0, 0, v[3:4]
	s_load_dwordx2 s[2:3], s[4:5], 0x60
	v_mul_f64 v[13:14], v[27:28], -v[7:8]
	v_mul_f64 v[15:16], v[5:6], v[27:28]
	v_mul_f64 v[27:28], v[23:24], -v[7:8]
	v_mul_f64 v[23:24], v[5:6], v[23:24]
	;; [unrolled: 2-line block ×4, first 2 shown]
	s_and_b32 s0, vcc_lo, s0
	v_fma_f64 v[17:18], v[5:6], v[9:10], v[13:14]
	v_fma_f64 v[19:20], v[7:8], v[9:10], v[15:16]
	v_fma_f64 v[13:14], v[5:6], v[11:12], v[27:28]
	v_fma_f64 v[15:16], v[7:8], v[11:12], v[23:24]
	v_fma_f64 v[9:10], v[5:6], v[21:22], v[29:30]
	v_fma_f64 v[11:12], v[7:8], v[21:22], v[31:32]
	v_fma_f64 v[5:6], v[5:6], v[25:26], v[33:34]
	v_fma_f64 v[7:8], v[7:8], v[25:26], v[35:36]
	v_lshlrev_b32_e32 v21, 2, v93
	s_and_saveexec_b32 s1, s0
	s_xor_b32 s0, exec_lo, s1
	s_cbranch_execz .LBB17_38
; %bb.37:
	v_ashrrev_i32_e32 v22, 31, v21
	v_lshlrev_b64 v[0:1], 4, v[21:22]
                                        ; implicit-def: $vgpr21
	s_waitcnt lgkmcnt(0)
	v_add_co_u32 v0, vcc_lo, s2, v0
	v_add_co_ci_u32_e64 v1, null, s3, v1, vcc_lo
	global_store_dwordx4 v[0:1], v[17:20], off
	global_store_dwordx4 v[0:1], v[13:16], off offset:16
	global_store_dwordx4 v[0:1], v[9:12], off offset:32
	;; [unrolled: 1-line block ×3, first 2 shown]
                                        ; implicit-def: $vgpr3_vgpr4
                                        ; implicit-def: $vgpr17_vgpr18
                                        ; implicit-def: $vgpr13_vgpr14
                                        ; implicit-def: $vgpr9_vgpr10
                                        ; implicit-def: $vgpr5_vgpr6
.LBB17_38:
	s_andn2_saveexec_b32 s0, s0
	s_cbranch_execz .LBB17_8
; %bb.39:
	v_ashrrev_i32_e32 v22, 31, v21
	v_lshlrev_b64 v[21:22], 4, v[21:22]
	s_waitcnt lgkmcnt(0)
	v_add_co_u32 v37, vcc_lo, s2, v21
	v_add_co_ci_u32_e64 v38, null, s3, v22, vcc_lo
	s_clause 0x3
	global_load_dwordx4 v[21:24], v[37:38], off
	global_load_dwordx4 v[25:28], v[37:38], off offset:16
	global_load_dwordx4 v[29:32], v[37:38], off offset:32
	;; [unrolled: 1-line block ×3, first 2 shown]
	s_waitcnt vmcnt(3)
	v_fma_f64 v[17:18], v[1:2], v[21:22], v[17:18]
	v_fma_f64 v[19:20], v[3:4], v[21:22], v[19:20]
	s_waitcnt vmcnt(2)
	v_fma_f64 v[13:14], v[1:2], v[25:26], v[13:14]
	v_fma_f64 v[15:16], v[3:4], v[25:26], v[15:16]
	;; [unrolled: 3-line block ×4, first 2 shown]
	v_fma_f64 v[5:6], -v[3:4], v[23:24], v[17:18]
	v_fma_f64 v[7:8], v[1:2], v[23:24], v[19:20]
	v_fma_f64 v[9:10], -v[3:4], v[27:28], v[13:14]
	v_fma_f64 v[11:12], v[1:2], v[27:28], v[15:16]
	;; [unrolled: 2-line block ×4, first 2 shown]
	global_store_dwordx4 v[37:38], v[5:8], off
	global_store_dwordx4 v[37:38], v[9:12], off offset:16
	global_store_dwordx4 v[37:38], v[13:16], off offset:32
	;; [unrolled: 1-line block ×3, first 2 shown]
	s_endpgm
	.section	.rodata,"a",@progbits
	.p2align	6, 0x0
	.amdhsa_kernel _ZN9rocsparseL18bsrxmvn_4x4_kernelILj128ELj16E21rocsparse_complex_numIdEiiS2_S2_S2_EEvT3_20rocsparse_direction_NS_24const_host_device_scalarIT1_EES3_PKS3_PKT2_SC_S9_PKT4_PKT5_S7_PT6_21rocsparse_index_base_b
		.amdhsa_group_segment_fixed_size 0
		.amdhsa_private_segment_fixed_size 0
		.amdhsa_kernarg_size 112
		.amdhsa_user_sgpr_count 6
		.amdhsa_user_sgpr_private_segment_buffer 1
		.amdhsa_user_sgpr_dispatch_ptr 0
		.amdhsa_user_sgpr_queue_ptr 0
		.amdhsa_user_sgpr_kernarg_segment_ptr 1
		.amdhsa_user_sgpr_dispatch_id 0
		.amdhsa_user_sgpr_flat_scratch_init 0
		.amdhsa_user_sgpr_private_segment_size 0
		.amdhsa_wavefront_size32 1
		.amdhsa_uses_dynamic_stack 0
		.amdhsa_system_sgpr_private_segment_wavefront_offset 0
		.amdhsa_system_sgpr_workgroup_id_x 1
		.amdhsa_system_sgpr_workgroup_id_y 0
		.amdhsa_system_sgpr_workgroup_id_z 0
		.amdhsa_system_sgpr_workgroup_info 0
		.amdhsa_system_vgpr_workitem_id 0
		.amdhsa_next_free_vgpr 160
		.amdhsa_next_free_sgpr 16
		.amdhsa_reserve_vcc 1
		.amdhsa_reserve_flat_scratch 0
		.amdhsa_float_round_mode_32 0
		.amdhsa_float_round_mode_16_64 0
		.amdhsa_float_denorm_mode_32 3
		.amdhsa_float_denorm_mode_16_64 3
		.amdhsa_dx10_clamp 1
		.amdhsa_ieee_mode 1
		.amdhsa_fp16_overflow 0
		.amdhsa_workgroup_processor_mode 1
		.amdhsa_memory_ordered 1
		.amdhsa_forward_progress 1
		.amdhsa_shared_vgpr_count 0
		.amdhsa_exception_fp_ieee_invalid_op 0
		.amdhsa_exception_fp_denorm_src 0
		.amdhsa_exception_fp_ieee_div_zero 0
		.amdhsa_exception_fp_ieee_overflow 0
		.amdhsa_exception_fp_ieee_underflow 0
		.amdhsa_exception_fp_ieee_inexact 0
		.amdhsa_exception_int_div_zero 0
	.end_amdhsa_kernel
	.section	.text._ZN9rocsparseL18bsrxmvn_4x4_kernelILj128ELj16E21rocsparse_complex_numIdEiiS2_S2_S2_EEvT3_20rocsparse_direction_NS_24const_host_device_scalarIT1_EES3_PKS3_PKT2_SC_S9_PKT4_PKT5_S7_PT6_21rocsparse_index_base_b,"axG",@progbits,_ZN9rocsparseL18bsrxmvn_4x4_kernelILj128ELj16E21rocsparse_complex_numIdEiiS2_S2_S2_EEvT3_20rocsparse_direction_NS_24const_host_device_scalarIT1_EES3_PKS3_PKT2_SC_S9_PKT4_PKT5_S7_PT6_21rocsparse_index_base_b,comdat
.Lfunc_end17:
	.size	_ZN9rocsparseL18bsrxmvn_4x4_kernelILj128ELj16E21rocsparse_complex_numIdEiiS2_S2_S2_EEvT3_20rocsparse_direction_NS_24const_host_device_scalarIT1_EES3_PKS3_PKT2_SC_S9_PKT4_PKT5_S7_PT6_21rocsparse_index_base_b, .Lfunc_end17-_ZN9rocsparseL18bsrxmvn_4x4_kernelILj128ELj16E21rocsparse_complex_numIdEiiS2_S2_S2_EEvT3_20rocsparse_direction_NS_24const_host_device_scalarIT1_EES3_PKS3_PKT2_SC_S9_PKT4_PKT5_S7_PT6_21rocsparse_index_base_b
                                        ; -- End function
	.set _ZN9rocsparseL18bsrxmvn_4x4_kernelILj128ELj16E21rocsparse_complex_numIdEiiS2_S2_S2_EEvT3_20rocsparse_direction_NS_24const_host_device_scalarIT1_EES3_PKS3_PKT2_SC_S9_PKT4_PKT5_S7_PT6_21rocsparse_index_base_b.num_vgpr, 160
	.set _ZN9rocsparseL18bsrxmvn_4x4_kernelILj128ELj16E21rocsparse_complex_numIdEiiS2_S2_S2_EEvT3_20rocsparse_direction_NS_24const_host_device_scalarIT1_EES3_PKS3_PKT2_SC_S9_PKT4_PKT5_S7_PT6_21rocsparse_index_base_b.num_agpr, 0
	.set _ZN9rocsparseL18bsrxmvn_4x4_kernelILj128ELj16E21rocsparse_complex_numIdEiiS2_S2_S2_EEvT3_20rocsparse_direction_NS_24const_host_device_scalarIT1_EES3_PKS3_PKT2_SC_S9_PKT4_PKT5_S7_PT6_21rocsparse_index_base_b.numbered_sgpr, 16
	.set _ZN9rocsparseL18bsrxmvn_4x4_kernelILj128ELj16E21rocsparse_complex_numIdEiiS2_S2_S2_EEvT3_20rocsparse_direction_NS_24const_host_device_scalarIT1_EES3_PKS3_PKT2_SC_S9_PKT4_PKT5_S7_PT6_21rocsparse_index_base_b.num_named_barrier, 0
	.set _ZN9rocsparseL18bsrxmvn_4x4_kernelILj128ELj16E21rocsparse_complex_numIdEiiS2_S2_S2_EEvT3_20rocsparse_direction_NS_24const_host_device_scalarIT1_EES3_PKS3_PKT2_SC_S9_PKT4_PKT5_S7_PT6_21rocsparse_index_base_b.private_seg_size, 0
	.set _ZN9rocsparseL18bsrxmvn_4x4_kernelILj128ELj16E21rocsparse_complex_numIdEiiS2_S2_S2_EEvT3_20rocsparse_direction_NS_24const_host_device_scalarIT1_EES3_PKS3_PKT2_SC_S9_PKT4_PKT5_S7_PT6_21rocsparse_index_base_b.uses_vcc, 1
	.set _ZN9rocsparseL18bsrxmvn_4x4_kernelILj128ELj16E21rocsparse_complex_numIdEiiS2_S2_S2_EEvT3_20rocsparse_direction_NS_24const_host_device_scalarIT1_EES3_PKS3_PKT2_SC_S9_PKT4_PKT5_S7_PT6_21rocsparse_index_base_b.uses_flat_scratch, 0
	.set _ZN9rocsparseL18bsrxmvn_4x4_kernelILj128ELj16E21rocsparse_complex_numIdEiiS2_S2_S2_EEvT3_20rocsparse_direction_NS_24const_host_device_scalarIT1_EES3_PKS3_PKT2_SC_S9_PKT4_PKT5_S7_PT6_21rocsparse_index_base_b.has_dyn_sized_stack, 0
	.set _ZN9rocsparseL18bsrxmvn_4x4_kernelILj128ELj16E21rocsparse_complex_numIdEiiS2_S2_S2_EEvT3_20rocsparse_direction_NS_24const_host_device_scalarIT1_EES3_PKS3_PKT2_SC_S9_PKT4_PKT5_S7_PT6_21rocsparse_index_base_b.has_recursion, 0
	.set _ZN9rocsparseL18bsrxmvn_4x4_kernelILj128ELj16E21rocsparse_complex_numIdEiiS2_S2_S2_EEvT3_20rocsparse_direction_NS_24const_host_device_scalarIT1_EES3_PKS3_PKT2_SC_S9_PKT4_PKT5_S7_PT6_21rocsparse_index_base_b.has_indirect_call, 0
	.section	.AMDGPU.csdata,"",@progbits
; Kernel info:
; codeLenInByte = 10548
; TotalNumSgprs: 18
; NumVgprs: 160
; ScratchSize: 0
; MemoryBound: 1
; FloatMode: 240
; IeeeMode: 1
; LDSByteSize: 0 bytes/workgroup (compile time only)
; SGPRBlocks: 0
; VGPRBlocks: 19
; NumSGPRsForWavesPerEU: 18
; NumVGPRsForWavesPerEU: 160
; Occupancy: 6
; WaveLimiterHint : 1
; COMPUTE_PGM_RSRC2:SCRATCH_EN: 0
; COMPUTE_PGM_RSRC2:USER_SGPR: 6
; COMPUTE_PGM_RSRC2:TRAP_HANDLER: 0
; COMPUTE_PGM_RSRC2:TGID_X_EN: 1
; COMPUTE_PGM_RSRC2:TGID_Y_EN: 0
; COMPUTE_PGM_RSRC2:TGID_Z_EN: 0
; COMPUTE_PGM_RSRC2:TIDIG_COMP_CNT: 0
	.section	.text._ZN9rocsparseL18bsrxmvn_4x4_kernelILj128ELj32E21rocsparse_complex_numIdEiiS2_S2_S2_EEvT3_20rocsparse_direction_NS_24const_host_device_scalarIT1_EES3_PKS3_PKT2_SC_S9_PKT4_PKT5_S7_PT6_21rocsparse_index_base_b,"axG",@progbits,_ZN9rocsparseL18bsrxmvn_4x4_kernelILj128ELj32E21rocsparse_complex_numIdEiiS2_S2_S2_EEvT3_20rocsparse_direction_NS_24const_host_device_scalarIT1_EES3_PKS3_PKT2_SC_S9_PKT4_PKT5_S7_PT6_21rocsparse_index_base_b,comdat
	.globl	_ZN9rocsparseL18bsrxmvn_4x4_kernelILj128ELj32E21rocsparse_complex_numIdEiiS2_S2_S2_EEvT3_20rocsparse_direction_NS_24const_host_device_scalarIT1_EES3_PKS3_PKT2_SC_S9_PKT4_PKT5_S7_PT6_21rocsparse_index_base_b ; -- Begin function _ZN9rocsparseL18bsrxmvn_4x4_kernelILj128ELj32E21rocsparse_complex_numIdEiiS2_S2_S2_EEvT3_20rocsparse_direction_NS_24const_host_device_scalarIT1_EES3_PKS3_PKT2_SC_S9_PKT4_PKT5_S7_PT6_21rocsparse_index_base_b
	.p2align	8
	.type	_ZN9rocsparseL18bsrxmvn_4x4_kernelILj128ELj32E21rocsparse_complex_numIdEiiS2_S2_S2_EEvT3_20rocsparse_direction_NS_24const_host_device_scalarIT1_EES3_PKS3_PKT2_SC_S9_PKT4_PKT5_S7_PT6_21rocsparse_index_base_b,@function
_ZN9rocsparseL18bsrxmvn_4x4_kernelILj128ELj32E21rocsparse_complex_numIdEiiS2_S2_S2_EEvT3_20rocsparse_direction_NS_24const_host_device_scalarIT1_EES3_PKS3_PKT2_SC_S9_PKT4_PKT5_S7_PT6_21rocsparse_index_base_b: ; @_ZN9rocsparseL18bsrxmvn_4x4_kernelILj128ELj32E21rocsparse_complex_numIdEiiS2_S2_S2_EEvT3_20rocsparse_direction_NS_24const_host_device_scalarIT1_EES3_PKS3_PKT2_SC_S9_PKT4_PKT5_S7_PT6_21rocsparse_index_base_b
; %bb.0:
	s_clause 0x1
	s_load_dwordx2 s[2:3], s[4:5], 0x68
	s_load_dwordx2 s[0:1], s[4:5], 0x8
	s_add_u32 s7, s4, 8
	s_addc_u32 s10, s5, 0
	s_add_u32 s11, s4, 0x50
	s_addc_u32 s12, s5, 0
	s_load_dwordx2 s[8:9], s[4:5], 0x50
	s_waitcnt lgkmcnt(0)
	s_bitcmp1_b32 s3, 0
	s_cselect_b32 s0, s7, s0
	s_cselect_b32 s1, s10, s1
	v_mov_b32_e32 v1, s0
	v_mov_b32_e32 v2, s1
	s_cselect_b32 s0, s11, s8
	s_cselect_b32 s1, s12, s9
	flat_load_dwordx4 v[5:8], v[1:2]
	v_mov_b32_e32 v1, s0
	v_mov_b32_e32 v2, s1
	flat_load_dwordx4 v[1:4], v[1:2]
	s_waitcnt vmcnt(1) lgkmcnt(1)
	v_cmp_eq_f64_e32 vcc_lo, 0, v[5:6]
	v_cmp_eq_f64_e64 s0, 0, v[7:8]
	s_and_b32 s3, vcc_lo, s0
	s_mov_b32 s0, -1
	s_and_saveexec_b32 s1, s3
	s_cbranch_execz .LBB18_2
; %bb.1:
	s_waitcnt vmcnt(0) lgkmcnt(0)
	v_cmp_neq_f64_e32 vcc_lo, 1.0, v[1:2]
	v_cmp_neq_f64_e64 s0, 0, v[3:4]
	s_or_b32 s0, vcc_lo, s0
	s_orn2_b32 s0, s0, exec_lo
.LBB18_2:
	s_or_b32 exec_lo, exec_lo, s1
	s_and_saveexec_b32 s1, s0
	s_cbranch_execz .LBB18_8
; %bb.3:
	s_clause 0x1
	s_load_dwordx2 s[8:9], s[4:5], 0x20
	s_load_dwordx2 s[0:1], s[4:5], 0x0
	v_lshrrev_b32_e32 v9, 5, v0
	v_lshl_or_b32 v93, s6, 2, v9
	s_waitcnt lgkmcnt(0)
	s_cmp_lg_u64 s[8:9], 0
	s_cbranch_scc0 .LBB18_9
; %bb.4:
	s_load_dword s3, s[4:5], 0x18
	s_mov_b32 s6, 0
                                        ; implicit-def: $vgpr9
	s_waitcnt lgkmcnt(0)
	v_cmp_gt_i32_e32 vcc_lo, s3, v93
	s_mov_b32 s3, 0
	s_and_saveexec_b32 s7, vcc_lo
	s_xor_b32 s7, exec_lo, s7
	s_cbranch_execz .LBB18_6
; %bb.5:
	v_ashrrev_i32_e32 v94, 31, v93
	s_mov_b32 s3, exec_lo
	v_lshlrev_b64 v[9:10], 2, v[93:94]
	v_add_co_u32 v9, vcc_lo, s8, v9
	v_add_co_ci_u32_e64 v10, null, s9, v10, vcc_lo
	global_load_dword v9, v[9:10], off
	s_waitcnt vmcnt(0)
	v_subrev_nc_u32_e32 v9, s2, v9
.LBB18_6:
	s_or_b32 exec_lo, exec_lo, s7
	s_and_b32 vcc_lo, exec_lo, s6
	s_cbranch_vccz .LBB18_10
.LBB18_7:
	v_cmp_gt_i32_e32 vcc_lo, s0, v93
	s_andn2_b32 s0, s3, exec_lo
	s_and_b32 s3, vcc_lo, exec_lo
	s_or_b32 s3, s0, s3
	s_and_b32 exec_lo, exec_lo, s3
	s_cbranch_execnz .LBB18_11
.LBB18_8:
	s_endpgm
.LBB18_9:
	s_mov_b32 s3, 0
                                        ; implicit-def: $vgpr9
	s_cbranch_execnz .LBB18_7
.LBB18_10:
	v_mov_b32_e32 v93, v9
	s_and_b32 exec_lo, exec_lo, s3
	s_cbranch_execz .LBB18_8
.LBB18_11:
	s_load_dwordx8 s[8:15], s[4:5], 0x28
	v_ashrrev_i32_e32 v94, 31, v93
	v_and_b32_e32 v0, 31, v0
	s_load_dwordx2 s[6:7], s[4:5], 0x48
	v_lshlrev_b64 v[9:10], 2, v[93:94]
	s_waitcnt lgkmcnt(0)
	v_add_co_u32 v11, vcc_lo, s8, v9
	v_add_co_ci_u32_e64 v12, null, s9, v10, vcc_lo
	v_add_co_u32 v9, vcc_lo, s10, v9
	v_add_co_ci_u32_e64 v10, null, s11, v10, vcc_lo
	global_load_dword v125, v[11:12], off
	v_add_co_u32 v11, vcc_lo, v11, 4
	v_add_co_ci_u32_e64 v12, null, 0, v12, vcc_lo
	s_cmp_eq_u64 s[10:11], 0
	s_cselect_b32 vcc_lo, -1, 0
	s_cmp_eq_u32 s1, 1
	v_cndmask_b32_e32 v10, v10, v12, vcc_lo
	v_cndmask_b32_e32 v9, v9, v11, vcc_lo
	global_load_dword v11, v[9:10], off
	s_waitcnt vmcnt(1)
	v_subrev_nc_u32_e32 v9, s2, v125
	v_add_nc_u32_e32 v94, v9, v0
	v_ashrrev_i32_e32 v95, 31, v94
	s_waitcnt vmcnt(0)
	v_subrev_nc_u32_e32 v124, s2, v11
	v_lshlrev_b64 v[9:10], 8, v[94:95]
	v_cmp_lt_i32_e64 s0, v94, v124
	v_add_co_u32 v96, vcc_lo, s14, v9
	v_add_co_ci_u32_e64 v97, null, s15, v10, vcc_lo
	s_cbranch_scc1 .LBB18_23
; %bb.12:
	v_mov_b32_e32 v102, 0
	v_mov_b32_e32 v110, 0
	;; [unrolled: 1-line block ×16, first 2 shown]
	s_and_saveexec_b32 s3, s0
	s_cbranch_execz .LBB18_22
; %bb.13:
	v_add_nc_u32_e32 v9, v125, v0
	v_not_b32_e32 v10, v125
	v_mov_b32_e32 v108, 0
	v_mov_b32_e32 v112, 0
	;; [unrolled: 1-line block ×3, first 2 shown]
	v_subrev_nc_u32_e32 v9, s2, v9
	v_mov_b32_e32 v104, 0
	v_mov_b32_e32 v98, 0
	;; [unrolled: 1-line block ×4, first 2 shown]
	v_add_nc_u32_e32 v9, 32, v9
	v_mov_b32_e32 v102, 0
	v_mov_b32_e32 v117, v97
	;; [unrolled: 1-line block ×4, first 2 shown]
	v_max_i32_e32 v9, v9, v124
	v_mov_b32_e32 v107, 0
	v_mov_b32_e32 v105, 0
	;; [unrolled: 1-line block ×4, first 2 shown]
	v_add3_u32 v9, s2, v9, v10
	v_mov_b32_e32 v111, 0
	v_mov_b32_e32 v103, 0
	;; [unrolled: 1-line block ×4, first 2 shown]
	v_sub_nc_u32_e32 v9, v9, v0
	s_mov_b32 s1, exec_lo
	v_and_b32_e32 v10, 0x60, v9
	v_cmpx_ne_u32_e32 0x60, v10
	s_cbranch_execz .LBB18_17
; %bb.14:
	v_lshrrev_b32_e32 v10, 5, v9
	v_mov_b32_e32 v102, 0
	v_mov_b32_e32 v110, 0
	;; [unrolled: 1-line block ×4, first 2 shown]
	v_add_nc_u32_e32 v10, 1, v10
	v_mov_b32_e32 v104, 0
	v_mov_b32_e32 v106, 0
	;; [unrolled: 1-line block ×4, first 2 shown]
	v_and_b32_e32 v10, 3, v10
	v_mov_b32_e32 v117, v97
	v_mov_b32_e32 v103, 0
	;; [unrolled: 1-line block ×10, first 2 shown]
	v_sub_nc_u32_e32 v10, 0, v10
	v_mov_b32_e32 v116, v96
	s_mov_b32 s8, 0
.LBB18_15:                              ; =>This Inner Loop Header: Depth=1
	v_ashrrev_i32_e32 v115, 31, v114
	v_add_co_u32 v10, s9, v10, 1
	s_or_b32 s8, s9, s8
	v_lshlrev_b64 v[11:12], 2, v[114:115]
	v_add_nc_u32_e32 v114, 32, v114
	v_add_co_u32 v11, vcc_lo, s12, v11
	v_add_co_ci_u32_e64 v12, null, s13, v12, vcc_lo
	global_load_dword v43, v[11:12], off
	s_clause 0x7
	global_load_dwordx4 v[11:14], v[116:117], off offset:16
	global_load_dwordx4 v[15:18], v[116:117], off
	global_load_dwordx4 v[19:22], v[116:117], off offset:80
	global_load_dwordx4 v[23:26], v[116:117], off offset:64
	;; [unrolled: 1-line block ×6, first 2 shown]
	s_waitcnt vmcnt(8)
	v_subrev_nc_u32_e32 v43, s2, v43
	v_lshlrev_b32_e32 v43, 2, v43
	v_ashrrev_i32_e32 v44, 31, v43
	v_lshlrev_b64 v[43:44], 4, v[43:44]
	v_add_co_u32 v87, vcc_lo, s6, v43
	v_add_co_ci_u32_e64 v88, null, s7, v44, vcc_lo
	s_clause 0x1
	global_load_dwordx4 v[43:46], v[87:88], off
	global_load_dwordx4 v[47:50], v[87:88], off offset:16
	s_clause 0x7
	global_load_dwordx4 v[51:54], v[116:117], off offset:48
	global_load_dwordx4 v[55:58], v[116:117], off offset:32
	;; [unrolled: 1-line block ×8, first 2 shown]
	s_clause 0x1
	global_load_dwordx4 v[83:86], v[87:88], off offset:32
	global_load_dwordx4 v[87:90], v[87:88], off offset:48
	v_add_co_u32 v116, vcc_lo, 0x2000, v116
	v_add_co_ci_u32_e64 v117, null, 0, v117, vcc_lo
	s_waitcnt vmcnt(11)
	v_fma_f64 v[91:92], v[15:16], v[43:44], v[110:111]
	v_fma_f64 v[102:103], v[17:18], v[43:44], v[102:103]
	v_fma_f64 v[110:111], v[23:24], v[43:44], v[112:113]
	v_fma_f64 v[108:109], v[25:26], v[43:44], v[108:109]
	v_fma_f64 v[104:105], v[31:32], v[43:44], v[104:105]
	v_fma_f64 v[106:107], v[33:34], v[43:44], v[106:107]
	v_fma_f64 v[100:101], v[39:40], v[43:44], v[100:101]
	v_fma_f64 v[43:44], v[41:42], v[43:44], v[98:99]
	v_fma_f64 v[17:18], -v[17:18], v[45:46], v[91:92]
	v_fma_f64 v[15:16], v[15:16], v[45:46], v[102:103]
	v_fma_f64 v[25:26], -v[25:26], v[45:46], v[110:111]
	v_fma_f64 v[23:24], v[23:24], v[45:46], v[108:109]
	v_fma_f64 v[33:34], -v[33:34], v[45:46], v[104:105]
	v_fma_f64 v[31:32], v[31:32], v[45:46], v[106:107]
	v_fma_f64 v[41:42], -v[41:42], v[45:46], v[100:101]
	v_fma_f64 v[39:40], v[39:40], v[45:46], v[43:44]
	s_waitcnt vmcnt(10)
	v_fma_f64 v[17:18], v[11:12], v[47:48], v[17:18]
	v_fma_f64 v[15:16], v[13:14], v[47:48], v[15:16]
	v_fma_f64 v[25:26], v[19:20], v[47:48], v[25:26]
	v_fma_f64 v[23:24], v[21:22], v[47:48], v[23:24]
	v_fma_f64 v[33:34], v[27:28], v[47:48], v[33:34]
	v_fma_f64 v[31:32], v[29:30], v[47:48], v[31:32]
	v_fma_f64 v[41:42], v[35:36], v[47:48], v[41:42]
	v_fma_f64 v[39:40], v[37:38], v[47:48], v[39:40]
	v_fma_f64 v[13:14], -v[13:14], v[49:50], v[17:18]
	v_fma_f64 v[11:12], v[11:12], v[49:50], v[15:16]
	v_fma_f64 v[15:16], -v[21:22], v[49:50], v[25:26]
	v_fma_f64 v[17:18], v[19:20], v[49:50], v[23:24]
	v_fma_f64 v[19:20], -v[29:30], v[49:50], v[33:34]
	v_fma_f64 v[21:22], v[27:28], v[49:50], v[31:32]
	v_fma_f64 v[23:24], -v[37:38], v[49:50], v[41:42]
	v_fma_f64 v[25:26], v[35:36], v[49:50], v[39:40]
	;; [unrolled: 17-line block ×4, first 2 shown]
	s_andn2_b32 exec_lo, exec_lo, s8
	s_cbranch_execnz .LBB18_15
; %bb.16:
	s_or_b32 exec_lo, exec_lo, s8
.LBB18_17:
	s_or_b32 exec_lo, exec_lo, s1
	s_mov_b32 s8, exec_lo
	v_cmpx_lt_u32_e32 0x5f, v9
	s_cbranch_execz .LBB18_21
; %bb.18:
	s_mov_b32 s9, 0
.LBB18_19:                              ; =>This Inner Loop Header: Depth=1
	v_ashrrev_i32_e32 v115, 31, v114
	v_add_co_u32 v118, vcc_lo, 0x2000, v116
	v_add_co_ci_u32_e64 v119, null, 0, v117, vcc_lo
	v_lshlrev_b64 v[142:143], 2, v[114:115]
	v_add_co_u32 v122, vcc_lo, 0x4000, v116
	v_add_co_ci_u32_e64 v123, null, 0, v117, vcc_lo
	v_add_co_u32 v120, vcc_lo, 0x6000, v116
	v_add_co_ci_u32_e64 v121, null, 0, v117, vcc_lo
	;; [unrolled: 2-line block ×3, first 2 shown]
	s_clause 0x18
	global_load_dwordx4 v[9:12], v[116:117], off offset:48
	global_load_dwordx4 v[13:16], v[116:117], off offset:32
	;; [unrolled: 1-line block ×3, first 2 shown]
	global_load_dwordx4 v[25:28], v[116:117], off
	global_load_dwordx4 v[21:24], v[116:117], off offset:112
	global_load_dwordx4 v[29:32], v[116:117], off offset:96
	;; [unrolled: 1-line block ×14, first 2 shown]
	global_load_dwordx4 v[126:129], v[118:119], off
	global_load_dwordx4 v[130:133], v[118:119], off offset:16
	global_load_dwordx4 v[77:80], v[118:119], off offset:112
	;; [unrolled: 1-line block ×6, first 2 shown]
	s_clause 0x3
	global_load_dword v95, v[142:143], off
	global_load_dword v115, v[142:143], off offset:128
	global_load_dword v158, v[142:143], off offset:256
	;; [unrolled: 1-line block ×3, first 2 shown]
	v_add_nc_u32_e32 v114, 0x80, v114
	v_add_co_u32 v116, s1, 0x8000, v116
	v_add_co_ci_u32_e64 v117, null, 0, v117, s1
	s_waitcnt vmcnt(3)
	v_subrev_nc_u32_e32 v95, s2, v95
	v_lshlrev_b32_e32 v142, 2, v95
	s_waitcnt vmcnt(2)
	v_subrev_nc_u32_e32 v95, s2, v115
	v_ashrrev_i32_e32 v143, 31, v142
	v_lshlrev_b64 v[142:143], 4, v[142:143]
	v_add_co_u32 v150, vcc_lo, s6, v142
	v_add_co_ci_u32_e64 v151, null, s7, v143, vcc_lo
	s_clause 0x1
	global_load_dwordx4 v[142:145], v[150:151], off
	global_load_dwordx4 v[146:149], v[150:151], off offset:16
	s_waitcnt vmcnt(1)
	v_fma_f64 v[102:103], v[27:28], v[142:143], v[102:103]
	v_fma_f64 v[112:113], v[49:50], v[142:143], v[112:113]
	v_fma_f64 v[110:111], v[25:26], v[142:143], v[110:111]
	v_fma_f64 v[108:109], v[51:52], v[142:143], v[108:109]
	v_fma_f64 v[104:105], v[61:62], v[142:143], v[104:105]
	v_fma_f64 v[106:107], v[63:64], v[142:143], v[106:107]
	v_fma_f64 v[100:101], v[69:70], v[142:143], v[100:101]
	v_fma_f64 v[98:99], v[71:72], v[142:143], v[98:99]
	v_fma_f64 v[102:103], v[25:26], v[144:145], v[102:103]
	v_fma_f64 v[112:113], -v[51:52], v[144:145], v[112:113]
	v_fma_f64 v[110:111], -v[27:28], v[144:145], v[110:111]
	v_fma_f64 v[108:109], v[49:50], v[144:145], v[108:109]
	v_fma_f64 v[104:105], -v[63:64], v[144:145], v[104:105]
	v_fma_f64 v[106:107], v[61:62], v[144:145], v[106:107]
	;; [unrolled: 2-line block ×3, first 2 shown]
	s_clause 0x4
	global_load_dwordx4 v[25:28], v[118:119], off offset:160
	global_load_dwordx4 v[49:52], v[118:119], off offset:144
	;; [unrolled: 1-line block ×5, first 2 shown]
	s_waitcnt vmcnt(5)
	v_fma_f64 v[102:103], v[19:20], v[146:147], v[102:103]
	v_fma_f64 v[110:111], v[17:18], v[146:147], v[110:111]
	;; [unrolled: 1-line block ×5, first 2 shown]
	v_fma_f64 v[110:111], -v[19:20], v[148:149], v[110:111]
	global_load_dwordx4 v[17:20], v[118:119], off offset:208
	v_fma_f64 v[154:155], v[37:38], v[148:149], v[108:109]
	v_fma_f64 v[112:113], -v[39:40], v[148:149], v[102:103]
	v_fma_f64 v[102:103], v[53:54], v[146:147], v[104:105]
	v_fma_f64 v[104:105], v[55:56], v[146:147], v[106:107]
	global_load_dwordx4 v[37:40], v[118:119], off offset:192
	v_fma_f64 v[118:119], -v[55:56], v[148:149], v[102:103]
	v_fma_f64 v[156:157], v[53:54], v[148:149], v[104:105]
	v_fma_f64 v[102:103], v[65:66], v[146:147], v[142:143]
	;; [unrolled: 1-line block ×3, first 2 shown]
	global_load_dwordx4 v[53:56], v[122:123], off
	v_fma_f64 v[142:143], -v[67:68], v[148:149], v[102:103]
	v_fma_f64 v[144:145], v[65:66], v[148:149], v[104:105]
	global_load_dwordx4 v[65:68], v[122:123], off offset:48
	s_clause 0x1
	global_load_dwordx4 v[102:105], v[150:151], off offset:32
	global_load_dwordx4 v[106:109], v[150:151], off offset:48
	s_waitcnt vmcnt(1)
	v_fma_f64 v[150:151], v[43:44], v[102:103], v[156:157]
	v_fma_f64 v[118:119], v[41:42], v[102:103], v[118:119]
	;; [unrolled: 1-line block ×9, first 2 shown]
	v_fma_f64 v[118:119], -v[43:44], v[104:105], v[118:119]
	v_fma_f64 v[110:111], -v[15:16], v[104:105], v[110:111]
	v_fma_f64 v[146:147], v[13:14], v[104:105], v[146:147]
	v_fma_f64 v[112:113], -v[31:32], v[104:105], v[112:113]
	v_fma_f64 v[148:149], v[29:30], v[104:105], v[148:149]
	;; [unrolled: 2-line block ×3, first 2 shown]
	s_clause 0x4
	global_load_dwordx4 v[13:16], v[122:123], off offset:32
	global_load_dwordx4 v[29:32], v[122:123], off offset:16
	;; [unrolled: 1-line block ×5, first 2 shown]
	s_waitcnt vmcnt(5)
	v_fma_f64 v[150:151], v[35:36], v[106:107], v[150:151]
	v_fma_f64 v[118:119], v[33:34], v[106:107], v[118:119]
	;; [unrolled: 1-line block ×7, first 2 shown]
	v_lshlrev_b32_e32 v33, 2, v95
	v_fma_f64 v[118:119], -v[35:36], v[108:109], v[118:119]
	v_fma_f64 v[35:36], v[47:48], v[106:107], v[144:145]
	v_fma_f64 v[110:111], -v[11:12], v[108:109], v[110:111]
	v_fma_f64 v[146:147], v[9:10], v[108:109], v[146:147]
	v_ashrrev_i32_e32 v34, 31, v33
	global_load_dwordx4 v[9:12], v[122:123], off offset:64
	v_fma_f64 v[112:113], -v[23:24], v[108:109], v[112:113]
	v_fma_f64 v[148:149], v[21:22], v[108:109], v[148:149]
	global_load_dwordx4 v[21:24], v[122:123], off offset:176
	v_lshlrev_b64 v[33:34], 4, v[33:34]
	v_subrev_nc_u32_e32 v95, s2, v158
	v_add_co_u32 v152, vcc_lo, s6, v33
	v_add_co_ci_u32_e64 v153, null, s7, v34, vcc_lo
	v_fma_f64 v[33:34], v[45:46], v[106:107], v[142:143]
	v_fma_f64 v[144:145], v[45:46], v[108:109], v[35:36]
	v_fma_f64 v[142:143], -v[47:48], v[108:109], v[33:34]
	s_clause 0x1
	global_load_dwordx4 v[33:36], v[152:153], off
	global_load_dwordx4 v[45:48], v[152:153], off offset:16
	s_waitcnt vmcnt(1)
	v_fma_f64 v[106:107], v[126:127], v[33:34], v[110:111]
	v_fma_f64 v[108:109], v[128:129], v[33:34], v[146:147]
	;; [unrolled: 1-line block ×8, first 2 shown]
	v_fma_f64 v[128:129], -v[128:129], v[35:36], v[106:107]
	v_fma_f64 v[126:127], v[126:127], v[35:36], v[108:109]
	v_fma_f64 v[140:141], -v[140:141], v[35:36], v[110:111]
	v_fma_f64 v[138:139], v[138:139], v[35:36], v[112:113]
	;; [unrolled: 2-line block ×4, first 2 shown]
	s_clause 0x4
	global_load_dwordx4 v[106:109], v[122:123], off offset:160
	global_load_dwordx4 v[110:113], v[122:123], off offset:144
	;; [unrolled: 1-line block ×5, first 2 shown]
	s_waitcnt vmcnt(5)
	v_fma_f64 v[128:129], v[130:131], v[45:46], v[128:129]
	v_fma_f64 v[126:127], v[132:133], v[45:46], v[126:127]
	;; [unrolled: 1-line block ×5, first 2 shown]
	v_fma_f64 v[148:149], -v[132:133], v[47:48], v[128:129]
	v_fma_f64 v[150:151], v[130:131], v[47:48], v[126:127]
	s_clause 0x1
	global_load_dwordx4 v[126:129], v[122:123], off offset:208
	global_load_dwordx4 v[130:133], v[122:123], off offset:192
	v_fma_f64 v[122:123], v[134:135], v[45:46], v[140:141]
	v_fma_f64 v[140:141], v[51:52], v[45:46], v[146:147]
	;; [unrolled: 1-line block ×4, first 2 shown]
	v_fma_f64 v[118:119], -v[51:52], v[47:48], v[118:119]
	v_fma_f64 v[142:143], -v[19:20], v[47:48], v[142:143]
	;; [unrolled: 1-line block ×3, first 2 shown]
	global_load_dwordx4 v[134:137], v[120:121], off
	v_fma_f64 v[140:141], v[49:50], v[47:48], v[140:141]
	global_load_dwordx4 v[49:52], v[120:121], off offset:48
	v_fma_f64 v[144:145], v[17:18], v[47:48], v[45:46]
	s_clause 0x1
	global_load_dwordx4 v[17:20], v[152:153], off offset:32
	global_load_dwordx4 v[45:48], v[152:153], off offset:48
	s_waitcnt vmcnt(1)
	v_fma_f64 v[146:147], v[81:82], v[17:18], v[148:149]
	v_fma_f64 v[148:149], v[83:84], v[17:18], v[150:151]
	v_fma_f64 v[122:123], v[89:90], v[17:18], v[122:123]
	v_fma_f64 v[138:139], v[91:92], v[17:18], v[138:139]
	v_fma_f64 v[118:119], v[25:26], v[17:18], v[118:119]
	v_fma_f64 v[140:141], v[27:28], v[17:18], v[140:141]
	v_fma_f64 v[142:143], v[98:99], v[17:18], v[142:143]
	v_fma_f64 v[17:18], v[100:101], v[17:18], v[144:145]
	v_lshlrev_b32_e32 v150, 2, v95
	v_subrev_nc_u32_e32 v95, s2, v159
	v_ashrrev_i32_e32 v151, 31, v150
	v_lshlrev_b64 v[150:151], 4, v[150:151]
	v_fma_f64 v[146:147], -v[83:84], v[19:20], v[146:147]
	v_fma_f64 v[148:149], v[81:82], v[19:20], v[148:149]
	v_fma_f64 v[122:123], -v[91:92], v[19:20], v[122:123]
	v_fma_f64 v[138:139], v[89:90], v[19:20], v[138:139]
	;; [unrolled: 2-line block ×4, first 2 shown]
	v_add_co_u32 v150, vcc_lo, s6, v150
	v_add_co_ci_u32_e64 v151, null, s7, v151, vcc_lo
	s_clause 0x4
	global_load_dwordx4 v[81:84], v[120:121], off offset:32
	global_load_dwordx4 v[89:92], v[120:121], off offset:16
	;; [unrolled: 1-line block ×5, first 2 shown]
	s_waitcnt vmcnt(5)
	v_fma_f64 v[146:147], v[73:74], v[45:46], v[146:147]
	v_fma_f64 v[148:149], v[75:76], v[45:46], v[148:149]
	;; [unrolled: 1-line block ×8, first 2 shown]
	v_fma_f64 v[146:147], -v[75:76], v[47:48], v[146:147]
	v_fma_f64 v[148:149], v[73:74], v[47:48], v[148:149]
	global_load_dwordx4 v[73:76], v[120:121], off offset:128
	v_fma_f64 v[122:123], -v[79:80], v[47:48], v[122:123]
	v_fma_f64 v[138:139], v[77:78], v[47:48], v[138:139]
	global_load_dwordx4 v[77:80], v[120:121], off offset:208
	;; [unrolled: 3-line block ×3, first 2 shown]
	v_fma_f64 v[142:143], -v[71:72], v[47:48], v[142:143]
	v_fma_f64 v[144:145], v[69:70], v[47:48], v[45:46]
	s_clause 0x1
	global_load_dwordx4 v[45:48], v[150:151], off
	global_load_dwordx4 v[69:72], v[150:151], off offset:16
	s_waitcnt vmcnt(1)
	v_fma_f64 v[146:147], v[53:54], v[45:46], v[146:147]
	v_fma_f64 v[148:149], v[55:56], v[45:46], v[148:149]
	;; [unrolled: 1-line block ×6, first 2 shown]
	v_fma_f64 v[146:147], -v[55:56], v[47:48], v[146:147]
	v_fma_f64 v[148:149], v[53:54], v[47:48], v[148:149]
	global_load_dwordx4 v[53:56], v[150:151], off offset:32
	v_fma_f64 v[152:153], v[9:10], v[47:48], v[138:139]
	v_fma_f64 v[138:139], v[63:64], v[45:46], v[140:141]
	;; [unrolled: 1-line block ×3, first 2 shown]
	v_fma_f64 v[132:133], -v[132:133], v[47:48], v[142:143]
	v_fma_f64 v[122:123], -v[11:12], v[47:48], v[122:123]
	;; [unrolled: 1-line block ×3, first 2 shown]
	global_load_dwordx4 v[9:12], v[120:121], off offset:96
	s_waitcnt vmcnt(2)
	v_fma_f64 v[144:145], v[29:30], v[69:70], v[146:147]
	v_fma_f64 v[146:147], v[31:32], v[69:70], v[148:149]
	;; [unrolled: 1-line block ×4, first 2 shown]
	global_load_dwordx4 v[138:141], v[150:151], off offset:48
	v_fma_f64 v[130:131], v[130:131], v[47:48], v[45:46]
	v_lshlrev_b32_e32 v45, 2, v95
	v_fma_f64 v[122:123], v[102:103], v[69:70], v[122:123]
	v_fma_f64 v[118:119], v[110:111], v[69:70], v[118:119]
	global_load_dwordx4 v[61:64], v[120:121], off offset:160
	v_ashrrev_i32_e32 v46, 31, v45
	v_lshlrev_b64 v[45:46], 4, v[45:46]
	v_fma_f64 v[144:145], -v[31:32], v[71:72], v[144:145]
	v_add_co_u32 v142, vcc_lo, s6, v45
	v_add_co_ci_u32_e64 v143, null, s7, v46, vcc_lo
	v_fma_f64 v[146:147], v[29:30], v[71:72], v[146:147]
	v_fma_f64 v[150:151], v[112:113], v[69:70], v[154:155]
	;; [unrolled: 1-line block ×3, first 2 shown]
	s_clause 0x1
	global_load_dwordx4 v[45:48], v[142:143], off
	global_load_dwordx4 v[29:32], v[142:143], off offset:16
	v_fma_f64 v[122:123], -v[104:105], v[71:72], v[122:123]
	global_load_dwordx4 v[102:105], v[120:121], off offset:224
	v_fma_f64 v[152:153], -v[112:113], v[71:72], v[118:119]
	v_fma_f64 v[118:119], v[126:127], v[69:70], v[132:133]
	v_fma_f64 v[69:70], v[128:129], v[69:70], v[130:131]
	v_cmp_ge_i32_e32 vcc_lo, v114, v124
	s_or_b32 s9, vcc_lo, s9
	v_fma_f64 v[150:151], v[110:111], v[71:72], v[150:151]
	global_load_dwordx4 v[110:113], v[142:143], off offset:32
	v_fma_f64 v[130:131], -v[128:129], v[71:72], v[118:119]
	v_fma_f64 v[132:133], v[126:127], v[71:72], v[69:70]
	s_clause 0x2
	global_load_dwordx4 v[69:72], v[120:121], off offset:112
	global_load_dwordx4 v[126:129], v[120:121], off offset:176
	;; [unrolled: 1-line block ×3, first 2 shown]
	s_waitcnt vmcnt(10)
	v_fma_f64 v[144:145], v[13:14], v[53:54], v[144:145]
	v_fma_f64 v[146:147], v[15:16], v[53:54], v[146:147]
	;; [unrolled: 1-line block ×5, first 2 shown]
	v_fma_f64 v[144:145], -v[15:16], v[55:56], v[144:145]
	v_fma_f64 v[146:147], v[13:14], v[55:56], v[146:147]
	global_load_dwordx4 v[13:16], v[142:143], off offset:48
	v_fma_f64 v[142:143], v[59:60], v[53:54], v[148:149]
	v_fma_f64 v[148:149], v[106:107], v[53:54], v[152:153]
	;; [unrolled: 1-line block ×3, first 2 shown]
	v_fma_f64 v[59:60], -v[59:60], v[55:56], v[122:123]
	v_fma_f64 v[106:107], v[106:107], v[55:56], v[150:151]
	v_fma_f64 v[39:40], -v[39:40], v[55:56], v[130:131]
	v_fma_f64 v[57:58], v[57:58], v[55:56], v[142:143]
	v_fma_f64 v[108:109], -v[108:109], v[55:56], v[148:149]
	v_fma_f64 v[37:38], v[37:38], v[55:56], v[53:54]
	s_waitcnt vmcnt(9)
	v_fma_f64 v[53:54], v[65:66], v[138:139], v[144:145]
	v_fma_f64 v[55:56], v[67:68], v[138:139], v[146:147]
	v_fma_f64 v[59:60], v[41:42], v[138:139], v[59:60]
	v_fma_f64 v[106:107], v[23:24], v[138:139], v[106:107]
	v_fma_f64 v[39:40], v[33:34], v[138:139], v[39:40]
	v_fma_f64 v[57:58], v[43:44], v[138:139], v[57:58]
	v_fma_f64 v[108:109], v[21:22], v[138:139], v[108:109]
	v_fma_f64 v[37:38], v[35:36], v[138:139], v[37:38]
	v_fma_f64 v[53:54], -v[67:68], v[140:141], v[53:54]
	v_fma_f64 v[55:56], v[65:66], v[140:141], v[55:56]
	v_fma_f64 v[43:44], -v[43:44], v[140:141], v[59:60]
	v_fma_f64 v[21:22], v[21:22], v[140:141], v[106:107]
	v_fma_f64 v[35:36], -v[35:36], v[140:141], v[39:40]
	v_fma_f64 v[41:42], v[41:42], v[140:141], v[57:58]
	v_fma_f64 v[23:24], -v[23:24], v[140:141], v[108:109]
	v_fma_f64 v[33:34], v[33:34], v[140:141], v[37:38]
	s_waitcnt vmcnt(7)
	v_fma_f64 v[37:38], v[134:135], v[45:46], v[53:54]
	v_fma_f64 v[39:40], v[136:137], v[45:46], v[55:56]
	v_fma_f64 v[43:44], v[17:18], v[45:46], v[43:44]
	v_fma_f64 v[21:22], v[75:76], v[45:46], v[21:22]
	v_fma_f64 v[35:36], v[85:86], v[45:46], v[35:36]
	v_fma_f64 v[41:42], v[19:20], v[45:46], v[41:42]
	v_fma_f64 v[23:24], v[73:74], v[45:46], v[23:24]
	v_fma_f64 v[33:34], v[87:88], v[45:46], v[33:34]
	v_fma_f64 v[37:38], -v[136:137], v[47:48], v[37:38]
	v_fma_f64 v[39:40], v[134:135], v[47:48], v[39:40]
	;; [unrolled: 17-line block ×3, first 2 shown]
	v_fma_f64 v[19:20], -v[27:28], v[31:32], v[19:20]
	v_fma_f64 v[21:22], v[98:99], v[31:32], v[21:22]
	v_fma_f64 v[17:18], v[25:26], v[31:32], v[17:18]
	v_fma_f64 v[23:24], -v[100:101], v[31:32], v[23:24]
	v_fma_f64 v[25:26], -v[79:80], v[31:32], v[35:36]
	v_fma_f64 v[27:28], v[77:78], v[31:32], v[29:30]
	s_waitcnt vmcnt(4)
	v_fma_f64 v[29:30], v[81:82], v[110:111], v[33:34]
	v_fma_f64 v[31:32], v[83:84], v[110:111], v[37:38]
	;; [unrolled: 1-line block ×8, first 2 shown]
	v_fma_f64 v[29:30], -v[83:84], v[112:113], v[29:30]
	v_fma_f64 v[31:32], v[81:82], v[112:113], v[31:32]
	v_fma_f64 v[11:12], -v[11:12], v[112:113], v[19:20]
	v_fma_f64 v[19:20], v[61:62], v[112:113], v[21:22]
	v_fma_f64 v[9:10], v[9:10], v[112:113], v[17:18]
	v_fma_f64 v[17:18], -v[63:64], v[112:113], v[23:24]
	v_fma_f64 v[21:22], -v[104:105], v[112:113], v[25:26]
	v_fma_f64 v[23:24], v[102:103], v[112:113], v[27:28]
	s_waitcnt vmcnt(0)
	v_fma_f64 v[25:26], v[49:50], v[13:14], v[29:30]
	v_fma_f64 v[27:28], v[51:52], v[13:14], v[31:32]
	;; [unrolled: 1-line block ×8, first 2 shown]
	v_fma_f64 v[110:111], -v[51:52], v[15:16], v[25:26]
	v_fma_f64 v[102:103], v[49:50], v[15:16], v[27:28]
	v_fma_f64 v[112:113], -v[71:72], v[15:16], v[11:12]
	v_fma_f64 v[108:109], v[69:70], v[15:16], v[9:10]
	;; [unrolled: 2-line block ×4, first 2 shown]
	s_andn2_b32 exec_lo, exec_lo, s9
	s_cbranch_execnz .LBB18_19
; %bb.20:
	s_or_b32 exec_lo, exec_lo, s9
.LBB18_21:
	s_or_b32 exec_lo, exec_lo, s8
.LBB18_22:
	s_or_b32 exec_lo, exec_lo, s3
	s_cbranch_execz .LBB18_24
	s_branch .LBB18_35
.LBB18_23:
                                        ; implicit-def: $vgpr102_vgpr103
                                        ; implicit-def: $vgpr110_vgpr111
                                        ; implicit-def: $vgpr100_vgpr101
                                        ; implicit-def: $vgpr98_vgpr99
                                        ; implicit-def: $vgpr104_vgpr105
                                        ; implicit-def: $vgpr106_vgpr107
                                        ; implicit-def: $vgpr112_vgpr113
                                        ; implicit-def: $vgpr108_vgpr109
.LBB18_24:
	v_mov_b32_e32 v102, 0
	v_mov_b32_e32 v110, 0
	;; [unrolled: 1-line block ×16, first 2 shown]
	s_and_saveexec_b32 s1, s0
	s_cbranch_execz .LBB18_34
; %bb.25:
	v_add_nc_u32_e32 v9, v125, v0
	v_not_b32_e32 v10, v125
	v_mov_b32_e32 v108, 0
	v_mov_b32_e32 v112, 0
	;; [unrolled: 1-line block ×3, first 2 shown]
	v_subrev_nc_u32_e32 v9, s2, v9
	v_mov_b32_e32 v104, 0
	v_mov_b32_e32 v98, 0
	;; [unrolled: 1-line block ×4, first 2 shown]
	v_add_nc_u32_e32 v9, 32, v9
	v_mov_b32_e32 v102, 0
	v_mov_b32_e32 v109, 0
	;; [unrolled: 1-line block ×4, first 2 shown]
	v_max_i32_e32 v9, v9, v124
	v_mov_b32_e32 v105, 0
	v_mov_b32_e32 v99, 0
	;; [unrolled: 1-line block ×4, first 2 shown]
	v_add3_u32 v9, s2, v9, v10
	v_mov_b32_e32 v103, 0
	s_mov_b32 s0, exec_lo
	v_sub_nc_u32_e32 v9, v9, v0
	v_and_b32_e32 v10, 0x60, v9
	v_cmpx_ne_u32_e32 0x60, v10
	s_cbranch_execz .LBB18_29
; %bb.26:
	v_lshrrev_b32_e32 v10, 5, v9
	v_mov_b32_e32 v102, 0
	v_mov_b32_e32 v110, 0
	v_mov_b32_e32 v100, 0
	v_mov_b32_e32 v98, 0
	v_add_nc_u32_e32 v10, 1, v10
	v_mov_b32_e32 v104, 0
	v_mov_b32_e32 v106, 0
	;; [unrolled: 1-line block ×4, first 2 shown]
	v_and_b32_e32 v10, 3, v10
	v_mov_b32_e32 v103, 0
	v_mov_b32_e32 v111, 0
	;; [unrolled: 1-line block ×8, first 2 shown]
	v_sub_nc_u32_e32 v10, 0, v10
	s_mov_b32 s3, 0
.LBB18_27:                              ; =>This Inner Loop Header: Depth=1
	v_ashrrev_i32_e32 v95, 31, v94
	v_add_co_u32 v10, s8, v10, 1
	s_or_b32 s3, s8, s3
	v_lshlrev_b64 v[11:12], 2, v[94:95]
	v_add_nc_u32_e32 v94, 32, v94
	v_add_co_u32 v11, vcc_lo, s12, v11
	v_add_co_ci_u32_e64 v12, null, s13, v12, vcc_lo
	global_load_dword v27, v[11:12], off
	s_clause 0x3
	global_load_dwordx4 v[11:14], v[96:97], off offset:48
	global_load_dwordx4 v[15:18], v[96:97], off offset:32
	;; [unrolled: 1-line block ×3, first 2 shown]
	global_load_dwordx4 v[23:26], v[96:97], off
	s_waitcnt vmcnt(4)
	v_subrev_nc_u32_e32 v27, s2, v27
	v_lshlrev_b32_e32 v27, 2, v27
	v_ashrrev_i32_e32 v28, 31, v27
	v_lshlrev_b64 v[27:28], 4, v[27:28]
	v_add_co_u32 v71, vcc_lo, s6, v27
	v_add_co_ci_u32_e64 v72, null, s7, v28, vcc_lo
	global_load_dwordx4 v[27:30], v[71:72], off
	s_clause 0x3
	global_load_dwordx4 v[31:34], v[96:97], off offset:112
	global_load_dwordx4 v[35:38], v[96:97], off offset:96
	;; [unrolled: 1-line block ×5, first 2 shown]
	s_clause 0x3
	global_load_dwordx4 v[51:54], v[96:97], off offset:176
	global_load_dwordx4 v[55:58], v[96:97], off offset:160
	;; [unrolled: 1-line block ×4, first 2 shown]
	s_clause 0x1
	global_load_dwordx4 v[67:70], v[71:72], off offset:32
	global_load_dwordx4 v[71:74], v[71:72], off offset:48
	s_clause 0x3
	global_load_dwordx4 v[75:78], v[96:97], off offset:192
	global_load_dwordx4 v[79:82], v[96:97], off offset:208
	;; [unrolled: 1-line block ×4, first 2 shown]
	v_add_co_u32 v96, vcc_lo, 0x2000, v96
	v_add_co_ci_u32_e64 v97, null, 0, v97, vcc_lo
	s_waitcnt vmcnt(15)
	v_fma_f64 v[91:92], v[23:24], v[27:28], v[110:111]
	v_fma_f64 v[102:103], v[25:26], v[27:28], v[102:103]
	v_fma_f64 v[110:111], v[19:20], v[27:28], v[112:113]
	v_fma_f64 v[108:109], v[21:22], v[27:28], v[108:109]
	v_fma_f64 v[104:105], v[15:16], v[27:28], v[104:105]
	v_fma_f64 v[106:107], v[17:18], v[27:28], v[106:107]
	v_fma_f64 v[100:101], v[11:12], v[27:28], v[100:101]
	v_fma_f64 v[27:28], v[13:14], v[27:28], v[98:99]
	v_fma_f64 v[25:26], -v[25:26], v[29:30], v[91:92]
	v_fma_f64 v[23:24], v[23:24], v[29:30], v[102:103]
	v_fma_f64 v[21:22], -v[21:22], v[29:30], v[110:111]
	v_fma_f64 v[19:20], v[19:20], v[29:30], v[108:109]
	v_fma_f64 v[17:18], -v[17:18], v[29:30], v[104:105]
	v_fma_f64 v[15:16], v[15:16], v[29:30], v[106:107]
	v_fma_f64 v[13:14], -v[13:14], v[29:30], v[100:101]
	v_fma_f64 v[11:12], v[11:12], v[29:30], v[27:28]
	s_waitcnt vmcnt(10)
	v_fma_f64 v[25:26], v[43:44], v[47:48], v[25:26]
	v_fma_f64 v[23:24], v[45:46], v[47:48], v[23:24]
	v_fma_f64 v[21:22], v[39:40], v[47:48], v[21:22]
	v_fma_f64 v[19:20], v[41:42], v[47:48], v[19:20]
	v_fma_f64 v[17:18], v[35:36], v[47:48], v[17:18]
	v_fma_f64 v[15:16], v[37:38], v[47:48], v[15:16]
	v_fma_f64 v[13:14], v[31:32], v[47:48], v[13:14]
	v_fma_f64 v[11:12], v[33:34], v[47:48], v[11:12]
	v_fma_f64 v[25:26], -v[45:46], v[49:50], v[25:26]
	v_fma_f64 v[23:24], v[43:44], v[49:50], v[23:24]
	v_fma_f64 v[21:22], -v[41:42], v[49:50], v[21:22]
	v_fma_f64 v[19:20], v[39:40], v[49:50], v[19:20]
	v_fma_f64 v[17:18], -v[37:38], v[49:50], v[17:18]
	v_fma_f64 v[15:16], v[35:36], v[49:50], v[15:16]
	v_fma_f64 v[13:14], -v[33:34], v[49:50], v[13:14]
	v_fma_f64 v[11:12], v[31:32], v[49:50], v[11:12]
	;; [unrolled: 17-line block ×3, first 2 shown]
	s_waitcnt vmcnt(3)
	v_fma_f64 v[25:26], v[75:76], v[71:72], v[25:26]
	v_fma_f64 v[23:24], v[77:78], v[71:72], v[23:24]
	s_waitcnt vmcnt(2)
	v_fma_f64 v[21:22], v[79:80], v[71:72], v[21:22]
	v_fma_f64 v[19:20], v[81:82], v[71:72], v[19:20]
	;; [unrolled: 3-line block ×4, first 2 shown]
	v_fma_f64 v[110:111], -v[77:78], v[73:74], v[25:26]
	v_fma_f64 v[102:103], v[75:76], v[73:74], v[23:24]
	v_fma_f64 v[112:113], -v[81:82], v[73:74], v[21:22]
	v_fma_f64 v[108:109], v[79:80], v[73:74], v[19:20]
	;; [unrolled: 2-line block ×4, first 2 shown]
	s_andn2_b32 exec_lo, exec_lo, s3
	s_cbranch_execnz .LBB18_27
; %bb.28:
	s_or_b32 exec_lo, exec_lo, s3
.LBB18_29:
	s_or_b32 exec_lo, exec_lo, s0
	s_mov_b32 s3, exec_lo
	v_cmpx_lt_u32_e32 0x5f, v9
	s_cbranch_execz .LBB18_33
; %bb.30:
	s_mov_b32 s8, 0
.LBB18_31:                              ; =>This Inner Loop Header: Depth=1
	v_ashrrev_i32_e32 v95, 31, v94
	v_add_co_u32 v91, vcc_lo, 0x2000, v96
	v_add_co_ci_u32_e64 v92, null, 0, v97, vcc_lo
	v_lshlrev_b64 v[118:119], 2, v[94:95]
	v_add_co_u32 v122, vcc_lo, 0x4000, v96
	v_add_co_ci_u32_e64 v123, null, 0, v97, vcc_lo
	v_add_co_u32 v69, vcc_lo, 0x6000, v96
	v_add_co_ci_u32_e64 v70, null, 0, v97, vcc_lo
	;; [unrolled: 2-line block ×3, first 2 shown]
	s_clause 0x14
	global_load_dwordx4 v[9:12], v[96:97], off offset:48
	global_load_dwordx4 v[17:20], v[96:97], off offset:32
	;; [unrolled: 1-line block ×3, first 2 shown]
	global_load_dwordx4 v[45:48], v[96:97], off
	global_load_dwordx4 v[33:36], v[96:97], off offset:112
	global_load_dwordx4 v[49:52], v[96:97], off offset:96
	;; [unrolled: 1-line block ×14, first 2 shown]
	global_load_dwordx4 v[83:86], v[91:92], off
	global_load_dwordx4 v[87:90], v[91:92], off offset:16
	global_load_dwordx4 v[114:117], v[91:92], off offset:112
	s_clause 0x3
	global_load_dword v95, v[118:119], off
	global_load_dword v137, v[118:119], off offset:128
	global_load_dword v138, v[118:119], off offset:256
	;; [unrolled: 1-line block ×3, first 2 shown]
	v_add_nc_u32_e32 v94, 0x80, v94
	v_add_co_u32 v96, s0, 0x8000, v96
	v_add_co_ci_u32_e64 v97, null, 0, v97, s0
	s_waitcnt vmcnt(3)
	v_subrev_nc_u32_e32 v95, s2, v95
	v_lshlrev_b32_e32 v118, 2, v95
	s_waitcnt vmcnt(2)
	v_subrev_nc_u32_e32 v95, s2, v137
	v_ashrrev_i32_e32 v119, 31, v118
	v_lshlrev_b64 v[118:119], 4, v[118:119]
	v_add_co_u32 v129, vcc_lo, s6, v118
	v_add_co_ci_u32_e64 v130, null, s7, v119, vcc_lo
	s_clause 0x1
	global_load_dwordx4 v[118:121], v[129:130], off
	global_load_dwordx4 v[125:128], v[129:130], off offset:16
	s_waitcnt vmcnt(1)
	v_fma_f64 v[102:103], v[47:48], v[118:119], v[102:103]
	v_fma_f64 v[112:113], v[29:30], v[118:119], v[112:113]
	;; [unrolled: 1-line block ×9, first 2 shown]
	v_fma_f64 v[112:113], -v[31:32], v[120:121], v[112:113]
	v_fma_f64 v[104:105], -v[19:20], v[120:121], v[104:105]
	v_fma_f64 v[106:107], v[17:18], v[120:121], v[106:107]
	v_fma_f64 v[110:111], -v[47:48], v[120:121], v[110:111]
	v_fma_f64 v[108:109], v[29:30], v[120:121], v[108:109]
	;; [unrolled: 2-line block ×3, first 2 shown]
	s_clause 0x4
	global_load_dwordx4 v[45:48], v[91:92], off offset:96
	global_load_dwordx4 v[29:32], v[91:92], off offset:80
	;; [unrolled: 1-line block ×5, first 2 shown]
	s_waitcnt vmcnt(5)
	v_fma_f64 v[102:103], v[63:64], v[125:126], v[102:103]
	v_fma_f64 v[110:111], v[61:62], v[125:126], v[110:111]
	;; [unrolled: 1-line block ×5, first 2 shown]
	v_fma_f64 v[110:111], -v[63:64], v[127:128], v[110:111]
	global_load_dwordx4 v[61:64], v[91:92], off offset:144
	v_fma_f64 v[108:109], v[53:54], v[127:128], v[108:109]
	v_fma_f64 v[112:113], -v[55:56], v[127:128], v[102:103]
	v_fma_f64 v[102:103], v[49:50], v[125:126], v[104:105]
	v_fma_f64 v[104:105], v[51:52], v[125:126], v[106:107]
	global_load_dwordx4 v[53:56], v[91:92], off offset:128
	v_fma_f64 v[133:134], -v[51:52], v[127:128], v[102:103]
	v_fma_f64 v[135:136], v[49:50], v[127:128], v[104:105]
	v_fma_f64 v[102:103], v[33:34], v[125:126], v[118:119]
	;; [unrolled: 1-line block ×3, first 2 shown]
	global_load_dwordx4 v[49:52], v[91:92], off offset:240
	v_fma_f64 v[118:119], -v[35:36], v[127:128], v[102:103]
	v_fma_f64 v[120:121], v[33:34], v[127:128], v[104:105]
	s_clause 0x1
	global_load_dwordx4 v[33:36], v[129:130], off offset:32
	global_load_dwordx4 v[102:105], v[129:130], off offset:48
	s_waitcnt vmcnt(1)
	v_fma_f64 v[106:107], v[65:66], v[33:34], v[110:111]
	v_fma_f64 v[110:111], v[67:68], v[33:34], v[131:132]
	;; [unrolled: 1-line block ×5, first 2 shown]
	v_fma_f64 v[125:126], -v[67:68], v[35:36], v[106:107]
	v_fma_f64 v[106:107], v[57:58], v[33:34], v[112:113]
	v_fma_f64 v[110:111], v[65:66], v[35:36], v[110:111]
	global_load_dwordx4 v[65:68], v[91:92], off offset:224
	v_fma_f64 v[127:128], v[57:58], v[35:36], v[108:109]
	v_fma_f64 v[129:130], v[37:38], v[35:36], v[129:130]
	v_fma_f64 v[118:119], -v[23:24], v[35:36], v[118:119]
	s_waitcnt vmcnt(1)
	v_fma_f64 v[125:126], v[71:72], v[102:103], v[125:126]
	v_fma_f64 v[112:113], -v[59:60], v[35:36], v[106:107]
	s_clause 0x1
	global_load_dwordx4 v[57:60], v[91:92], off offset:208
	global_load_dwordx4 v[106:109], v[91:92], off offset:192
	v_fma_f64 v[91:92], v[37:38], v[33:34], v[133:134]
	v_fma_f64 v[33:34], v[23:24], v[33:34], v[120:121]
	;; [unrolled: 1-line block ×5, first 2 shown]
	v_fma_f64 v[125:126], -v[73:74], v[104:105], v[125:126]
	v_fma_f64 v[112:113], v[41:42], v[102:103], v[112:113]
	v_fma_f64 v[91:92], -v[39:40], v[35:36], v[91:92]
	v_fma_f64 v[120:121], v[21:22], v[35:36], v[33:34]
	v_fma_f64 v[129:130], v[25:26], v[104:105], v[129:130]
	s_clause 0x2
	global_load_dwordx4 v[37:40], v[122:123], off
	global_load_dwordx4 v[21:24], v[122:123], off offset:48
	global_load_dwordx4 v[33:36], v[122:123], off offset:32
	v_fma_f64 v[110:111], v[71:72], v[104:105], v[110:111]
	global_load_dwordx4 v[71:74], v[122:123], off offset:16
	v_fma_f64 v[127:128], v[41:42], v[104:105], v[127:128]
	v_fma_f64 v[112:113], -v[43:44], v[104:105], v[112:113]
	global_load_dwordx4 v[41:44], v[122:123], off offset:112
	v_fma_f64 v[91:92], v[25:26], v[102:103], v[91:92]
	v_lshlrev_b32_e32 v25, 2, v95
	v_subrev_nc_u32_e32 v95, s2, v138
	v_ashrrev_i32_e32 v26, 31, v25
	v_lshlrev_b64 v[25:26], 4, v[25:26]
	v_add_co_u32 v131, vcc_lo, s6, v25
	v_add_co_ci_u32_e64 v132, null, s7, v26, vcc_lo
	v_fma_f64 v[25:26], v[13:14], v[102:103], v[118:119]
	v_fma_f64 v[91:92], -v[27:28], v[104:105], v[91:92]
	v_fma_f64 v[27:28], v[15:16], v[102:103], v[120:121]
	v_fma_f64 v[102:103], -v[15:16], v[104:105], v[25:26]
	v_fma_f64 v[104:105], v[13:14], v[104:105], v[27:28]
	s_clause 0x1
	global_load_dwordx4 v[13:16], v[131:132], off
	global_load_dwordx4 v[25:28], v[131:132], off offset:16
	s_waitcnt vmcnt(1)
	v_fma_f64 v[110:111], v[85:86], v[13:14], v[110:111]
	v_fma_f64 v[112:113], v[87:88], v[13:14], v[112:113]
	;; [unrolled: 1-line block ×9, first 2 shown]
	v_fma_f64 v[112:113], -v[89:90], v[15:16], v[112:113]
	v_fma_f64 v[118:119], -v[85:86], v[15:16], v[118:119]
	v_fma_f64 v[120:121], v[87:88], v[15:16], v[120:121]
	v_fma_f64 v[91:92], -v[81:82], v[15:16], v[91:92]
	v_fma_f64 v[125:126], v[79:80], v[15:16], v[125:126]
	v_fma_f64 v[102:103], -v[77:78], v[15:16], v[102:103]
	v_fma_f64 v[104:105], v[75:76], v[15:16], v[13:14]
	s_clause 0x4
	global_load_dwordx4 v[83:86], v[122:123], off offset:96
	global_load_dwordx4 v[87:90], v[122:123], off offset:80
	;; [unrolled: 1-line block ×5, first 2 shown]
	s_waitcnt vmcnt(5)
	v_fma_f64 v[110:111], v[19:20], v[25:26], v[110:111]
	v_fma_f64 v[118:119], v[17:18], v[25:26], v[118:119]
	;; [unrolled: 1-line block ×7, first 2 shown]
	v_fma_f64 v[118:119], -v[19:20], v[27:28], v[118:119]
	global_load_dwordx4 v[17:20], v[122:123], off offset:144
	v_fma_f64 v[91:92], -v[47:48], v[27:28], v[91:92]
	v_fma_f64 v[120:121], -v[31:32], v[27:28], v[110:111]
	v_fma_f64 v[110:111], v[47:48], v[25:26], v[125:126]
	v_fma_f64 v[25:26], v[116:117], v[25:26], v[104:105]
	;; [unrolled: 1-line block ×3, first 2 shown]
	global_load_dwordx4 v[29:32], v[122:123], off offset:128
	v_fma_f64 v[116:117], -v[116:117], v[27:28], v[102:103]
	v_fma_f64 v[125:126], v[45:46], v[27:28], v[110:111]
	global_load_dwordx4 v[45:48], v[122:123], off offset:240
	v_fma_f64 v[114:115], v[114:115], v[27:28], v[25:26]
	global_load_dwordx4 v[25:28], v[122:123], off offset:224
	s_clause 0x1
	global_load_dwordx4 v[102:105], v[131:132], off offset:32
	global_load_dwordx4 v[110:113], v[131:132], off offset:48
	s_waitcnt vmcnt(1)
	v_fma_f64 v[118:119], v[53:54], v[102:103], v[118:119]
	v_fma_f64 v[127:128], v[55:56], v[102:103], v[127:128]
	;; [unrolled: 1-line block ×6, first 2 shown]
	v_fma_f64 v[118:119], -v[55:56], v[104:105], v[118:119]
	v_fma_f64 v[127:128], v[53:54], v[104:105], v[127:128]
	global_load_dwordx4 v[53:56], v[122:123], off offset:208
	v_fma_f64 v[120:121], -v[63:64], v[104:105], v[120:121]
	v_fma_f64 v[129:130], v[61:62], v[104:105], v[129:130]
	global_load_dwordx4 v[61:64], v[122:123], off offset:192
	v_fma_f64 v[122:123], v[100:101], v[102:103], v[125:126]
	v_fma_f64 v[102:103], v[11:12], v[102:103], v[114:115]
	v_fma_f64 v[91:92], -v[100:101], v[104:105], v[91:92]
	v_fma_f64 v[114:115], -v[11:12], v[104:105], v[116:117]
	s_waitcnt vmcnt(2)
	v_fma_f64 v[118:119], v[106:107], v[110:111], v[118:119]
	v_fma_f64 v[125:126], v[108:109], v[110:111], v[127:128]
	;; [unrolled: 1-line block ×4, first 2 shown]
	v_lshlrev_b32_e32 v129, 2, v95
	v_fma_f64 v[122:123], v[98:99], v[104:105], v[122:123]
	v_fma_f64 v[116:117], v[9:10], v[104:105], v[102:103]
	;; [unrolled: 1-line block ×4, first 2 shown]
	v_ashrrev_i32_e32 v130, 31, v129
	s_clause 0x2
	global_load_dwordx4 v[98:101], v[69:70], off
	global_load_dwordx4 v[9:12], v[69:70], off offset:48
	global_load_dwordx4 v[102:105], v[69:70], off offset:32
	v_subrev_nc_u32_e32 v95, s2, v139
	v_lshlrev_b64 v[129:130], 4, v[129:130]
	v_lshlrev_b32_e32 v131, 2, v95
	v_add_co_u32 v129, vcc_lo, s6, v129
	v_add_co_ci_u32_e64 v130, null, s7, v130, vcc_lo
	v_fma_f64 v[118:119], -v[108:109], v[112:113], v[118:119]
	v_fma_f64 v[125:126], v[106:107], v[112:113], v[125:126]
	global_load_dwordx4 v[106:109], v[69:70], off offset:16
	v_fma_f64 v[122:123], v[67:68], v[110:111], v[122:123]
	v_fma_f64 v[110:111], v[51:52], v[110:111], v[116:117]
	v_fma_f64 v[120:121], -v[59:60], v[112:113], v[120:121]
	v_fma_f64 v[127:128], v[57:58], v[112:113], v[127:128]
	global_load_dwordx4 v[57:60], v[69:70], off offset:112
	v_fma_f64 v[91:92], -v[67:68], v[112:113], v[91:92]
	v_fma_f64 v[114:115], -v[51:52], v[112:113], v[114:115]
	v_ashrrev_i32_e32 v132, 31, v131
	v_fma_f64 v[122:123], v[65:66], v[112:113], v[122:123]
	global_load_dwordx4 v[65:68], v[69:70], off offset:96
	v_fma_f64 v[116:117], v[49:50], v[112:113], v[110:111]
	s_clause 0x1
	global_load_dwordx4 v[49:52], v[129:130], off
	global_load_dwordx4 v[110:113], v[129:130], off offset:16
	s_waitcnt vmcnt(1)
	v_fma_f64 v[118:119], v[37:38], v[49:50], v[118:119]
	v_fma_f64 v[125:126], v[39:40], v[49:50], v[125:126]
	v_fma_f64 v[120:121], v[71:72], v[49:50], v[120:121]
	v_fma_f64 v[127:128], v[73:74], v[49:50], v[127:128]
	v_fma_f64 v[91:92], v[33:34], v[49:50], v[91:92]
	v_fma_f64 v[122:123], v[35:36], v[49:50], v[122:123]
	v_fma_f64 v[114:115], v[21:22], v[49:50], v[114:115]
	v_fma_f64 v[49:50], v[23:24], v[49:50], v[116:117]
	v_fma_f64 v[118:119], -v[39:40], v[51:52], v[118:119]
	v_fma_f64 v[125:126], v[37:38], v[51:52], v[125:126]
	v_fma_f64 v[120:121], -v[73:74], v[51:52], v[120:121]
	v_fma_f64 v[127:128], v[71:72], v[51:52], v[127:128]
	v_fma_f64 v[91:92], -v[35:36], v[51:52], v[91:92]
	v_fma_f64 v[122:123], v[33:34], v[51:52], v[122:123]
	v_fma_f64 v[114:115], -v[23:24], v[51:52], v[114:115]
	v_fma_f64 v[116:117], v[21:22], v[51:52], v[49:50]
	global_load_dwordx4 v[21:24], v[129:130], off offset:32
	v_lshlrev_b64 v[49:50], 4, v[131:132]
	s_clause 0x2
	global_load_dwordx4 v[37:40], v[69:70], off offset:80
	global_load_dwordx4 v[71:74], v[69:70], off offset:64
	;; [unrolled: 1-line block ×3, first 2 shown]
	v_add_co_u32 v131, vcc_lo, s6, v49
	v_add_co_ci_u32_e64 v132, null, s7, v50, vcc_lo
	global_load_dwordx4 v[49:52], v[69:70], off offset:160
	v_cmp_ge_i32_e32 vcc_lo, v94, v124
	s_waitcnt vmcnt(5)
	v_fma_f64 v[118:119], v[79:80], v[110:111], v[118:119]
	v_fma_f64 v[125:126], v[81:82], v[110:111], v[125:126]
	v_fma_f64 v[120:121], v[87:88], v[110:111], v[120:121]
	v_fma_f64 v[127:128], v[89:90], v[110:111], v[127:128]
	v_fma_f64 v[91:92], v[83:84], v[110:111], v[91:92]
	v_fma_f64 v[122:123], v[85:86], v[110:111], v[122:123]
	v_fma_f64 v[114:115], v[41:42], v[110:111], v[114:115]
	v_fma_f64 v[110:111], v[43:44], v[110:111], v[116:117]
	s_or_b32 s8, vcc_lo, s8
	v_fma_f64 v[118:119], -v[81:82], v[112:113], v[118:119]
	v_fma_f64 v[125:126], v[79:80], v[112:113], v[125:126]
	global_load_dwordx4 v[79:82], v[129:130], off offset:48
	v_fma_f64 v[120:121], -v[89:90], v[112:113], v[120:121]
	v_fma_f64 v[127:128], v[87:88], v[112:113], v[127:128]
	global_load_dwordx4 v[87:90], v[131:132], off
	v_fma_f64 v[91:92], -v[85:86], v[112:113], v[91:92]
	v_fma_f64 v[122:123], v[83:84], v[112:113], v[122:123]
	global_load_dwordx4 v[83:86], v[69:70], off offset:144
	v_fma_f64 v[129:130], -v[43:44], v[112:113], v[114:115]
	v_fma_f64 v[133:134], v[41:42], v[112:113], v[110:111]
	global_load_dwordx4 v[41:44], v[69:70], off offset:128
	global_load_dwordx4 v[110:113], v[131:132], off offset:16
	s_waitcnt vmcnt(9)
	v_fma_f64 v[114:115], v[29:30], v[21:22], v[118:119]
	v_fma_f64 v[116:117], v[31:32], v[21:22], v[125:126]
	;; [unrolled: 1-line block ×5, first 2 shown]
	v_fma_f64 v[118:119], -v[31:32], v[23:24], v[114:115]
	v_fma_f64 v[125:126], v[29:30], v[23:24], v[116:117]
	v_fma_f64 v[114:115], v[17:18], v[21:22], v[120:121]
	;; [unrolled: 1-line block ×3, first 2 shown]
	global_load_dwordx4 v[29:32], v[69:70], off offset:208
	v_fma_f64 v[21:22], v[15:16], v[21:22], v[133:134]
	v_fma_f64 v[91:92], -v[77:78], v[23:24], v[91:92]
	v_fma_f64 v[122:123], v[75:76], v[23:24], v[122:123]
	v_fma_f64 v[129:130], -v[15:16], v[23:24], v[129:130]
	v_fma_f64 v[120:121], -v[19:20], v[23:24], v[114:115]
	v_fma_f64 v[127:128], v[17:18], v[23:24], v[116:117]
	s_clause 0x1
	global_load_dwordx4 v[17:20], v[131:132], off offset:48
	global_load_dwordx4 v[114:117], v[131:132], off offset:32
	;; [unrolled: 1-line block ×3, first 2 shown]
	v_fma_f64 v[131:132], v[13:14], v[23:24], v[21:22]
	s_clause 0x1
	global_load_dwordx4 v[13:16], v[69:70], off offset:224
	global_load_dwordx4 v[21:24], v[69:70], off offset:240
	s_waitcnt vmcnt(10)
	v_fma_f64 v[69:70], v[61:62], v[79:80], v[118:119]
	v_fma_f64 v[118:119], v[63:64], v[79:80], v[125:126]
	v_fma_f64 v[91:92], v[25:26], v[79:80], v[91:92]
	v_fma_f64 v[122:123], v[27:28], v[79:80], v[122:123]
	v_fma_f64 v[120:121], v[53:54], v[79:80], v[120:121]
	v_fma_f64 v[125:126], v[55:56], v[79:80], v[127:128]
	v_fma_f64 v[127:128], v[45:46], v[79:80], v[129:130]
	v_fma_f64 v[79:80], v[47:48], v[79:80], v[131:132]
	v_fma_f64 v[63:64], -v[63:64], v[81:82], v[69:70]
	v_fma_f64 v[61:62], v[61:62], v[81:82], v[118:119]
	v_fma_f64 v[27:28], -v[27:28], v[81:82], v[91:92]
	v_fma_f64 v[25:26], v[25:26], v[81:82], v[122:123]
	v_fma_f64 v[55:56], -v[55:56], v[81:82], v[120:121]
	v_fma_f64 v[53:54], v[53:54], v[81:82], v[125:126]
	v_fma_f64 v[47:48], -v[47:48], v[81:82], v[127:128]
	v_fma_f64 v[45:46], v[45:46], v[81:82], v[79:80]
	s_waitcnt vmcnt(9)
	v_fma_f64 v[63:64], v[98:99], v[87:88], v[63:64]
	v_fma_f64 v[61:62], v[100:101], v[87:88], v[61:62]
	v_fma_f64 v[27:28], v[102:103], v[87:88], v[27:28]
	v_fma_f64 v[25:26], v[104:105], v[87:88], v[25:26]
	v_fma_f64 v[55:56], v[106:107], v[87:88], v[55:56]
	v_fma_f64 v[53:54], v[108:109], v[87:88], v[53:54]
	v_fma_f64 v[47:48], v[9:10], v[87:88], v[47:48]
	v_fma_f64 v[45:46], v[11:12], v[87:88], v[45:46]
	v_fma_f64 v[63:64], -v[100:101], v[89:90], v[63:64]
	v_fma_f64 v[61:62], v[98:99], v[89:90], v[61:62]
	v_fma_f64 v[27:28], -v[104:105], v[89:90], v[27:28]
	v_fma_f64 v[25:26], v[102:103], v[89:90], v[25:26]
	v_fma_f64 v[55:56], -v[108:109], v[89:90], v[55:56]
	v_fma_f64 v[53:54], v[106:107], v[89:90], v[53:54]
	v_fma_f64 v[11:12], -v[11:12], v[89:90], v[47:48]
	v_fma_f64 v[9:10], v[9:10], v[89:90], v[45:46]
	;; [unrolled: 17-line block ×4, first 2 shown]
	s_waitcnt vmcnt(2)
	v_fma_f64 v[33:34], v[75:76], v[17:18], v[43:44]
	v_fma_f64 v[35:36], v[77:78], v[17:18], v[41:42]
	;; [unrolled: 1-line block ×4, first 2 shown]
	s_waitcnt vmcnt(1)
	v_fma_f64 v[27:28], v[13:14], v[17:18], v[27:28]
	v_fma_f64 v[25:26], v[15:16], v[17:18], v[25:26]
	s_waitcnt vmcnt(0)
	v_fma_f64 v[11:12], v[21:22], v[17:18], v[11:12]
	v_fma_f64 v[9:10], v[23:24], v[17:18], v[9:10]
	v_fma_f64 v[110:111], -v[77:78], v[19:20], v[33:34]
	v_fma_f64 v[102:103], v[75:76], v[19:20], v[35:36]
	v_fma_f64 v[112:113], -v[31:32], v[19:20], v[39:40]
	;; [unrolled: 2-line block ×4, first 2 shown]
	v_fma_f64 v[98:99], v[21:22], v[19:20], v[9:10]
	s_andn2_b32 exec_lo, exec_lo, s8
	s_cbranch_execnz .LBB18_31
; %bb.32:
	s_or_b32 exec_lo, exec_lo, s8
.LBB18_33:
	s_or_b32 exec_lo, exec_lo, s3
.LBB18_34:
	s_or_b32 exec_lo, exec_lo, s1
.LBB18_35:
	v_mbcnt_lo_u32_b32 v41, -1, 0
	v_xor_b32_e32 v9, 16, v41
	v_xor_b32_e32 v25, 8, v41
	v_cmp_gt_i32_e32 vcc_lo, 32, v9
	v_cndmask_b32_e32 v9, v41, v9, vcc_lo
	v_cmp_gt_i32_e32 vcc_lo, 32, v25
	v_lshlrev_b32_e32 v24, 2, v9
	v_cndmask_b32_e32 v25, v41, v25, vcc_lo
	ds_bpermute_b32 v9, v24, v110
	ds_bpermute_b32 v10, v24, v111
	;; [unrolled: 1-line block ×16, first 2 shown]
	v_lshlrev_b32_e32 v40, 2, v25
	s_waitcnt lgkmcnt(14)
	v_add_f64 v[9:10], v[110:111], v[9:10]
	s_waitcnt lgkmcnt(12)
	v_add_f64 v[11:12], v[102:103], v[11:12]
	;; [unrolled: 2-line block ×8, first 2 shown]
	ds_bpermute_b32 v25, v40, v9
	ds_bpermute_b32 v26, v40, v10
	;; [unrolled: 1-line block ×16, first 2 shown]
	s_waitcnt lgkmcnt(14)
	v_add_f64 v[9:10], v[9:10], v[25:26]
	v_xor_b32_e32 v25, 4, v41
	s_waitcnt lgkmcnt(12)
	v_add_f64 v[11:12], v[11:12], v[27:28]
	s_waitcnt lgkmcnt(10)
	v_add_f64 v[13:14], v[13:14], v[29:30]
	v_cmp_gt_i32_e32 vcc_lo, 32, v25
	s_waitcnt lgkmcnt(8)
	v_add_f64 v[15:16], v[15:16], v[31:32]
	s_waitcnt lgkmcnt(6)
	v_add_f64 v[17:18], v[17:18], v[33:34]
	;; [unrolled: 2-line block ×3, first 2 shown]
	v_cndmask_b32_e32 v25, v41, v25, vcc_lo
	s_waitcnt lgkmcnt(2)
	v_add_f64 v[21:22], v[21:22], v[37:38]
	s_waitcnt lgkmcnt(0)
	v_add_f64 v[23:24], v[23:24], v[39:40]
	v_lshlrev_b32_e32 v40, 2, v25
	ds_bpermute_b32 v25, v40, v9
	ds_bpermute_b32 v26, v40, v10
	;; [unrolled: 1-line block ×16, first 2 shown]
	s_waitcnt lgkmcnt(14)
	v_add_f64 v[9:10], v[9:10], v[25:26]
	v_xor_b32_e32 v25, 2, v41
	s_waitcnt lgkmcnt(12)
	v_add_f64 v[11:12], v[11:12], v[27:28]
	s_waitcnt lgkmcnt(10)
	v_add_f64 v[13:14], v[13:14], v[29:30]
	v_cmp_gt_i32_e32 vcc_lo, 32, v25
	s_waitcnt lgkmcnt(8)
	v_add_f64 v[15:16], v[15:16], v[31:32]
	s_waitcnt lgkmcnt(6)
	v_add_f64 v[17:18], v[17:18], v[33:34]
	;; [unrolled: 2-line block ×3, first 2 shown]
	v_cndmask_b32_e32 v27, v41, v25, vcc_lo
	s_waitcnt lgkmcnt(2)
	v_add_f64 v[21:22], v[21:22], v[37:38]
	s_waitcnt lgkmcnt(0)
	v_add_f64 v[25:26], v[23:24], v[39:40]
	v_lshlrev_b32_e32 v40, 2, v27
	ds_bpermute_b32 v23, v40, v9
	ds_bpermute_b32 v24, v40, v10
	;; [unrolled: 1-line block ×16, first 2 shown]
	s_waitcnt lgkmcnt(14)
	v_add_f64 v[9:10], v[9:10], v[23:24]
	s_waitcnt lgkmcnt(12)
	v_add_f64 v[27:28], v[11:12], v[27:28]
	;; [unrolled: 2-line block ×3, first 2 shown]
	v_xor_b32_e32 v29, 1, v41
	s_waitcnt lgkmcnt(8)
	v_add_f64 v[23:24], v[15:16], v[31:32]
	s_waitcnt lgkmcnt(6)
	v_add_f64 v[13:14], v[17:18], v[33:34]
	v_cmp_gt_i32_e32 vcc_lo, 32, v29
	s_waitcnt lgkmcnt(4)
	v_add_f64 v[17:18], v[19:20], v[35:36]
	s_waitcnt lgkmcnt(2)
	v_add_f64 v[15:16], v[21:22], v[37:38]
	;; [unrolled: 2-line block ×3, first 2 shown]
	v_cndmask_b32_e32 v29, v41, v29, vcc_lo
	v_cmp_eq_u32_e32 vcc_lo, 31, v0
	v_lshlrev_b32_e32 v34, 2, v29
	ds_bpermute_b32 v21, v34, v9
	ds_bpermute_b32 v22, v34, v10
	;; [unrolled: 1-line block ×16, first 2 shown]
	s_and_b32 exec_lo, exec_lo, vcc_lo
	s_cbranch_execz .LBB18_8
; %bb.36:
	s_waitcnt lgkmcnt(12)
	v_add_f64 v[27:28], v[27:28], v[39:40]
	s_waitcnt lgkmcnt(8)
	v_add_f64 v[23:24], v[23:24], v[37:38]
	;; [unrolled: 2-line block ×4, first 2 shown]
	v_add_f64 v[9:10], v[9:10], v[21:22]
	v_add_f64 v[11:12], v[11:12], v[25:26]
	;; [unrolled: 1-line block ×4, first 2 shown]
	v_cmp_eq_f64_e32 vcc_lo, 0, v[1:2]
	v_cmp_eq_f64_e64 s0, 0, v[3:4]
	s_load_dwordx2 s[2:3], s[4:5], 0x60
	v_mul_f64 v[13:14], v[27:28], -v[7:8]
	v_mul_f64 v[15:16], v[5:6], v[27:28]
	v_mul_f64 v[27:28], v[23:24], -v[7:8]
	v_mul_f64 v[23:24], v[5:6], v[23:24]
	;; [unrolled: 2-line block ×4, first 2 shown]
	s_and_b32 s0, vcc_lo, s0
	v_fma_f64 v[17:18], v[5:6], v[9:10], v[13:14]
	v_fma_f64 v[19:20], v[7:8], v[9:10], v[15:16]
	;; [unrolled: 1-line block ×8, first 2 shown]
	v_lshlrev_b32_e32 v21, 2, v93
	s_and_saveexec_b32 s1, s0
	s_xor_b32 s0, exec_lo, s1
	s_cbranch_execz .LBB18_38
; %bb.37:
	v_ashrrev_i32_e32 v22, 31, v21
	v_lshlrev_b64 v[0:1], 4, v[21:22]
                                        ; implicit-def: $vgpr21
	s_waitcnt lgkmcnt(0)
	v_add_co_u32 v0, vcc_lo, s2, v0
	v_add_co_ci_u32_e64 v1, null, s3, v1, vcc_lo
	global_store_dwordx4 v[0:1], v[17:20], off
	global_store_dwordx4 v[0:1], v[13:16], off offset:16
	global_store_dwordx4 v[0:1], v[9:12], off offset:32
	;; [unrolled: 1-line block ×3, first 2 shown]
                                        ; implicit-def: $vgpr3_vgpr4
                                        ; implicit-def: $vgpr17_vgpr18
                                        ; implicit-def: $vgpr13_vgpr14
                                        ; implicit-def: $vgpr9_vgpr10
                                        ; implicit-def: $vgpr5_vgpr6
.LBB18_38:
	s_andn2_saveexec_b32 s0, s0
	s_cbranch_execz .LBB18_8
; %bb.39:
	v_ashrrev_i32_e32 v22, 31, v21
	v_lshlrev_b64 v[21:22], 4, v[21:22]
	s_waitcnt lgkmcnt(0)
	v_add_co_u32 v37, vcc_lo, s2, v21
	v_add_co_ci_u32_e64 v38, null, s3, v22, vcc_lo
	s_clause 0x3
	global_load_dwordx4 v[21:24], v[37:38], off
	global_load_dwordx4 v[25:28], v[37:38], off offset:16
	global_load_dwordx4 v[29:32], v[37:38], off offset:32
	;; [unrolled: 1-line block ×3, first 2 shown]
	s_waitcnt vmcnt(3)
	v_fma_f64 v[17:18], v[1:2], v[21:22], v[17:18]
	v_fma_f64 v[19:20], v[3:4], v[21:22], v[19:20]
	s_waitcnt vmcnt(2)
	v_fma_f64 v[13:14], v[1:2], v[25:26], v[13:14]
	v_fma_f64 v[15:16], v[3:4], v[25:26], v[15:16]
	;; [unrolled: 3-line block ×4, first 2 shown]
	v_fma_f64 v[5:6], -v[3:4], v[23:24], v[17:18]
	v_fma_f64 v[7:8], v[1:2], v[23:24], v[19:20]
	v_fma_f64 v[9:10], -v[3:4], v[27:28], v[13:14]
	v_fma_f64 v[11:12], v[1:2], v[27:28], v[15:16]
	;; [unrolled: 2-line block ×4, first 2 shown]
	global_store_dwordx4 v[37:38], v[5:8], off
	global_store_dwordx4 v[37:38], v[9:12], off offset:16
	global_store_dwordx4 v[37:38], v[13:16], off offset:32
	;; [unrolled: 1-line block ×3, first 2 shown]
	s_endpgm
	.section	.rodata,"a",@progbits
	.p2align	6, 0x0
	.amdhsa_kernel _ZN9rocsparseL18bsrxmvn_4x4_kernelILj128ELj32E21rocsparse_complex_numIdEiiS2_S2_S2_EEvT3_20rocsparse_direction_NS_24const_host_device_scalarIT1_EES3_PKS3_PKT2_SC_S9_PKT4_PKT5_S7_PT6_21rocsparse_index_base_b
		.amdhsa_group_segment_fixed_size 0
		.amdhsa_private_segment_fixed_size 0
		.amdhsa_kernarg_size 112
		.amdhsa_user_sgpr_count 6
		.amdhsa_user_sgpr_private_segment_buffer 1
		.amdhsa_user_sgpr_dispatch_ptr 0
		.amdhsa_user_sgpr_queue_ptr 0
		.amdhsa_user_sgpr_kernarg_segment_ptr 1
		.amdhsa_user_sgpr_dispatch_id 0
		.amdhsa_user_sgpr_flat_scratch_init 0
		.amdhsa_user_sgpr_private_segment_size 0
		.amdhsa_wavefront_size32 1
		.amdhsa_uses_dynamic_stack 0
		.amdhsa_system_sgpr_private_segment_wavefront_offset 0
		.amdhsa_system_sgpr_workgroup_id_x 1
		.amdhsa_system_sgpr_workgroup_id_y 0
		.amdhsa_system_sgpr_workgroup_id_z 0
		.amdhsa_system_sgpr_workgroup_info 0
		.amdhsa_system_vgpr_workitem_id 0
		.amdhsa_next_free_vgpr 160
		.amdhsa_next_free_sgpr 16
		.amdhsa_reserve_vcc 1
		.amdhsa_reserve_flat_scratch 0
		.amdhsa_float_round_mode_32 0
		.amdhsa_float_round_mode_16_64 0
		.amdhsa_float_denorm_mode_32 3
		.amdhsa_float_denorm_mode_16_64 3
		.amdhsa_dx10_clamp 1
		.amdhsa_ieee_mode 1
		.amdhsa_fp16_overflow 0
		.amdhsa_workgroup_processor_mode 1
		.amdhsa_memory_ordered 1
		.amdhsa_forward_progress 1
		.amdhsa_shared_vgpr_count 0
		.amdhsa_exception_fp_ieee_invalid_op 0
		.amdhsa_exception_fp_denorm_src 0
		.amdhsa_exception_fp_ieee_div_zero 0
		.amdhsa_exception_fp_ieee_overflow 0
		.amdhsa_exception_fp_ieee_underflow 0
		.amdhsa_exception_fp_ieee_inexact 0
		.amdhsa_exception_int_div_zero 0
	.end_amdhsa_kernel
	.section	.text._ZN9rocsparseL18bsrxmvn_4x4_kernelILj128ELj32E21rocsparse_complex_numIdEiiS2_S2_S2_EEvT3_20rocsparse_direction_NS_24const_host_device_scalarIT1_EES3_PKS3_PKT2_SC_S9_PKT4_PKT5_S7_PT6_21rocsparse_index_base_b,"axG",@progbits,_ZN9rocsparseL18bsrxmvn_4x4_kernelILj128ELj32E21rocsparse_complex_numIdEiiS2_S2_S2_EEvT3_20rocsparse_direction_NS_24const_host_device_scalarIT1_EES3_PKS3_PKT2_SC_S9_PKT4_PKT5_S7_PT6_21rocsparse_index_base_b,comdat
.Lfunc_end18:
	.size	_ZN9rocsparseL18bsrxmvn_4x4_kernelILj128ELj32E21rocsparse_complex_numIdEiiS2_S2_S2_EEvT3_20rocsparse_direction_NS_24const_host_device_scalarIT1_EES3_PKS3_PKT2_SC_S9_PKT4_PKT5_S7_PT6_21rocsparse_index_base_b, .Lfunc_end18-_ZN9rocsparseL18bsrxmvn_4x4_kernelILj128ELj32E21rocsparse_complex_numIdEiiS2_S2_S2_EEvT3_20rocsparse_direction_NS_24const_host_device_scalarIT1_EES3_PKS3_PKT2_SC_S9_PKT4_PKT5_S7_PT6_21rocsparse_index_base_b
                                        ; -- End function
	.set _ZN9rocsparseL18bsrxmvn_4x4_kernelILj128ELj32E21rocsparse_complex_numIdEiiS2_S2_S2_EEvT3_20rocsparse_direction_NS_24const_host_device_scalarIT1_EES3_PKS3_PKT2_SC_S9_PKT4_PKT5_S7_PT6_21rocsparse_index_base_b.num_vgpr, 160
	.set _ZN9rocsparseL18bsrxmvn_4x4_kernelILj128ELj32E21rocsparse_complex_numIdEiiS2_S2_S2_EEvT3_20rocsparse_direction_NS_24const_host_device_scalarIT1_EES3_PKS3_PKT2_SC_S9_PKT4_PKT5_S7_PT6_21rocsparse_index_base_b.num_agpr, 0
	.set _ZN9rocsparseL18bsrxmvn_4x4_kernelILj128ELj32E21rocsparse_complex_numIdEiiS2_S2_S2_EEvT3_20rocsparse_direction_NS_24const_host_device_scalarIT1_EES3_PKS3_PKT2_SC_S9_PKT4_PKT5_S7_PT6_21rocsparse_index_base_b.numbered_sgpr, 16
	.set _ZN9rocsparseL18bsrxmvn_4x4_kernelILj128ELj32E21rocsparse_complex_numIdEiiS2_S2_S2_EEvT3_20rocsparse_direction_NS_24const_host_device_scalarIT1_EES3_PKS3_PKT2_SC_S9_PKT4_PKT5_S7_PT6_21rocsparse_index_base_b.num_named_barrier, 0
	.set _ZN9rocsparseL18bsrxmvn_4x4_kernelILj128ELj32E21rocsparse_complex_numIdEiiS2_S2_S2_EEvT3_20rocsparse_direction_NS_24const_host_device_scalarIT1_EES3_PKS3_PKT2_SC_S9_PKT4_PKT5_S7_PT6_21rocsparse_index_base_b.private_seg_size, 0
	.set _ZN9rocsparseL18bsrxmvn_4x4_kernelILj128ELj32E21rocsparse_complex_numIdEiiS2_S2_S2_EEvT3_20rocsparse_direction_NS_24const_host_device_scalarIT1_EES3_PKS3_PKT2_SC_S9_PKT4_PKT5_S7_PT6_21rocsparse_index_base_b.uses_vcc, 1
	.set _ZN9rocsparseL18bsrxmvn_4x4_kernelILj128ELj32E21rocsparse_complex_numIdEiiS2_S2_S2_EEvT3_20rocsparse_direction_NS_24const_host_device_scalarIT1_EES3_PKS3_PKT2_SC_S9_PKT4_PKT5_S7_PT6_21rocsparse_index_base_b.uses_flat_scratch, 0
	.set _ZN9rocsparseL18bsrxmvn_4x4_kernelILj128ELj32E21rocsparse_complex_numIdEiiS2_S2_S2_EEvT3_20rocsparse_direction_NS_24const_host_device_scalarIT1_EES3_PKS3_PKT2_SC_S9_PKT4_PKT5_S7_PT6_21rocsparse_index_base_b.has_dyn_sized_stack, 0
	.set _ZN9rocsparseL18bsrxmvn_4x4_kernelILj128ELj32E21rocsparse_complex_numIdEiiS2_S2_S2_EEvT3_20rocsparse_direction_NS_24const_host_device_scalarIT1_EES3_PKS3_PKT2_SC_S9_PKT4_PKT5_S7_PT6_21rocsparse_index_base_b.has_recursion, 0
	.set _ZN9rocsparseL18bsrxmvn_4x4_kernelILj128ELj32E21rocsparse_complex_numIdEiiS2_S2_S2_EEvT3_20rocsparse_direction_NS_24const_host_device_scalarIT1_EES3_PKS3_PKT2_SC_S9_PKT4_PKT5_S7_PT6_21rocsparse_index_base_b.has_indirect_call, 0
	.section	.AMDGPU.csdata,"",@progbits
; Kernel info:
; codeLenInByte = 10820
; TotalNumSgprs: 18
; NumVgprs: 160
; ScratchSize: 0
; MemoryBound: 1
; FloatMode: 240
; IeeeMode: 1
; LDSByteSize: 0 bytes/workgroup (compile time only)
; SGPRBlocks: 0
; VGPRBlocks: 19
; NumSGPRsForWavesPerEU: 18
; NumVGPRsForWavesPerEU: 160
; Occupancy: 6
; WaveLimiterHint : 1
; COMPUTE_PGM_RSRC2:SCRATCH_EN: 0
; COMPUTE_PGM_RSRC2:USER_SGPR: 6
; COMPUTE_PGM_RSRC2:TRAP_HANDLER: 0
; COMPUTE_PGM_RSRC2:TGID_X_EN: 1
; COMPUTE_PGM_RSRC2:TGID_Y_EN: 0
; COMPUTE_PGM_RSRC2:TGID_Z_EN: 0
; COMPUTE_PGM_RSRC2:TIDIG_COMP_CNT: 0
	.section	.text._ZN9rocsparseL18bsrxmvn_4x4_kernelILj128ELj64E21rocsparse_complex_numIdEiiS2_S2_S2_EEvT3_20rocsparse_direction_NS_24const_host_device_scalarIT1_EES3_PKS3_PKT2_SC_S9_PKT4_PKT5_S7_PT6_21rocsparse_index_base_b,"axG",@progbits,_ZN9rocsparseL18bsrxmvn_4x4_kernelILj128ELj64E21rocsparse_complex_numIdEiiS2_S2_S2_EEvT3_20rocsparse_direction_NS_24const_host_device_scalarIT1_EES3_PKS3_PKT2_SC_S9_PKT4_PKT5_S7_PT6_21rocsparse_index_base_b,comdat
	.globl	_ZN9rocsparseL18bsrxmvn_4x4_kernelILj128ELj64E21rocsparse_complex_numIdEiiS2_S2_S2_EEvT3_20rocsparse_direction_NS_24const_host_device_scalarIT1_EES3_PKS3_PKT2_SC_S9_PKT4_PKT5_S7_PT6_21rocsparse_index_base_b ; -- Begin function _ZN9rocsparseL18bsrxmvn_4x4_kernelILj128ELj64E21rocsparse_complex_numIdEiiS2_S2_S2_EEvT3_20rocsparse_direction_NS_24const_host_device_scalarIT1_EES3_PKS3_PKT2_SC_S9_PKT4_PKT5_S7_PT6_21rocsparse_index_base_b
	.p2align	8
	.type	_ZN9rocsparseL18bsrxmvn_4x4_kernelILj128ELj64E21rocsparse_complex_numIdEiiS2_S2_S2_EEvT3_20rocsparse_direction_NS_24const_host_device_scalarIT1_EES3_PKS3_PKT2_SC_S9_PKT4_PKT5_S7_PT6_21rocsparse_index_base_b,@function
_ZN9rocsparseL18bsrxmvn_4x4_kernelILj128ELj64E21rocsparse_complex_numIdEiiS2_S2_S2_EEvT3_20rocsparse_direction_NS_24const_host_device_scalarIT1_EES3_PKS3_PKT2_SC_S9_PKT4_PKT5_S7_PT6_21rocsparse_index_base_b: ; @_ZN9rocsparseL18bsrxmvn_4x4_kernelILj128ELj64E21rocsparse_complex_numIdEiiS2_S2_S2_EEvT3_20rocsparse_direction_NS_24const_host_device_scalarIT1_EES3_PKS3_PKT2_SC_S9_PKT4_PKT5_S7_PT6_21rocsparse_index_base_b
; %bb.0:
	s_clause 0x1
	s_load_dwordx2 s[2:3], s[4:5], 0x68
	s_load_dwordx2 s[0:1], s[4:5], 0x8
	s_add_u32 s7, s4, 8
	s_addc_u32 s10, s5, 0
	s_add_u32 s11, s4, 0x50
	s_addc_u32 s12, s5, 0
	s_load_dwordx2 s[8:9], s[4:5], 0x50
	s_waitcnt lgkmcnt(0)
	s_bitcmp1_b32 s3, 0
	s_cselect_b32 s0, s7, s0
	s_cselect_b32 s1, s10, s1
	v_mov_b32_e32 v1, s0
	v_mov_b32_e32 v2, s1
	s_cselect_b32 s0, s11, s8
	s_cselect_b32 s1, s12, s9
	flat_load_dwordx4 v[5:8], v[1:2]
	v_mov_b32_e32 v1, s0
	v_mov_b32_e32 v2, s1
	flat_load_dwordx4 v[1:4], v[1:2]
	s_waitcnt vmcnt(1) lgkmcnt(1)
	v_cmp_eq_f64_e32 vcc_lo, 0, v[5:6]
	v_cmp_eq_f64_e64 s0, 0, v[7:8]
	s_and_b32 s3, vcc_lo, s0
	s_mov_b32 s0, -1
	s_and_saveexec_b32 s1, s3
	s_cbranch_execz .LBB19_2
; %bb.1:
	s_waitcnt vmcnt(0) lgkmcnt(0)
	v_cmp_neq_f64_e32 vcc_lo, 1.0, v[1:2]
	v_cmp_neq_f64_e64 s0, 0, v[3:4]
	s_or_b32 s0, vcc_lo, s0
	s_orn2_b32 s0, s0, exec_lo
.LBB19_2:
	s_or_b32 exec_lo, exec_lo, s1
	s_and_saveexec_b32 s1, s0
	s_cbranch_execz .LBB19_8
; %bb.3:
	s_clause 0x1
	s_load_dwordx2 s[8:9], s[4:5], 0x20
	s_load_dwordx2 s[0:1], s[4:5], 0x0
	v_lshrrev_b32_e32 v9, 6, v0
	v_lshl_or_b32 v93, s6, 1, v9
	s_waitcnt lgkmcnt(0)
	s_cmp_lg_u64 s[8:9], 0
	s_cbranch_scc0 .LBB19_9
; %bb.4:
	s_load_dword s3, s[4:5], 0x18
	s_mov_b32 s6, 0
                                        ; implicit-def: $vgpr9
	s_waitcnt lgkmcnt(0)
	v_cmp_gt_i32_e32 vcc_lo, s3, v93
	s_mov_b32 s3, 0
	s_and_saveexec_b32 s7, vcc_lo
	s_xor_b32 s7, exec_lo, s7
	s_cbranch_execz .LBB19_6
; %bb.5:
	v_ashrrev_i32_e32 v94, 31, v93
	s_mov_b32 s3, exec_lo
	v_lshlrev_b64 v[9:10], 2, v[93:94]
	v_add_co_u32 v9, vcc_lo, s8, v9
	v_add_co_ci_u32_e64 v10, null, s9, v10, vcc_lo
	global_load_dword v9, v[9:10], off
	s_waitcnt vmcnt(0)
	v_subrev_nc_u32_e32 v9, s2, v9
.LBB19_6:
	s_or_b32 exec_lo, exec_lo, s7
	s_and_b32 vcc_lo, exec_lo, s6
	s_cbranch_vccz .LBB19_10
.LBB19_7:
	v_cmp_gt_i32_e32 vcc_lo, s0, v93
	s_andn2_b32 s0, s3, exec_lo
	s_and_b32 s3, vcc_lo, exec_lo
	s_or_b32 s3, s0, s3
	s_and_b32 exec_lo, exec_lo, s3
	s_cbranch_execnz .LBB19_11
.LBB19_8:
	s_endpgm
.LBB19_9:
	s_mov_b32 s3, 0
                                        ; implicit-def: $vgpr9
	s_cbranch_execnz .LBB19_7
.LBB19_10:
	v_mov_b32_e32 v93, v9
	s_and_b32 exec_lo, exec_lo, s3
	s_cbranch_execz .LBB19_8
.LBB19_11:
	s_load_dwordx8 s[8:15], s[4:5], 0x28
	v_ashrrev_i32_e32 v94, 31, v93
	v_and_b32_e32 v0, 63, v0
	s_load_dwordx2 s[6:7], s[4:5], 0x48
	v_lshlrev_b64 v[9:10], 2, v[93:94]
	s_waitcnt lgkmcnt(0)
	v_add_co_u32 v11, vcc_lo, s8, v9
	v_add_co_ci_u32_e64 v12, null, s9, v10, vcc_lo
	v_add_co_u32 v9, vcc_lo, s10, v9
	v_add_co_ci_u32_e64 v10, null, s11, v10, vcc_lo
	global_load_dword v125, v[11:12], off
	v_add_co_u32 v11, vcc_lo, v11, 4
	v_add_co_ci_u32_e64 v12, null, 0, v12, vcc_lo
	s_cmp_eq_u64 s[10:11], 0
	s_cselect_b32 vcc_lo, -1, 0
	s_cmp_eq_u32 s1, 1
	v_cndmask_b32_e32 v10, v10, v12, vcc_lo
	v_cndmask_b32_e32 v9, v9, v11, vcc_lo
	global_load_dword v11, v[9:10], off
	s_waitcnt vmcnt(1)
	v_subrev_nc_u32_e32 v9, s2, v125
	v_add_nc_u32_e32 v94, v9, v0
	v_ashrrev_i32_e32 v95, 31, v94
	s_waitcnt vmcnt(0)
	v_subrev_nc_u32_e32 v124, s2, v11
	v_lshlrev_b64 v[9:10], 8, v[94:95]
	v_cmp_lt_i32_e64 s0, v94, v124
	v_add_co_u32 v96, vcc_lo, s14, v9
	v_add_co_ci_u32_e64 v97, null, s15, v10, vcc_lo
	s_cbranch_scc1 .LBB19_23
; %bb.12:
	v_mov_b32_e32 v102, 0
	v_mov_b32_e32 v110, 0
	;; [unrolled: 1-line block ×16, first 2 shown]
	s_and_saveexec_b32 s3, s0
	s_cbranch_execz .LBB19_22
; %bb.13:
	v_add_nc_u32_e32 v9, v125, v0
	v_not_b32_e32 v10, v125
	v_mov_b32_e32 v108, 0
	v_mov_b32_e32 v112, 0
	;; [unrolled: 1-line block ×3, first 2 shown]
	v_subrev_nc_u32_e32 v9, s2, v9
	v_mov_b32_e32 v104, 0
	v_mov_b32_e32 v98, 0
	;; [unrolled: 1-line block ×4, first 2 shown]
	v_add_nc_u32_e32 v9, 64, v9
	v_mov_b32_e32 v102, 0
	v_mov_b32_e32 v117, v97
	;; [unrolled: 1-line block ×4, first 2 shown]
	v_max_i32_e32 v9, v9, v124
	v_mov_b32_e32 v107, 0
	v_mov_b32_e32 v105, 0
	;; [unrolled: 1-line block ×4, first 2 shown]
	v_add3_u32 v9, s2, v9, v10
	v_mov_b32_e32 v111, 0
	v_mov_b32_e32 v103, 0
	v_mov_b32_e32 v116, v96
	v_mov_b32_e32 v114, v94
	v_sub_nc_u32_e32 v9, v9, v0
	s_mov_b32 s1, exec_lo
	v_and_b32_e32 v10, 0xc0, v9
	v_cmpx_ne_u32_e32 0xc0, v10
	s_cbranch_execz .LBB19_17
; %bb.14:
	v_lshrrev_b32_e32 v10, 6, v9
	v_mov_b32_e32 v102, 0
	v_mov_b32_e32 v110, 0
	;; [unrolled: 1-line block ×4, first 2 shown]
	v_add_nc_u32_e32 v10, 1, v10
	v_mov_b32_e32 v104, 0
	v_mov_b32_e32 v106, 0
	;; [unrolled: 1-line block ×4, first 2 shown]
	v_and_b32_e32 v10, 3, v10
	v_mov_b32_e32 v117, v97
	v_mov_b32_e32 v103, 0
	;; [unrolled: 1-line block ×10, first 2 shown]
	v_sub_nc_u32_e32 v10, 0, v10
	v_mov_b32_e32 v116, v96
	s_mov_b32 s8, 0
.LBB19_15:                              ; =>This Inner Loop Header: Depth=1
	v_ashrrev_i32_e32 v115, 31, v114
	v_add_co_u32 v10, s9, v10, 1
	s_or_b32 s8, s9, s8
	v_lshlrev_b64 v[11:12], 2, v[114:115]
	v_add_nc_u32_e32 v114, 64, v114
	v_add_co_u32 v11, vcc_lo, s12, v11
	v_add_co_ci_u32_e64 v12, null, s13, v12, vcc_lo
	global_load_dword v43, v[11:12], off
	s_clause 0x7
	global_load_dwordx4 v[11:14], v[116:117], off offset:16
	global_load_dwordx4 v[15:18], v[116:117], off
	global_load_dwordx4 v[19:22], v[116:117], off offset:80
	global_load_dwordx4 v[23:26], v[116:117], off offset:64
	global_load_dwordx4 v[27:30], v[116:117], off offset:144
	global_load_dwordx4 v[31:34], v[116:117], off offset:128
	global_load_dwordx4 v[35:38], v[116:117], off offset:208
	global_load_dwordx4 v[39:42], v[116:117], off offset:192
	s_waitcnt vmcnt(8)
	v_subrev_nc_u32_e32 v43, s2, v43
	v_lshlrev_b32_e32 v43, 2, v43
	v_ashrrev_i32_e32 v44, 31, v43
	v_lshlrev_b64 v[43:44], 4, v[43:44]
	v_add_co_u32 v87, vcc_lo, s6, v43
	v_add_co_ci_u32_e64 v88, null, s7, v44, vcc_lo
	s_clause 0x1
	global_load_dwordx4 v[43:46], v[87:88], off
	global_load_dwordx4 v[47:50], v[87:88], off offset:16
	s_clause 0x7
	global_load_dwordx4 v[51:54], v[116:117], off offset:48
	global_load_dwordx4 v[55:58], v[116:117], off offset:32
	;; [unrolled: 1-line block ×8, first 2 shown]
	s_clause 0x1
	global_load_dwordx4 v[83:86], v[87:88], off offset:32
	global_load_dwordx4 v[87:90], v[87:88], off offset:48
	v_add_co_u32 v116, vcc_lo, 0x4000, v116
	v_add_co_ci_u32_e64 v117, null, 0, v117, vcc_lo
	s_waitcnt vmcnt(11)
	v_fma_f64 v[91:92], v[15:16], v[43:44], v[110:111]
	v_fma_f64 v[102:103], v[17:18], v[43:44], v[102:103]
	v_fma_f64 v[110:111], v[23:24], v[43:44], v[112:113]
	v_fma_f64 v[108:109], v[25:26], v[43:44], v[108:109]
	v_fma_f64 v[104:105], v[31:32], v[43:44], v[104:105]
	v_fma_f64 v[106:107], v[33:34], v[43:44], v[106:107]
	v_fma_f64 v[100:101], v[39:40], v[43:44], v[100:101]
	v_fma_f64 v[43:44], v[41:42], v[43:44], v[98:99]
	v_fma_f64 v[17:18], -v[17:18], v[45:46], v[91:92]
	v_fma_f64 v[15:16], v[15:16], v[45:46], v[102:103]
	v_fma_f64 v[25:26], -v[25:26], v[45:46], v[110:111]
	v_fma_f64 v[23:24], v[23:24], v[45:46], v[108:109]
	v_fma_f64 v[33:34], -v[33:34], v[45:46], v[104:105]
	v_fma_f64 v[31:32], v[31:32], v[45:46], v[106:107]
	v_fma_f64 v[41:42], -v[41:42], v[45:46], v[100:101]
	v_fma_f64 v[39:40], v[39:40], v[45:46], v[43:44]
	s_waitcnt vmcnt(10)
	v_fma_f64 v[17:18], v[11:12], v[47:48], v[17:18]
	v_fma_f64 v[15:16], v[13:14], v[47:48], v[15:16]
	v_fma_f64 v[25:26], v[19:20], v[47:48], v[25:26]
	v_fma_f64 v[23:24], v[21:22], v[47:48], v[23:24]
	v_fma_f64 v[33:34], v[27:28], v[47:48], v[33:34]
	v_fma_f64 v[31:32], v[29:30], v[47:48], v[31:32]
	v_fma_f64 v[41:42], v[35:36], v[47:48], v[41:42]
	v_fma_f64 v[39:40], v[37:38], v[47:48], v[39:40]
	v_fma_f64 v[13:14], -v[13:14], v[49:50], v[17:18]
	v_fma_f64 v[11:12], v[11:12], v[49:50], v[15:16]
	v_fma_f64 v[15:16], -v[21:22], v[49:50], v[25:26]
	v_fma_f64 v[17:18], v[19:20], v[49:50], v[23:24]
	v_fma_f64 v[19:20], -v[29:30], v[49:50], v[33:34]
	v_fma_f64 v[21:22], v[27:28], v[49:50], v[31:32]
	v_fma_f64 v[23:24], -v[37:38], v[49:50], v[41:42]
	v_fma_f64 v[25:26], v[35:36], v[49:50], v[39:40]
	;; [unrolled: 17-line block ×4, first 2 shown]
	s_andn2_b32 exec_lo, exec_lo, s8
	s_cbranch_execnz .LBB19_15
; %bb.16:
	s_or_b32 exec_lo, exec_lo, s8
.LBB19_17:
	s_or_b32 exec_lo, exec_lo, s1
	s_mov_b32 s8, exec_lo
	v_cmpx_lt_u32_e32 0xbf, v9
	s_cbranch_execz .LBB19_21
; %bb.18:
	s_mov_b32 s9, 0
.LBB19_19:                              ; =>This Inner Loop Header: Depth=1
	v_ashrrev_i32_e32 v115, 31, v114
	v_add_co_u32 v118, vcc_lo, 0x4000, v116
	v_add_co_ci_u32_e64 v119, null, 0, v117, vcc_lo
	v_lshlrev_b64 v[142:143], 2, v[114:115]
	v_add_co_u32 v122, vcc_lo, 0x8000, v116
	v_add_co_ci_u32_e64 v123, null, 0, v117, vcc_lo
	v_add_co_u32 v120, vcc_lo, 0xc000, v116
	v_add_co_ci_u32_e64 v121, null, 0, v117, vcc_lo
	v_add_co_u32 v142, vcc_lo, s12, v142
	v_add_co_ci_u32_e64 v143, null, s13, v143, vcc_lo
	s_clause 0x18
	global_load_dwordx4 v[9:12], v[116:117], off offset:48
	global_load_dwordx4 v[13:16], v[116:117], off offset:32
	global_load_dwordx4 v[17:20], v[116:117], off offset:16
	global_load_dwordx4 v[25:28], v[116:117], off
	global_load_dwordx4 v[21:24], v[116:117], off offset:112
	global_load_dwordx4 v[29:32], v[116:117], off offset:96
	;; [unrolled: 1-line block ×14, first 2 shown]
	global_load_dwordx4 v[126:129], v[118:119], off
	global_load_dwordx4 v[130:133], v[118:119], off offset:16
	global_load_dwordx4 v[77:80], v[118:119], off offset:112
	;; [unrolled: 1-line block ×6, first 2 shown]
	s_clause 0x3
	global_load_dword v95, v[142:143], off
	global_load_dword v115, v[142:143], off offset:256
	global_load_dword v158, v[142:143], off offset:512
	;; [unrolled: 1-line block ×3, first 2 shown]
	v_add_nc_u32_e32 v114, 0x100, v114
	v_add_co_u32 v116, s1, 0x10000, v116
	v_add_co_ci_u32_e64 v117, null, 0, v117, s1
	s_waitcnt vmcnt(3)
	v_subrev_nc_u32_e32 v95, s2, v95
	v_lshlrev_b32_e32 v142, 2, v95
	s_waitcnt vmcnt(2)
	v_subrev_nc_u32_e32 v95, s2, v115
	v_ashrrev_i32_e32 v143, 31, v142
	v_lshlrev_b64 v[142:143], 4, v[142:143]
	v_add_co_u32 v150, vcc_lo, s6, v142
	v_add_co_ci_u32_e64 v151, null, s7, v143, vcc_lo
	s_clause 0x1
	global_load_dwordx4 v[142:145], v[150:151], off
	global_load_dwordx4 v[146:149], v[150:151], off offset:16
	s_waitcnt vmcnt(1)
	v_fma_f64 v[102:103], v[27:28], v[142:143], v[102:103]
	v_fma_f64 v[112:113], v[49:50], v[142:143], v[112:113]
	;; [unrolled: 1-line block ×9, first 2 shown]
	v_fma_f64 v[112:113], -v[51:52], v[144:145], v[112:113]
	v_fma_f64 v[110:111], -v[27:28], v[144:145], v[110:111]
	v_fma_f64 v[108:109], v[49:50], v[144:145], v[108:109]
	v_fma_f64 v[104:105], -v[63:64], v[144:145], v[104:105]
	v_fma_f64 v[106:107], v[61:62], v[144:145], v[106:107]
	v_fma_f64 v[142:143], -v[71:72], v[144:145], v[100:101]
	v_fma_f64 v[144:145], v[69:70], v[144:145], v[98:99]
	s_clause 0x4
	global_load_dwordx4 v[25:28], v[118:119], off offset:160
	global_load_dwordx4 v[49:52], v[118:119], off offset:144
	;; [unrolled: 1-line block ×5, first 2 shown]
	s_waitcnt vmcnt(5)
	v_fma_f64 v[102:103], v[19:20], v[146:147], v[102:103]
	v_fma_f64 v[110:111], v[17:18], v[146:147], v[110:111]
	;; [unrolled: 1-line block ×5, first 2 shown]
	v_fma_f64 v[110:111], -v[19:20], v[148:149], v[110:111]
	global_load_dwordx4 v[17:20], v[118:119], off offset:208
	v_fma_f64 v[154:155], v[37:38], v[148:149], v[108:109]
	v_fma_f64 v[112:113], -v[39:40], v[148:149], v[102:103]
	v_fma_f64 v[102:103], v[53:54], v[146:147], v[104:105]
	v_fma_f64 v[104:105], v[55:56], v[146:147], v[106:107]
	global_load_dwordx4 v[37:40], v[118:119], off offset:192
	v_fma_f64 v[118:119], -v[55:56], v[148:149], v[102:103]
	v_fma_f64 v[156:157], v[53:54], v[148:149], v[104:105]
	v_fma_f64 v[102:103], v[65:66], v[146:147], v[142:143]
	;; [unrolled: 1-line block ×3, first 2 shown]
	global_load_dwordx4 v[53:56], v[122:123], off
	v_fma_f64 v[142:143], -v[67:68], v[148:149], v[102:103]
	v_fma_f64 v[144:145], v[65:66], v[148:149], v[104:105]
	global_load_dwordx4 v[65:68], v[122:123], off offset:48
	s_clause 0x1
	global_load_dwordx4 v[102:105], v[150:151], off offset:32
	global_load_dwordx4 v[106:109], v[150:151], off offset:48
	s_waitcnt vmcnt(1)
	v_fma_f64 v[150:151], v[43:44], v[102:103], v[156:157]
	v_fma_f64 v[118:119], v[41:42], v[102:103], v[118:119]
	v_fma_f64 v[110:111], v[13:14], v[102:103], v[110:111]
	v_fma_f64 v[146:147], v[15:16], v[102:103], v[152:153]
	v_fma_f64 v[112:113], v[29:30], v[102:103], v[112:113]
	v_fma_f64 v[148:149], v[31:32], v[102:103], v[154:155]
	v_fma_f64 v[142:143], v[57:58], v[102:103], v[142:143]
	v_fma_f64 v[102:103], v[59:60], v[102:103], v[144:145]
	v_fma_f64 v[150:151], v[41:42], v[104:105], v[150:151]
	v_fma_f64 v[118:119], -v[43:44], v[104:105], v[118:119]
	v_fma_f64 v[110:111], -v[15:16], v[104:105], v[110:111]
	v_fma_f64 v[146:147], v[13:14], v[104:105], v[146:147]
	v_fma_f64 v[112:113], -v[31:32], v[104:105], v[112:113]
	v_fma_f64 v[148:149], v[29:30], v[104:105], v[148:149]
	;; [unrolled: 2-line block ×3, first 2 shown]
	s_clause 0x4
	global_load_dwordx4 v[13:16], v[122:123], off offset:32
	global_load_dwordx4 v[29:32], v[122:123], off offset:16
	;; [unrolled: 1-line block ×5, first 2 shown]
	s_waitcnt vmcnt(5)
	v_fma_f64 v[150:151], v[35:36], v[106:107], v[150:151]
	v_fma_f64 v[118:119], v[33:34], v[106:107], v[118:119]
	;; [unrolled: 1-line block ×7, first 2 shown]
	v_lshlrev_b32_e32 v33, 2, v95
	v_fma_f64 v[118:119], -v[35:36], v[108:109], v[118:119]
	v_fma_f64 v[35:36], v[47:48], v[106:107], v[144:145]
	v_fma_f64 v[110:111], -v[11:12], v[108:109], v[110:111]
	v_fma_f64 v[146:147], v[9:10], v[108:109], v[146:147]
	v_ashrrev_i32_e32 v34, 31, v33
	global_load_dwordx4 v[9:12], v[122:123], off offset:64
	v_fma_f64 v[112:113], -v[23:24], v[108:109], v[112:113]
	v_fma_f64 v[148:149], v[21:22], v[108:109], v[148:149]
	global_load_dwordx4 v[21:24], v[122:123], off offset:176
	v_lshlrev_b64 v[33:34], 4, v[33:34]
	v_subrev_nc_u32_e32 v95, s2, v158
	v_add_co_u32 v152, vcc_lo, s6, v33
	v_add_co_ci_u32_e64 v153, null, s7, v34, vcc_lo
	v_fma_f64 v[33:34], v[45:46], v[106:107], v[142:143]
	v_fma_f64 v[144:145], v[45:46], v[108:109], v[35:36]
	v_fma_f64 v[142:143], -v[47:48], v[108:109], v[33:34]
	s_clause 0x1
	global_load_dwordx4 v[33:36], v[152:153], off
	global_load_dwordx4 v[45:48], v[152:153], off offset:16
	s_waitcnt vmcnt(1)
	v_fma_f64 v[106:107], v[126:127], v[33:34], v[110:111]
	v_fma_f64 v[108:109], v[128:129], v[33:34], v[146:147]
	;; [unrolled: 1-line block ×8, first 2 shown]
	v_fma_f64 v[128:129], -v[128:129], v[35:36], v[106:107]
	v_fma_f64 v[126:127], v[126:127], v[35:36], v[108:109]
	v_fma_f64 v[140:141], -v[140:141], v[35:36], v[110:111]
	v_fma_f64 v[138:139], v[138:139], v[35:36], v[112:113]
	;; [unrolled: 2-line block ×4, first 2 shown]
	s_clause 0x4
	global_load_dwordx4 v[106:109], v[122:123], off offset:160
	global_load_dwordx4 v[110:113], v[122:123], off offset:144
	;; [unrolled: 1-line block ×5, first 2 shown]
	s_waitcnt vmcnt(5)
	v_fma_f64 v[128:129], v[130:131], v[45:46], v[128:129]
	v_fma_f64 v[126:127], v[132:133], v[45:46], v[126:127]
	;; [unrolled: 1-line block ×5, first 2 shown]
	v_fma_f64 v[148:149], -v[132:133], v[47:48], v[128:129]
	v_fma_f64 v[150:151], v[130:131], v[47:48], v[126:127]
	s_clause 0x1
	global_load_dwordx4 v[126:129], v[122:123], off offset:208
	global_load_dwordx4 v[130:133], v[122:123], off offset:192
	v_fma_f64 v[122:123], v[134:135], v[45:46], v[140:141]
	v_fma_f64 v[140:141], v[51:52], v[45:46], v[146:147]
	;; [unrolled: 1-line block ×4, first 2 shown]
	v_fma_f64 v[118:119], -v[51:52], v[47:48], v[118:119]
	v_fma_f64 v[142:143], -v[19:20], v[47:48], v[142:143]
	;; [unrolled: 1-line block ×3, first 2 shown]
	global_load_dwordx4 v[134:137], v[120:121], off
	v_fma_f64 v[140:141], v[49:50], v[47:48], v[140:141]
	global_load_dwordx4 v[49:52], v[120:121], off offset:48
	v_fma_f64 v[144:145], v[17:18], v[47:48], v[45:46]
	s_clause 0x1
	global_load_dwordx4 v[17:20], v[152:153], off offset:32
	global_load_dwordx4 v[45:48], v[152:153], off offset:48
	s_waitcnt vmcnt(1)
	v_fma_f64 v[146:147], v[81:82], v[17:18], v[148:149]
	v_fma_f64 v[148:149], v[83:84], v[17:18], v[150:151]
	;; [unrolled: 1-line block ×8, first 2 shown]
	v_lshlrev_b32_e32 v150, 2, v95
	v_subrev_nc_u32_e32 v95, s2, v159
	v_ashrrev_i32_e32 v151, 31, v150
	v_lshlrev_b64 v[150:151], 4, v[150:151]
	v_fma_f64 v[146:147], -v[83:84], v[19:20], v[146:147]
	v_fma_f64 v[148:149], v[81:82], v[19:20], v[148:149]
	v_fma_f64 v[122:123], -v[91:92], v[19:20], v[122:123]
	v_fma_f64 v[138:139], v[89:90], v[19:20], v[138:139]
	;; [unrolled: 2-line block ×4, first 2 shown]
	v_add_co_u32 v150, vcc_lo, s6, v150
	v_add_co_ci_u32_e64 v151, null, s7, v151, vcc_lo
	s_clause 0x4
	global_load_dwordx4 v[81:84], v[120:121], off offset:32
	global_load_dwordx4 v[89:92], v[120:121], off offset:16
	;; [unrolled: 1-line block ×5, first 2 shown]
	s_waitcnt vmcnt(5)
	v_fma_f64 v[146:147], v[73:74], v[45:46], v[146:147]
	v_fma_f64 v[148:149], v[75:76], v[45:46], v[148:149]
	;; [unrolled: 1-line block ×8, first 2 shown]
	v_fma_f64 v[146:147], -v[75:76], v[47:48], v[146:147]
	v_fma_f64 v[148:149], v[73:74], v[47:48], v[148:149]
	global_load_dwordx4 v[73:76], v[120:121], off offset:128
	v_fma_f64 v[122:123], -v[79:80], v[47:48], v[122:123]
	v_fma_f64 v[138:139], v[77:78], v[47:48], v[138:139]
	global_load_dwordx4 v[77:80], v[120:121], off offset:208
	;; [unrolled: 3-line block ×3, first 2 shown]
	v_fma_f64 v[142:143], -v[71:72], v[47:48], v[142:143]
	v_fma_f64 v[144:145], v[69:70], v[47:48], v[45:46]
	s_clause 0x1
	global_load_dwordx4 v[45:48], v[150:151], off
	global_load_dwordx4 v[69:72], v[150:151], off offset:16
	s_waitcnt vmcnt(1)
	v_fma_f64 v[146:147], v[53:54], v[45:46], v[146:147]
	v_fma_f64 v[148:149], v[55:56], v[45:46], v[148:149]
	;; [unrolled: 1-line block ×6, first 2 shown]
	v_fma_f64 v[146:147], -v[55:56], v[47:48], v[146:147]
	v_fma_f64 v[148:149], v[53:54], v[47:48], v[148:149]
	global_load_dwordx4 v[53:56], v[150:151], off offset:32
	v_fma_f64 v[152:153], v[9:10], v[47:48], v[138:139]
	v_fma_f64 v[138:139], v[63:64], v[45:46], v[140:141]
	v_fma_f64 v[45:46], v[132:133], v[45:46], v[144:145]
	v_fma_f64 v[132:133], -v[132:133], v[47:48], v[142:143]
	v_fma_f64 v[122:123], -v[11:12], v[47:48], v[122:123]
	;; [unrolled: 1-line block ×3, first 2 shown]
	global_load_dwordx4 v[9:12], v[120:121], off offset:96
	s_waitcnt vmcnt(2)
	v_fma_f64 v[144:145], v[29:30], v[69:70], v[146:147]
	v_fma_f64 v[146:147], v[31:32], v[69:70], v[148:149]
	;; [unrolled: 1-line block ×4, first 2 shown]
	global_load_dwordx4 v[138:141], v[150:151], off offset:48
	v_fma_f64 v[130:131], v[130:131], v[47:48], v[45:46]
	v_lshlrev_b32_e32 v45, 2, v95
	v_fma_f64 v[122:123], v[102:103], v[69:70], v[122:123]
	v_fma_f64 v[118:119], v[110:111], v[69:70], v[118:119]
	global_load_dwordx4 v[61:64], v[120:121], off offset:160
	v_ashrrev_i32_e32 v46, 31, v45
	v_lshlrev_b64 v[45:46], 4, v[45:46]
	v_fma_f64 v[144:145], -v[31:32], v[71:72], v[144:145]
	v_add_co_u32 v142, vcc_lo, s6, v45
	v_add_co_ci_u32_e64 v143, null, s7, v46, vcc_lo
	v_fma_f64 v[146:147], v[29:30], v[71:72], v[146:147]
	v_fma_f64 v[150:151], v[112:113], v[69:70], v[154:155]
	;; [unrolled: 1-line block ×3, first 2 shown]
	s_clause 0x1
	global_load_dwordx4 v[45:48], v[142:143], off
	global_load_dwordx4 v[29:32], v[142:143], off offset:16
	v_fma_f64 v[122:123], -v[104:105], v[71:72], v[122:123]
	global_load_dwordx4 v[102:105], v[120:121], off offset:224
	v_fma_f64 v[152:153], -v[112:113], v[71:72], v[118:119]
	v_fma_f64 v[118:119], v[126:127], v[69:70], v[132:133]
	v_fma_f64 v[69:70], v[128:129], v[69:70], v[130:131]
	v_cmp_ge_i32_e32 vcc_lo, v114, v124
	s_or_b32 s9, vcc_lo, s9
	v_fma_f64 v[150:151], v[110:111], v[71:72], v[150:151]
	global_load_dwordx4 v[110:113], v[142:143], off offset:32
	v_fma_f64 v[130:131], -v[128:129], v[71:72], v[118:119]
	v_fma_f64 v[132:133], v[126:127], v[71:72], v[69:70]
	s_clause 0x2
	global_load_dwordx4 v[69:72], v[120:121], off offset:112
	global_load_dwordx4 v[126:129], v[120:121], off offset:176
	;; [unrolled: 1-line block ×3, first 2 shown]
	s_waitcnt vmcnt(10)
	v_fma_f64 v[144:145], v[13:14], v[53:54], v[144:145]
	v_fma_f64 v[146:147], v[15:16], v[53:54], v[146:147]
	;; [unrolled: 1-line block ×5, first 2 shown]
	v_fma_f64 v[144:145], -v[15:16], v[55:56], v[144:145]
	v_fma_f64 v[146:147], v[13:14], v[55:56], v[146:147]
	global_load_dwordx4 v[13:16], v[142:143], off offset:48
	v_fma_f64 v[142:143], v[59:60], v[53:54], v[148:149]
	v_fma_f64 v[148:149], v[106:107], v[53:54], v[152:153]
	;; [unrolled: 1-line block ×3, first 2 shown]
	v_fma_f64 v[59:60], -v[59:60], v[55:56], v[122:123]
	v_fma_f64 v[106:107], v[106:107], v[55:56], v[150:151]
	v_fma_f64 v[39:40], -v[39:40], v[55:56], v[130:131]
	v_fma_f64 v[57:58], v[57:58], v[55:56], v[142:143]
	v_fma_f64 v[108:109], -v[108:109], v[55:56], v[148:149]
	v_fma_f64 v[37:38], v[37:38], v[55:56], v[53:54]
	s_waitcnt vmcnt(9)
	v_fma_f64 v[53:54], v[65:66], v[138:139], v[144:145]
	v_fma_f64 v[55:56], v[67:68], v[138:139], v[146:147]
	v_fma_f64 v[59:60], v[41:42], v[138:139], v[59:60]
	v_fma_f64 v[106:107], v[23:24], v[138:139], v[106:107]
	v_fma_f64 v[39:40], v[33:34], v[138:139], v[39:40]
	v_fma_f64 v[57:58], v[43:44], v[138:139], v[57:58]
	v_fma_f64 v[108:109], v[21:22], v[138:139], v[108:109]
	v_fma_f64 v[37:38], v[35:36], v[138:139], v[37:38]
	v_fma_f64 v[53:54], -v[67:68], v[140:141], v[53:54]
	v_fma_f64 v[55:56], v[65:66], v[140:141], v[55:56]
	v_fma_f64 v[43:44], -v[43:44], v[140:141], v[59:60]
	v_fma_f64 v[21:22], v[21:22], v[140:141], v[106:107]
	v_fma_f64 v[35:36], -v[35:36], v[140:141], v[39:40]
	v_fma_f64 v[41:42], v[41:42], v[140:141], v[57:58]
	v_fma_f64 v[23:24], -v[23:24], v[140:141], v[108:109]
	v_fma_f64 v[33:34], v[33:34], v[140:141], v[37:38]
	s_waitcnt vmcnt(7)
	v_fma_f64 v[37:38], v[134:135], v[45:46], v[53:54]
	v_fma_f64 v[39:40], v[136:137], v[45:46], v[55:56]
	v_fma_f64 v[43:44], v[17:18], v[45:46], v[43:44]
	v_fma_f64 v[21:22], v[75:76], v[45:46], v[21:22]
	v_fma_f64 v[35:36], v[85:86], v[45:46], v[35:36]
	v_fma_f64 v[41:42], v[19:20], v[45:46], v[41:42]
	v_fma_f64 v[23:24], v[73:74], v[45:46], v[23:24]
	v_fma_f64 v[33:34], v[87:88], v[45:46], v[33:34]
	v_fma_f64 v[37:38], -v[136:137], v[47:48], v[37:38]
	v_fma_f64 v[39:40], v[134:135], v[47:48], v[39:40]
	;; [unrolled: 17-line block ×3, first 2 shown]
	v_fma_f64 v[19:20], -v[27:28], v[31:32], v[19:20]
	v_fma_f64 v[21:22], v[98:99], v[31:32], v[21:22]
	v_fma_f64 v[17:18], v[25:26], v[31:32], v[17:18]
	v_fma_f64 v[23:24], -v[100:101], v[31:32], v[23:24]
	v_fma_f64 v[25:26], -v[79:80], v[31:32], v[35:36]
	v_fma_f64 v[27:28], v[77:78], v[31:32], v[29:30]
	s_waitcnt vmcnt(4)
	v_fma_f64 v[29:30], v[81:82], v[110:111], v[33:34]
	v_fma_f64 v[31:32], v[83:84], v[110:111], v[37:38]
	;; [unrolled: 1-line block ×8, first 2 shown]
	v_fma_f64 v[29:30], -v[83:84], v[112:113], v[29:30]
	v_fma_f64 v[31:32], v[81:82], v[112:113], v[31:32]
	v_fma_f64 v[11:12], -v[11:12], v[112:113], v[19:20]
	v_fma_f64 v[19:20], v[61:62], v[112:113], v[21:22]
	v_fma_f64 v[9:10], v[9:10], v[112:113], v[17:18]
	v_fma_f64 v[17:18], -v[63:64], v[112:113], v[23:24]
	v_fma_f64 v[21:22], -v[104:105], v[112:113], v[25:26]
	v_fma_f64 v[23:24], v[102:103], v[112:113], v[27:28]
	s_waitcnt vmcnt(0)
	v_fma_f64 v[25:26], v[49:50], v[13:14], v[29:30]
	v_fma_f64 v[27:28], v[51:52], v[13:14], v[31:32]
	v_fma_f64 v[11:12], v[69:70], v[13:14], v[11:12]
	v_fma_f64 v[9:10], v[71:72], v[13:14], v[9:10]
	v_fma_f64 v[17:18], v[126:127], v[13:14], v[17:18]
	v_fma_f64 v[19:20], v[128:129], v[13:14], v[19:20]
	v_fma_f64 v[21:22], v[118:119], v[13:14], v[21:22]
	v_fma_f64 v[13:14], v[120:121], v[13:14], v[23:24]
	v_fma_f64 v[110:111], -v[51:52], v[15:16], v[25:26]
	v_fma_f64 v[102:103], v[49:50], v[15:16], v[27:28]
	v_fma_f64 v[112:113], -v[71:72], v[15:16], v[11:12]
	v_fma_f64 v[108:109], v[69:70], v[15:16], v[9:10]
	;; [unrolled: 2-line block ×4, first 2 shown]
	s_andn2_b32 exec_lo, exec_lo, s9
	s_cbranch_execnz .LBB19_19
; %bb.20:
	s_or_b32 exec_lo, exec_lo, s9
.LBB19_21:
	s_or_b32 exec_lo, exec_lo, s8
.LBB19_22:
	s_or_b32 exec_lo, exec_lo, s3
	s_cbranch_execz .LBB19_24
	s_branch .LBB19_35
.LBB19_23:
                                        ; implicit-def: $vgpr102_vgpr103
                                        ; implicit-def: $vgpr110_vgpr111
                                        ; implicit-def: $vgpr100_vgpr101
                                        ; implicit-def: $vgpr98_vgpr99
                                        ; implicit-def: $vgpr104_vgpr105
                                        ; implicit-def: $vgpr106_vgpr107
                                        ; implicit-def: $vgpr112_vgpr113
                                        ; implicit-def: $vgpr108_vgpr109
.LBB19_24:
	v_mov_b32_e32 v102, 0
	v_mov_b32_e32 v110, 0
	;; [unrolled: 1-line block ×16, first 2 shown]
	s_and_saveexec_b32 s1, s0
	s_cbranch_execz .LBB19_34
; %bb.25:
	v_add_nc_u32_e32 v9, v125, v0
	v_not_b32_e32 v10, v125
	v_mov_b32_e32 v108, 0
	v_mov_b32_e32 v112, 0
	v_mov_b32_e32 v106, 0
	v_subrev_nc_u32_e32 v9, s2, v9
	v_mov_b32_e32 v104, 0
	v_mov_b32_e32 v98, 0
	v_mov_b32_e32 v100, 0
	v_mov_b32_e32 v110, 0
	v_add_nc_u32_e32 v9, 64, v9
	v_mov_b32_e32 v102, 0
	v_mov_b32_e32 v109, 0
	v_mov_b32_e32 v113, 0
	v_mov_b32_e32 v107, 0
	v_max_i32_e32 v9, v9, v124
	v_mov_b32_e32 v105, 0
	v_mov_b32_e32 v99, 0
	;; [unrolled: 1-line block ×4, first 2 shown]
	v_add3_u32 v9, s2, v9, v10
	v_mov_b32_e32 v103, 0
	s_mov_b32 s0, exec_lo
	v_sub_nc_u32_e32 v9, v9, v0
	v_and_b32_e32 v10, 0xc0, v9
	v_cmpx_ne_u32_e32 0xc0, v10
	s_cbranch_execz .LBB19_29
; %bb.26:
	v_lshrrev_b32_e32 v10, 6, v9
	v_mov_b32_e32 v102, 0
	v_mov_b32_e32 v110, 0
	;; [unrolled: 1-line block ×4, first 2 shown]
	v_add_nc_u32_e32 v10, 1, v10
	v_mov_b32_e32 v104, 0
	v_mov_b32_e32 v106, 0
	;; [unrolled: 1-line block ×4, first 2 shown]
	v_and_b32_e32 v10, 3, v10
	v_mov_b32_e32 v103, 0
	v_mov_b32_e32 v111, 0
	;; [unrolled: 1-line block ×8, first 2 shown]
	v_sub_nc_u32_e32 v10, 0, v10
	s_mov_b32 s3, 0
.LBB19_27:                              ; =>This Inner Loop Header: Depth=1
	v_ashrrev_i32_e32 v95, 31, v94
	v_add_co_u32 v10, s8, v10, 1
	s_or_b32 s3, s8, s3
	v_lshlrev_b64 v[11:12], 2, v[94:95]
	v_add_nc_u32_e32 v94, 64, v94
	v_add_co_u32 v11, vcc_lo, s12, v11
	v_add_co_ci_u32_e64 v12, null, s13, v12, vcc_lo
	global_load_dword v27, v[11:12], off
	s_clause 0x3
	global_load_dwordx4 v[11:14], v[96:97], off offset:48
	global_load_dwordx4 v[15:18], v[96:97], off offset:32
	;; [unrolled: 1-line block ×3, first 2 shown]
	global_load_dwordx4 v[23:26], v[96:97], off
	s_waitcnt vmcnt(4)
	v_subrev_nc_u32_e32 v27, s2, v27
	v_lshlrev_b32_e32 v27, 2, v27
	v_ashrrev_i32_e32 v28, 31, v27
	v_lshlrev_b64 v[27:28], 4, v[27:28]
	v_add_co_u32 v71, vcc_lo, s6, v27
	v_add_co_ci_u32_e64 v72, null, s7, v28, vcc_lo
	global_load_dwordx4 v[27:30], v[71:72], off
	s_clause 0x3
	global_load_dwordx4 v[31:34], v[96:97], off offset:112
	global_load_dwordx4 v[35:38], v[96:97], off offset:96
	;; [unrolled: 1-line block ×5, first 2 shown]
	s_clause 0x3
	global_load_dwordx4 v[51:54], v[96:97], off offset:176
	global_load_dwordx4 v[55:58], v[96:97], off offset:160
	;; [unrolled: 1-line block ×4, first 2 shown]
	s_clause 0x1
	global_load_dwordx4 v[67:70], v[71:72], off offset:32
	global_load_dwordx4 v[71:74], v[71:72], off offset:48
	s_clause 0x3
	global_load_dwordx4 v[75:78], v[96:97], off offset:192
	global_load_dwordx4 v[79:82], v[96:97], off offset:208
	global_load_dwordx4 v[83:86], v[96:97], off offset:224
	global_load_dwordx4 v[87:90], v[96:97], off offset:240
	v_add_co_u32 v96, vcc_lo, 0x4000, v96
	v_add_co_ci_u32_e64 v97, null, 0, v97, vcc_lo
	s_waitcnt vmcnt(15)
	v_fma_f64 v[91:92], v[23:24], v[27:28], v[110:111]
	v_fma_f64 v[102:103], v[25:26], v[27:28], v[102:103]
	v_fma_f64 v[110:111], v[19:20], v[27:28], v[112:113]
	v_fma_f64 v[108:109], v[21:22], v[27:28], v[108:109]
	v_fma_f64 v[104:105], v[15:16], v[27:28], v[104:105]
	v_fma_f64 v[106:107], v[17:18], v[27:28], v[106:107]
	v_fma_f64 v[100:101], v[11:12], v[27:28], v[100:101]
	v_fma_f64 v[27:28], v[13:14], v[27:28], v[98:99]
	v_fma_f64 v[25:26], -v[25:26], v[29:30], v[91:92]
	v_fma_f64 v[23:24], v[23:24], v[29:30], v[102:103]
	v_fma_f64 v[21:22], -v[21:22], v[29:30], v[110:111]
	v_fma_f64 v[19:20], v[19:20], v[29:30], v[108:109]
	v_fma_f64 v[17:18], -v[17:18], v[29:30], v[104:105]
	v_fma_f64 v[15:16], v[15:16], v[29:30], v[106:107]
	v_fma_f64 v[13:14], -v[13:14], v[29:30], v[100:101]
	v_fma_f64 v[11:12], v[11:12], v[29:30], v[27:28]
	s_waitcnt vmcnt(10)
	v_fma_f64 v[25:26], v[43:44], v[47:48], v[25:26]
	v_fma_f64 v[23:24], v[45:46], v[47:48], v[23:24]
	v_fma_f64 v[21:22], v[39:40], v[47:48], v[21:22]
	v_fma_f64 v[19:20], v[41:42], v[47:48], v[19:20]
	v_fma_f64 v[17:18], v[35:36], v[47:48], v[17:18]
	v_fma_f64 v[15:16], v[37:38], v[47:48], v[15:16]
	v_fma_f64 v[13:14], v[31:32], v[47:48], v[13:14]
	v_fma_f64 v[11:12], v[33:34], v[47:48], v[11:12]
	v_fma_f64 v[25:26], -v[45:46], v[49:50], v[25:26]
	v_fma_f64 v[23:24], v[43:44], v[49:50], v[23:24]
	v_fma_f64 v[21:22], -v[41:42], v[49:50], v[21:22]
	v_fma_f64 v[19:20], v[39:40], v[49:50], v[19:20]
	v_fma_f64 v[17:18], -v[37:38], v[49:50], v[17:18]
	v_fma_f64 v[15:16], v[35:36], v[49:50], v[15:16]
	v_fma_f64 v[13:14], -v[33:34], v[49:50], v[13:14]
	v_fma_f64 v[11:12], v[31:32], v[49:50], v[11:12]
	;; [unrolled: 17-line block ×3, first 2 shown]
	s_waitcnt vmcnt(3)
	v_fma_f64 v[25:26], v[75:76], v[71:72], v[25:26]
	v_fma_f64 v[23:24], v[77:78], v[71:72], v[23:24]
	s_waitcnt vmcnt(2)
	v_fma_f64 v[21:22], v[79:80], v[71:72], v[21:22]
	v_fma_f64 v[19:20], v[81:82], v[71:72], v[19:20]
	;; [unrolled: 3-line block ×4, first 2 shown]
	v_fma_f64 v[110:111], -v[77:78], v[73:74], v[25:26]
	v_fma_f64 v[102:103], v[75:76], v[73:74], v[23:24]
	v_fma_f64 v[112:113], -v[81:82], v[73:74], v[21:22]
	v_fma_f64 v[108:109], v[79:80], v[73:74], v[19:20]
	;; [unrolled: 2-line block ×4, first 2 shown]
	s_andn2_b32 exec_lo, exec_lo, s3
	s_cbranch_execnz .LBB19_27
; %bb.28:
	s_or_b32 exec_lo, exec_lo, s3
.LBB19_29:
	s_or_b32 exec_lo, exec_lo, s0
	s_mov_b32 s3, exec_lo
	v_cmpx_lt_u32_e32 0xbf, v9
	s_cbranch_execz .LBB19_33
; %bb.30:
	s_mov_b32 s8, 0
.LBB19_31:                              ; =>This Inner Loop Header: Depth=1
	v_ashrrev_i32_e32 v95, 31, v94
	v_add_co_u32 v91, vcc_lo, 0x4000, v96
	v_add_co_ci_u32_e64 v92, null, 0, v97, vcc_lo
	v_lshlrev_b64 v[118:119], 2, v[94:95]
	v_add_co_u32 v122, vcc_lo, 0x8000, v96
	v_add_co_ci_u32_e64 v123, null, 0, v97, vcc_lo
	v_add_co_u32 v69, vcc_lo, 0xc000, v96
	v_add_co_ci_u32_e64 v70, null, 0, v97, vcc_lo
	;; [unrolled: 2-line block ×3, first 2 shown]
	s_clause 0x14
	global_load_dwordx4 v[9:12], v[96:97], off offset:48
	global_load_dwordx4 v[17:20], v[96:97], off offset:32
	;; [unrolled: 1-line block ×3, first 2 shown]
	global_load_dwordx4 v[45:48], v[96:97], off
	global_load_dwordx4 v[33:36], v[96:97], off offset:112
	global_load_dwordx4 v[49:52], v[96:97], off offset:96
	;; [unrolled: 1-line block ×14, first 2 shown]
	global_load_dwordx4 v[83:86], v[91:92], off
	global_load_dwordx4 v[87:90], v[91:92], off offset:16
	global_load_dwordx4 v[114:117], v[91:92], off offset:112
	s_clause 0x3
	global_load_dword v95, v[118:119], off
	global_load_dword v137, v[118:119], off offset:256
	global_load_dword v138, v[118:119], off offset:512
	;; [unrolled: 1-line block ×3, first 2 shown]
	v_add_nc_u32_e32 v94, 0x100, v94
	v_add_co_u32 v96, s0, 0x10000, v96
	v_add_co_ci_u32_e64 v97, null, 0, v97, s0
	s_waitcnt vmcnt(3)
	v_subrev_nc_u32_e32 v95, s2, v95
	v_lshlrev_b32_e32 v118, 2, v95
	s_waitcnt vmcnt(2)
	v_subrev_nc_u32_e32 v95, s2, v137
	v_ashrrev_i32_e32 v119, 31, v118
	v_lshlrev_b64 v[118:119], 4, v[118:119]
	v_add_co_u32 v129, vcc_lo, s6, v118
	v_add_co_ci_u32_e64 v130, null, s7, v119, vcc_lo
	s_clause 0x1
	global_load_dwordx4 v[118:121], v[129:130], off
	global_load_dwordx4 v[125:128], v[129:130], off offset:16
	s_waitcnt vmcnt(1)
	v_fma_f64 v[102:103], v[47:48], v[118:119], v[102:103]
	v_fma_f64 v[112:113], v[29:30], v[118:119], v[112:113]
	v_fma_f64 v[104:105], v[17:18], v[118:119], v[104:105]
	v_fma_f64 v[106:107], v[19:20], v[118:119], v[106:107]
	v_fma_f64 v[110:111], v[45:46], v[118:119], v[110:111]
	v_fma_f64 v[108:109], v[31:32], v[118:119], v[108:109]
	v_fma_f64 v[100:101], v[9:10], v[118:119], v[100:101]
	v_fma_f64 v[98:99], v[11:12], v[118:119], v[98:99]
	v_fma_f64 v[102:103], v[45:46], v[120:121], v[102:103]
	v_fma_f64 v[112:113], -v[31:32], v[120:121], v[112:113]
	v_fma_f64 v[104:105], -v[19:20], v[120:121], v[104:105]
	v_fma_f64 v[106:107], v[17:18], v[120:121], v[106:107]
	v_fma_f64 v[110:111], -v[47:48], v[120:121], v[110:111]
	v_fma_f64 v[108:109], v[29:30], v[120:121], v[108:109]
	;; [unrolled: 2-line block ×3, first 2 shown]
	s_clause 0x4
	global_load_dwordx4 v[45:48], v[91:92], off offset:96
	global_load_dwordx4 v[29:32], v[91:92], off offset:80
	;; [unrolled: 1-line block ×5, first 2 shown]
	s_waitcnt vmcnt(5)
	v_fma_f64 v[102:103], v[63:64], v[125:126], v[102:103]
	v_fma_f64 v[110:111], v[61:62], v[125:126], v[110:111]
	;; [unrolled: 1-line block ×5, first 2 shown]
	v_fma_f64 v[110:111], -v[63:64], v[127:128], v[110:111]
	global_load_dwordx4 v[61:64], v[91:92], off offset:144
	v_fma_f64 v[108:109], v[53:54], v[127:128], v[108:109]
	v_fma_f64 v[112:113], -v[55:56], v[127:128], v[102:103]
	v_fma_f64 v[102:103], v[49:50], v[125:126], v[104:105]
	v_fma_f64 v[104:105], v[51:52], v[125:126], v[106:107]
	global_load_dwordx4 v[53:56], v[91:92], off offset:128
	v_fma_f64 v[133:134], -v[51:52], v[127:128], v[102:103]
	v_fma_f64 v[135:136], v[49:50], v[127:128], v[104:105]
	v_fma_f64 v[102:103], v[33:34], v[125:126], v[118:119]
	v_fma_f64 v[104:105], v[35:36], v[125:126], v[120:121]
	global_load_dwordx4 v[49:52], v[91:92], off offset:240
	v_fma_f64 v[118:119], -v[35:36], v[127:128], v[102:103]
	v_fma_f64 v[120:121], v[33:34], v[127:128], v[104:105]
	s_clause 0x1
	global_load_dwordx4 v[33:36], v[129:130], off offset:32
	global_load_dwordx4 v[102:105], v[129:130], off offset:48
	s_waitcnt vmcnt(1)
	v_fma_f64 v[106:107], v[65:66], v[33:34], v[110:111]
	v_fma_f64 v[110:111], v[67:68], v[33:34], v[131:132]
	;; [unrolled: 1-line block ×5, first 2 shown]
	v_fma_f64 v[125:126], -v[67:68], v[35:36], v[106:107]
	v_fma_f64 v[106:107], v[57:58], v[33:34], v[112:113]
	v_fma_f64 v[110:111], v[65:66], v[35:36], v[110:111]
	global_load_dwordx4 v[65:68], v[91:92], off offset:224
	v_fma_f64 v[127:128], v[57:58], v[35:36], v[108:109]
	v_fma_f64 v[129:130], v[37:38], v[35:36], v[129:130]
	v_fma_f64 v[118:119], -v[23:24], v[35:36], v[118:119]
	s_waitcnt vmcnt(1)
	v_fma_f64 v[125:126], v[71:72], v[102:103], v[125:126]
	v_fma_f64 v[112:113], -v[59:60], v[35:36], v[106:107]
	s_clause 0x1
	global_load_dwordx4 v[57:60], v[91:92], off offset:208
	global_load_dwordx4 v[106:109], v[91:92], off offset:192
	v_fma_f64 v[91:92], v[37:38], v[33:34], v[133:134]
	v_fma_f64 v[33:34], v[23:24], v[33:34], v[120:121]
	;; [unrolled: 1-line block ×5, first 2 shown]
	v_fma_f64 v[125:126], -v[73:74], v[104:105], v[125:126]
	v_fma_f64 v[112:113], v[41:42], v[102:103], v[112:113]
	v_fma_f64 v[91:92], -v[39:40], v[35:36], v[91:92]
	v_fma_f64 v[120:121], v[21:22], v[35:36], v[33:34]
	v_fma_f64 v[129:130], v[25:26], v[104:105], v[129:130]
	s_clause 0x2
	global_load_dwordx4 v[37:40], v[122:123], off
	global_load_dwordx4 v[21:24], v[122:123], off offset:48
	global_load_dwordx4 v[33:36], v[122:123], off offset:32
	v_fma_f64 v[110:111], v[71:72], v[104:105], v[110:111]
	global_load_dwordx4 v[71:74], v[122:123], off offset:16
	v_fma_f64 v[127:128], v[41:42], v[104:105], v[127:128]
	v_fma_f64 v[112:113], -v[43:44], v[104:105], v[112:113]
	global_load_dwordx4 v[41:44], v[122:123], off offset:112
	v_fma_f64 v[91:92], v[25:26], v[102:103], v[91:92]
	v_lshlrev_b32_e32 v25, 2, v95
	v_subrev_nc_u32_e32 v95, s2, v138
	v_ashrrev_i32_e32 v26, 31, v25
	v_lshlrev_b64 v[25:26], 4, v[25:26]
	v_add_co_u32 v131, vcc_lo, s6, v25
	v_add_co_ci_u32_e64 v132, null, s7, v26, vcc_lo
	v_fma_f64 v[25:26], v[13:14], v[102:103], v[118:119]
	v_fma_f64 v[91:92], -v[27:28], v[104:105], v[91:92]
	v_fma_f64 v[27:28], v[15:16], v[102:103], v[120:121]
	v_fma_f64 v[102:103], -v[15:16], v[104:105], v[25:26]
	v_fma_f64 v[104:105], v[13:14], v[104:105], v[27:28]
	s_clause 0x1
	global_load_dwordx4 v[13:16], v[131:132], off
	global_load_dwordx4 v[25:28], v[131:132], off offset:16
	s_waitcnt vmcnt(1)
	v_fma_f64 v[110:111], v[85:86], v[13:14], v[110:111]
	v_fma_f64 v[112:113], v[87:88], v[13:14], v[112:113]
	;; [unrolled: 1-line block ×9, first 2 shown]
	v_fma_f64 v[112:113], -v[89:90], v[15:16], v[112:113]
	v_fma_f64 v[118:119], -v[85:86], v[15:16], v[118:119]
	v_fma_f64 v[120:121], v[87:88], v[15:16], v[120:121]
	v_fma_f64 v[91:92], -v[81:82], v[15:16], v[91:92]
	v_fma_f64 v[125:126], v[79:80], v[15:16], v[125:126]
	;; [unrolled: 2-line block ×3, first 2 shown]
	s_clause 0x4
	global_load_dwordx4 v[83:86], v[122:123], off offset:96
	global_load_dwordx4 v[87:90], v[122:123], off offset:80
	;; [unrolled: 1-line block ×5, first 2 shown]
	s_waitcnt vmcnt(5)
	v_fma_f64 v[110:111], v[19:20], v[25:26], v[110:111]
	v_fma_f64 v[118:119], v[17:18], v[25:26], v[118:119]
	;; [unrolled: 1-line block ×7, first 2 shown]
	v_fma_f64 v[118:119], -v[19:20], v[27:28], v[118:119]
	global_load_dwordx4 v[17:20], v[122:123], off offset:144
	v_fma_f64 v[91:92], -v[47:48], v[27:28], v[91:92]
	v_fma_f64 v[120:121], -v[31:32], v[27:28], v[110:111]
	v_fma_f64 v[110:111], v[47:48], v[25:26], v[125:126]
	v_fma_f64 v[25:26], v[116:117], v[25:26], v[104:105]
	;; [unrolled: 1-line block ×3, first 2 shown]
	global_load_dwordx4 v[29:32], v[122:123], off offset:128
	v_fma_f64 v[116:117], -v[116:117], v[27:28], v[102:103]
	v_fma_f64 v[125:126], v[45:46], v[27:28], v[110:111]
	global_load_dwordx4 v[45:48], v[122:123], off offset:240
	v_fma_f64 v[114:115], v[114:115], v[27:28], v[25:26]
	global_load_dwordx4 v[25:28], v[122:123], off offset:224
	s_clause 0x1
	global_load_dwordx4 v[102:105], v[131:132], off offset:32
	global_load_dwordx4 v[110:113], v[131:132], off offset:48
	s_waitcnt vmcnt(1)
	v_fma_f64 v[118:119], v[53:54], v[102:103], v[118:119]
	v_fma_f64 v[127:128], v[55:56], v[102:103], v[127:128]
	;; [unrolled: 1-line block ×6, first 2 shown]
	v_fma_f64 v[118:119], -v[55:56], v[104:105], v[118:119]
	v_fma_f64 v[127:128], v[53:54], v[104:105], v[127:128]
	global_load_dwordx4 v[53:56], v[122:123], off offset:208
	v_fma_f64 v[120:121], -v[63:64], v[104:105], v[120:121]
	v_fma_f64 v[129:130], v[61:62], v[104:105], v[129:130]
	global_load_dwordx4 v[61:64], v[122:123], off offset:192
	v_fma_f64 v[122:123], v[100:101], v[102:103], v[125:126]
	v_fma_f64 v[102:103], v[11:12], v[102:103], v[114:115]
	v_fma_f64 v[91:92], -v[100:101], v[104:105], v[91:92]
	v_fma_f64 v[114:115], -v[11:12], v[104:105], v[116:117]
	s_waitcnt vmcnt(2)
	v_fma_f64 v[118:119], v[106:107], v[110:111], v[118:119]
	v_fma_f64 v[125:126], v[108:109], v[110:111], v[127:128]
	;; [unrolled: 1-line block ×4, first 2 shown]
	v_lshlrev_b32_e32 v129, 2, v95
	v_fma_f64 v[122:123], v[98:99], v[104:105], v[122:123]
	v_fma_f64 v[116:117], v[9:10], v[104:105], v[102:103]
	;; [unrolled: 1-line block ×4, first 2 shown]
	v_ashrrev_i32_e32 v130, 31, v129
	s_clause 0x2
	global_load_dwordx4 v[98:101], v[69:70], off
	global_load_dwordx4 v[9:12], v[69:70], off offset:48
	global_load_dwordx4 v[102:105], v[69:70], off offset:32
	v_subrev_nc_u32_e32 v95, s2, v139
	v_lshlrev_b64 v[129:130], 4, v[129:130]
	v_lshlrev_b32_e32 v131, 2, v95
	v_add_co_u32 v129, vcc_lo, s6, v129
	v_add_co_ci_u32_e64 v130, null, s7, v130, vcc_lo
	v_fma_f64 v[118:119], -v[108:109], v[112:113], v[118:119]
	v_fma_f64 v[125:126], v[106:107], v[112:113], v[125:126]
	global_load_dwordx4 v[106:109], v[69:70], off offset:16
	v_fma_f64 v[122:123], v[67:68], v[110:111], v[122:123]
	v_fma_f64 v[110:111], v[51:52], v[110:111], v[116:117]
	v_fma_f64 v[120:121], -v[59:60], v[112:113], v[120:121]
	v_fma_f64 v[127:128], v[57:58], v[112:113], v[127:128]
	global_load_dwordx4 v[57:60], v[69:70], off offset:112
	v_fma_f64 v[91:92], -v[67:68], v[112:113], v[91:92]
	v_fma_f64 v[114:115], -v[51:52], v[112:113], v[114:115]
	v_ashrrev_i32_e32 v132, 31, v131
	v_fma_f64 v[122:123], v[65:66], v[112:113], v[122:123]
	global_load_dwordx4 v[65:68], v[69:70], off offset:96
	v_fma_f64 v[116:117], v[49:50], v[112:113], v[110:111]
	s_clause 0x1
	global_load_dwordx4 v[49:52], v[129:130], off
	global_load_dwordx4 v[110:113], v[129:130], off offset:16
	s_waitcnt vmcnt(1)
	v_fma_f64 v[118:119], v[37:38], v[49:50], v[118:119]
	v_fma_f64 v[125:126], v[39:40], v[49:50], v[125:126]
	;; [unrolled: 1-line block ×8, first 2 shown]
	v_fma_f64 v[118:119], -v[39:40], v[51:52], v[118:119]
	v_fma_f64 v[125:126], v[37:38], v[51:52], v[125:126]
	v_fma_f64 v[120:121], -v[73:74], v[51:52], v[120:121]
	v_fma_f64 v[127:128], v[71:72], v[51:52], v[127:128]
	;; [unrolled: 2-line block ×4, first 2 shown]
	global_load_dwordx4 v[21:24], v[129:130], off offset:32
	v_lshlrev_b64 v[49:50], 4, v[131:132]
	s_clause 0x2
	global_load_dwordx4 v[37:40], v[69:70], off offset:80
	global_load_dwordx4 v[71:74], v[69:70], off offset:64
	;; [unrolled: 1-line block ×3, first 2 shown]
	v_add_co_u32 v131, vcc_lo, s6, v49
	v_add_co_ci_u32_e64 v132, null, s7, v50, vcc_lo
	global_load_dwordx4 v[49:52], v[69:70], off offset:160
	v_cmp_ge_i32_e32 vcc_lo, v94, v124
	s_waitcnt vmcnt(5)
	v_fma_f64 v[118:119], v[79:80], v[110:111], v[118:119]
	v_fma_f64 v[125:126], v[81:82], v[110:111], v[125:126]
	;; [unrolled: 1-line block ×8, first 2 shown]
	s_or_b32 s8, vcc_lo, s8
	v_fma_f64 v[118:119], -v[81:82], v[112:113], v[118:119]
	v_fma_f64 v[125:126], v[79:80], v[112:113], v[125:126]
	global_load_dwordx4 v[79:82], v[129:130], off offset:48
	v_fma_f64 v[120:121], -v[89:90], v[112:113], v[120:121]
	v_fma_f64 v[127:128], v[87:88], v[112:113], v[127:128]
	global_load_dwordx4 v[87:90], v[131:132], off
	v_fma_f64 v[91:92], -v[85:86], v[112:113], v[91:92]
	v_fma_f64 v[122:123], v[83:84], v[112:113], v[122:123]
	global_load_dwordx4 v[83:86], v[69:70], off offset:144
	v_fma_f64 v[129:130], -v[43:44], v[112:113], v[114:115]
	v_fma_f64 v[133:134], v[41:42], v[112:113], v[110:111]
	global_load_dwordx4 v[41:44], v[69:70], off offset:128
	global_load_dwordx4 v[110:113], v[131:132], off offset:16
	s_waitcnt vmcnt(9)
	v_fma_f64 v[114:115], v[29:30], v[21:22], v[118:119]
	v_fma_f64 v[116:117], v[31:32], v[21:22], v[125:126]
	v_fma_f64 v[91:92], v[75:76], v[21:22], v[91:92]
	v_fma_f64 v[122:123], v[77:78], v[21:22], v[122:123]
	v_fma_f64 v[129:130], v[13:14], v[21:22], v[129:130]
	v_fma_f64 v[118:119], -v[31:32], v[23:24], v[114:115]
	v_fma_f64 v[125:126], v[29:30], v[23:24], v[116:117]
	v_fma_f64 v[114:115], v[17:18], v[21:22], v[120:121]
	;; [unrolled: 1-line block ×3, first 2 shown]
	global_load_dwordx4 v[29:32], v[69:70], off offset:208
	v_fma_f64 v[21:22], v[15:16], v[21:22], v[133:134]
	v_fma_f64 v[91:92], -v[77:78], v[23:24], v[91:92]
	v_fma_f64 v[122:123], v[75:76], v[23:24], v[122:123]
	v_fma_f64 v[129:130], -v[15:16], v[23:24], v[129:130]
	v_fma_f64 v[120:121], -v[19:20], v[23:24], v[114:115]
	v_fma_f64 v[127:128], v[17:18], v[23:24], v[116:117]
	s_clause 0x1
	global_load_dwordx4 v[17:20], v[131:132], off offset:48
	global_load_dwordx4 v[114:117], v[131:132], off offset:32
	;; [unrolled: 1-line block ×3, first 2 shown]
	v_fma_f64 v[131:132], v[13:14], v[23:24], v[21:22]
	s_clause 0x1
	global_load_dwordx4 v[13:16], v[69:70], off offset:224
	global_load_dwordx4 v[21:24], v[69:70], off offset:240
	s_waitcnt vmcnt(10)
	v_fma_f64 v[69:70], v[61:62], v[79:80], v[118:119]
	v_fma_f64 v[118:119], v[63:64], v[79:80], v[125:126]
	v_fma_f64 v[91:92], v[25:26], v[79:80], v[91:92]
	v_fma_f64 v[122:123], v[27:28], v[79:80], v[122:123]
	v_fma_f64 v[120:121], v[53:54], v[79:80], v[120:121]
	v_fma_f64 v[125:126], v[55:56], v[79:80], v[127:128]
	v_fma_f64 v[127:128], v[45:46], v[79:80], v[129:130]
	v_fma_f64 v[79:80], v[47:48], v[79:80], v[131:132]
	v_fma_f64 v[63:64], -v[63:64], v[81:82], v[69:70]
	v_fma_f64 v[61:62], v[61:62], v[81:82], v[118:119]
	v_fma_f64 v[27:28], -v[27:28], v[81:82], v[91:92]
	v_fma_f64 v[25:26], v[25:26], v[81:82], v[122:123]
	v_fma_f64 v[55:56], -v[55:56], v[81:82], v[120:121]
	v_fma_f64 v[53:54], v[53:54], v[81:82], v[125:126]
	v_fma_f64 v[47:48], -v[47:48], v[81:82], v[127:128]
	v_fma_f64 v[45:46], v[45:46], v[81:82], v[79:80]
	s_waitcnt vmcnt(9)
	v_fma_f64 v[63:64], v[98:99], v[87:88], v[63:64]
	v_fma_f64 v[61:62], v[100:101], v[87:88], v[61:62]
	v_fma_f64 v[27:28], v[102:103], v[87:88], v[27:28]
	v_fma_f64 v[25:26], v[104:105], v[87:88], v[25:26]
	v_fma_f64 v[55:56], v[106:107], v[87:88], v[55:56]
	v_fma_f64 v[53:54], v[108:109], v[87:88], v[53:54]
	v_fma_f64 v[47:48], v[9:10], v[87:88], v[47:48]
	v_fma_f64 v[45:46], v[11:12], v[87:88], v[45:46]
	v_fma_f64 v[63:64], -v[100:101], v[89:90], v[63:64]
	v_fma_f64 v[61:62], v[98:99], v[89:90], v[61:62]
	v_fma_f64 v[27:28], -v[104:105], v[89:90], v[27:28]
	v_fma_f64 v[25:26], v[102:103], v[89:90], v[25:26]
	v_fma_f64 v[55:56], -v[108:109], v[89:90], v[55:56]
	v_fma_f64 v[53:54], v[106:107], v[89:90], v[53:54]
	v_fma_f64 v[11:12], -v[11:12], v[89:90], v[47:48]
	v_fma_f64 v[9:10], v[9:10], v[89:90], v[45:46]
	;; [unrolled: 17-line block ×4, first 2 shown]
	s_waitcnt vmcnt(2)
	v_fma_f64 v[33:34], v[75:76], v[17:18], v[43:44]
	v_fma_f64 v[35:36], v[77:78], v[17:18], v[41:42]
	;; [unrolled: 1-line block ×4, first 2 shown]
	s_waitcnt vmcnt(1)
	v_fma_f64 v[27:28], v[13:14], v[17:18], v[27:28]
	v_fma_f64 v[25:26], v[15:16], v[17:18], v[25:26]
	s_waitcnt vmcnt(0)
	v_fma_f64 v[11:12], v[21:22], v[17:18], v[11:12]
	v_fma_f64 v[9:10], v[23:24], v[17:18], v[9:10]
	v_fma_f64 v[110:111], -v[77:78], v[19:20], v[33:34]
	v_fma_f64 v[102:103], v[75:76], v[19:20], v[35:36]
	v_fma_f64 v[112:113], -v[31:32], v[19:20], v[39:40]
	;; [unrolled: 2-line block ×4, first 2 shown]
	v_fma_f64 v[98:99], v[21:22], v[19:20], v[9:10]
	s_andn2_b32 exec_lo, exec_lo, s8
	s_cbranch_execnz .LBB19_31
; %bb.32:
	s_or_b32 exec_lo, exec_lo, s8
.LBB19_33:
	s_or_b32 exec_lo, exec_lo, s3
.LBB19_34:
	s_or_b32 exec_lo, exec_lo, s1
.LBB19_35:
	v_mbcnt_lo_u32_b32 v41, -1, 0
	v_or_b32_e32 v9, 32, v41
	v_xor_b32_e32 v25, 16, v41
	v_cmp_gt_i32_e32 vcc_lo, 32, v9
	v_cndmask_b32_e32 v9, v41, v9, vcc_lo
	v_cmp_gt_i32_e32 vcc_lo, 32, v25
	v_lshlrev_b32_e32 v24, 2, v9
	v_cndmask_b32_e32 v25, v41, v25, vcc_lo
	ds_bpermute_b32 v9, v24, v110
	ds_bpermute_b32 v10, v24, v111
	;; [unrolled: 1-line block ×16, first 2 shown]
	v_lshlrev_b32_e32 v40, 2, v25
	s_waitcnt lgkmcnt(14)
	v_add_f64 v[9:10], v[110:111], v[9:10]
	s_waitcnt lgkmcnt(12)
	v_add_f64 v[11:12], v[102:103], v[11:12]
	;; [unrolled: 2-line block ×8, first 2 shown]
	ds_bpermute_b32 v25, v40, v9
	ds_bpermute_b32 v26, v40, v10
	ds_bpermute_b32 v27, v40, v11
	ds_bpermute_b32 v28, v40, v12
	ds_bpermute_b32 v29, v40, v13
	ds_bpermute_b32 v30, v40, v14
	ds_bpermute_b32 v31, v40, v15
	ds_bpermute_b32 v32, v40, v16
	ds_bpermute_b32 v33, v40, v17
	ds_bpermute_b32 v34, v40, v18
	ds_bpermute_b32 v35, v40, v19
	ds_bpermute_b32 v36, v40, v20
	ds_bpermute_b32 v37, v40, v21
	ds_bpermute_b32 v38, v40, v22
	ds_bpermute_b32 v39, v40, v23
	ds_bpermute_b32 v40, v40, v24
	s_waitcnt lgkmcnt(14)
	v_add_f64 v[9:10], v[9:10], v[25:26]
	v_xor_b32_e32 v25, 8, v41
	s_waitcnt lgkmcnt(12)
	v_add_f64 v[11:12], v[11:12], v[27:28]
	s_waitcnt lgkmcnt(10)
	v_add_f64 v[13:14], v[13:14], v[29:30]
	v_cmp_gt_i32_e32 vcc_lo, 32, v25
	s_waitcnt lgkmcnt(8)
	v_add_f64 v[15:16], v[15:16], v[31:32]
	s_waitcnt lgkmcnt(6)
	v_add_f64 v[17:18], v[17:18], v[33:34]
	s_waitcnt lgkmcnt(4)
	v_add_f64 v[19:20], v[19:20], v[35:36]
	v_cndmask_b32_e32 v25, v41, v25, vcc_lo
	s_waitcnt lgkmcnt(2)
	v_add_f64 v[21:22], v[21:22], v[37:38]
	s_waitcnt lgkmcnt(0)
	v_add_f64 v[23:24], v[23:24], v[39:40]
	v_lshlrev_b32_e32 v40, 2, v25
	ds_bpermute_b32 v25, v40, v9
	ds_bpermute_b32 v26, v40, v10
	ds_bpermute_b32 v27, v40, v11
	ds_bpermute_b32 v28, v40, v12
	ds_bpermute_b32 v29, v40, v13
	ds_bpermute_b32 v30, v40, v14
	ds_bpermute_b32 v31, v40, v15
	ds_bpermute_b32 v32, v40, v16
	ds_bpermute_b32 v33, v40, v17
	ds_bpermute_b32 v34, v40, v18
	ds_bpermute_b32 v35, v40, v19
	ds_bpermute_b32 v36, v40, v20
	ds_bpermute_b32 v37, v40, v21
	ds_bpermute_b32 v38, v40, v22
	ds_bpermute_b32 v39, v40, v23
	ds_bpermute_b32 v40, v40, v24
	s_waitcnt lgkmcnt(14)
	v_add_f64 v[9:10], v[9:10], v[25:26]
	v_xor_b32_e32 v25, 4, v41
	s_waitcnt lgkmcnt(12)
	v_add_f64 v[11:12], v[11:12], v[27:28]
	s_waitcnt lgkmcnt(10)
	v_add_f64 v[13:14], v[13:14], v[29:30]
	v_cmp_gt_i32_e32 vcc_lo, 32, v25
	s_waitcnt lgkmcnt(8)
	v_add_f64 v[15:16], v[15:16], v[31:32]
	s_waitcnt lgkmcnt(6)
	v_add_f64 v[17:18], v[17:18], v[33:34]
	s_waitcnt lgkmcnt(4)
	v_add_f64 v[19:20], v[19:20], v[35:36]
	v_cndmask_b32_e32 v25, v41, v25, vcc_lo
	s_waitcnt lgkmcnt(2)
	v_add_f64 v[21:22], v[21:22], v[37:38]
	s_waitcnt lgkmcnt(0)
	v_add_f64 v[23:24], v[23:24], v[39:40]
	v_lshlrev_b32_e32 v40, 2, v25
	;; [unrolled: 36-line block ×3, first 2 shown]
	ds_bpermute_b32 v23, v40, v9
	ds_bpermute_b32 v24, v40, v10
	;; [unrolled: 1-line block ×16, first 2 shown]
	s_waitcnt lgkmcnt(14)
	v_add_f64 v[9:10], v[9:10], v[23:24]
	s_waitcnt lgkmcnt(12)
	v_add_f64 v[27:28], v[11:12], v[27:28]
	;; [unrolled: 2-line block ×3, first 2 shown]
	v_xor_b32_e32 v29, 1, v41
	s_waitcnt lgkmcnt(8)
	v_add_f64 v[23:24], v[15:16], v[31:32]
	s_waitcnt lgkmcnt(6)
	v_add_f64 v[13:14], v[17:18], v[33:34]
	v_cmp_gt_i32_e32 vcc_lo, 32, v29
	s_waitcnt lgkmcnt(4)
	v_add_f64 v[17:18], v[19:20], v[35:36]
	s_waitcnt lgkmcnt(2)
	v_add_f64 v[15:16], v[21:22], v[37:38]
	s_waitcnt lgkmcnt(0)
	v_add_f64 v[19:20], v[25:26], v[39:40]
	v_cndmask_b32_e32 v29, v41, v29, vcc_lo
	v_cmp_eq_u32_e32 vcc_lo, 63, v0
	v_lshlrev_b32_e32 v34, 2, v29
	ds_bpermute_b32 v21, v34, v9
	ds_bpermute_b32 v22, v34, v10
	;; [unrolled: 1-line block ×16, first 2 shown]
	s_and_b32 exec_lo, exec_lo, vcc_lo
	s_cbranch_execz .LBB19_8
; %bb.36:
	s_waitcnt lgkmcnt(12)
	v_add_f64 v[27:28], v[27:28], v[39:40]
	s_waitcnt lgkmcnt(8)
	v_add_f64 v[23:24], v[23:24], v[37:38]
	;; [unrolled: 2-line block ×4, first 2 shown]
	v_add_f64 v[9:10], v[9:10], v[21:22]
	v_add_f64 v[11:12], v[11:12], v[25:26]
	;; [unrolled: 1-line block ×4, first 2 shown]
	v_cmp_eq_f64_e32 vcc_lo, 0, v[1:2]
	v_cmp_eq_f64_e64 s0, 0, v[3:4]
	s_load_dwordx2 s[2:3], s[4:5], 0x60
	v_mul_f64 v[13:14], v[27:28], -v[7:8]
	v_mul_f64 v[15:16], v[5:6], v[27:28]
	v_mul_f64 v[27:28], v[23:24], -v[7:8]
	v_mul_f64 v[23:24], v[5:6], v[23:24]
	;; [unrolled: 2-line block ×4, first 2 shown]
	s_and_b32 s0, vcc_lo, s0
	v_fma_f64 v[17:18], v[5:6], v[9:10], v[13:14]
	v_fma_f64 v[19:20], v[7:8], v[9:10], v[15:16]
	;; [unrolled: 1-line block ×8, first 2 shown]
	v_lshlrev_b32_e32 v21, 2, v93
	s_and_saveexec_b32 s1, s0
	s_xor_b32 s0, exec_lo, s1
	s_cbranch_execz .LBB19_38
; %bb.37:
	v_ashrrev_i32_e32 v22, 31, v21
	v_lshlrev_b64 v[0:1], 4, v[21:22]
                                        ; implicit-def: $vgpr21
	s_waitcnt lgkmcnt(0)
	v_add_co_u32 v0, vcc_lo, s2, v0
	v_add_co_ci_u32_e64 v1, null, s3, v1, vcc_lo
	global_store_dwordx4 v[0:1], v[17:20], off
	global_store_dwordx4 v[0:1], v[13:16], off offset:16
	global_store_dwordx4 v[0:1], v[9:12], off offset:32
	;; [unrolled: 1-line block ×3, first 2 shown]
                                        ; implicit-def: $vgpr3_vgpr4
                                        ; implicit-def: $vgpr17_vgpr18
                                        ; implicit-def: $vgpr13_vgpr14
                                        ; implicit-def: $vgpr9_vgpr10
                                        ; implicit-def: $vgpr5_vgpr6
.LBB19_38:
	s_andn2_saveexec_b32 s0, s0
	s_cbranch_execz .LBB19_8
; %bb.39:
	v_ashrrev_i32_e32 v22, 31, v21
	v_lshlrev_b64 v[21:22], 4, v[21:22]
	s_waitcnt lgkmcnt(0)
	v_add_co_u32 v37, vcc_lo, s2, v21
	v_add_co_ci_u32_e64 v38, null, s3, v22, vcc_lo
	s_clause 0x3
	global_load_dwordx4 v[21:24], v[37:38], off
	global_load_dwordx4 v[25:28], v[37:38], off offset:16
	global_load_dwordx4 v[29:32], v[37:38], off offset:32
	;; [unrolled: 1-line block ×3, first 2 shown]
	s_waitcnt vmcnt(3)
	v_fma_f64 v[17:18], v[1:2], v[21:22], v[17:18]
	v_fma_f64 v[19:20], v[3:4], v[21:22], v[19:20]
	s_waitcnt vmcnt(2)
	v_fma_f64 v[13:14], v[1:2], v[25:26], v[13:14]
	v_fma_f64 v[15:16], v[3:4], v[25:26], v[15:16]
	;; [unrolled: 3-line block ×4, first 2 shown]
	v_fma_f64 v[5:6], -v[3:4], v[23:24], v[17:18]
	v_fma_f64 v[7:8], v[1:2], v[23:24], v[19:20]
	v_fma_f64 v[9:10], -v[3:4], v[27:28], v[13:14]
	v_fma_f64 v[11:12], v[1:2], v[27:28], v[15:16]
	;; [unrolled: 2-line block ×4, first 2 shown]
	global_store_dwordx4 v[37:38], v[5:8], off
	global_store_dwordx4 v[37:38], v[9:12], off offset:16
	global_store_dwordx4 v[37:38], v[13:16], off offset:32
	;; [unrolled: 1-line block ×3, first 2 shown]
	s_endpgm
	.section	.rodata,"a",@progbits
	.p2align	6, 0x0
	.amdhsa_kernel _ZN9rocsparseL18bsrxmvn_4x4_kernelILj128ELj64E21rocsparse_complex_numIdEiiS2_S2_S2_EEvT3_20rocsparse_direction_NS_24const_host_device_scalarIT1_EES3_PKS3_PKT2_SC_S9_PKT4_PKT5_S7_PT6_21rocsparse_index_base_b
		.amdhsa_group_segment_fixed_size 0
		.amdhsa_private_segment_fixed_size 0
		.amdhsa_kernarg_size 112
		.amdhsa_user_sgpr_count 6
		.amdhsa_user_sgpr_private_segment_buffer 1
		.amdhsa_user_sgpr_dispatch_ptr 0
		.amdhsa_user_sgpr_queue_ptr 0
		.amdhsa_user_sgpr_kernarg_segment_ptr 1
		.amdhsa_user_sgpr_dispatch_id 0
		.amdhsa_user_sgpr_flat_scratch_init 0
		.amdhsa_user_sgpr_private_segment_size 0
		.amdhsa_wavefront_size32 1
		.amdhsa_uses_dynamic_stack 0
		.amdhsa_system_sgpr_private_segment_wavefront_offset 0
		.amdhsa_system_sgpr_workgroup_id_x 1
		.amdhsa_system_sgpr_workgroup_id_y 0
		.amdhsa_system_sgpr_workgroup_id_z 0
		.amdhsa_system_sgpr_workgroup_info 0
		.amdhsa_system_vgpr_workitem_id 0
		.amdhsa_next_free_vgpr 160
		.amdhsa_next_free_sgpr 16
		.amdhsa_reserve_vcc 1
		.amdhsa_reserve_flat_scratch 0
		.amdhsa_float_round_mode_32 0
		.amdhsa_float_round_mode_16_64 0
		.amdhsa_float_denorm_mode_32 3
		.amdhsa_float_denorm_mode_16_64 3
		.amdhsa_dx10_clamp 1
		.amdhsa_ieee_mode 1
		.amdhsa_fp16_overflow 0
		.amdhsa_workgroup_processor_mode 1
		.amdhsa_memory_ordered 1
		.amdhsa_forward_progress 1
		.amdhsa_shared_vgpr_count 0
		.amdhsa_exception_fp_ieee_invalid_op 0
		.amdhsa_exception_fp_denorm_src 0
		.amdhsa_exception_fp_ieee_div_zero 0
		.amdhsa_exception_fp_ieee_overflow 0
		.amdhsa_exception_fp_ieee_underflow 0
		.amdhsa_exception_fp_ieee_inexact 0
		.amdhsa_exception_int_div_zero 0
	.end_amdhsa_kernel
	.section	.text._ZN9rocsparseL18bsrxmvn_4x4_kernelILj128ELj64E21rocsparse_complex_numIdEiiS2_S2_S2_EEvT3_20rocsparse_direction_NS_24const_host_device_scalarIT1_EES3_PKS3_PKT2_SC_S9_PKT4_PKT5_S7_PT6_21rocsparse_index_base_b,"axG",@progbits,_ZN9rocsparseL18bsrxmvn_4x4_kernelILj128ELj64E21rocsparse_complex_numIdEiiS2_S2_S2_EEvT3_20rocsparse_direction_NS_24const_host_device_scalarIT1_EES3_PKS3_PKT2_SC_S9_PKT4_PKT5_S7_PT6_21rocsparse_index_base_b,comdat
.Lfunc_end19:
	.size	_ZN9rocsparseL18bsrxmvn_4x4_kernelILj128ELj64E21rocsparse_complex_numIdEiiS2_S2_S2_EEvT3_20rocsparse_direction_NS_24const_host_device_scalarIT1_EES3_PKS3_PKT2_SC_S9_PKT4_PKT5_S7_PT6_21rocsparse_index_base_b, .Lfunc_end19-_ZN9rocsparseL18bsrxmvn_4x4_kernelILj128ELj64E21rocsparse_complex_numIdEiiS2_S2_S2_EEvT3_20rocsparse_direction_NS_24const_host_device_scalarIT1_EES3_PKS3_PKT2_SC_S9_PKT4_PKT5_S7_PT6_21rocsparse_index_base_b
                                        ; -- End function
	.set _ZN9rocsparseL18bsrxmvn_4x4_kernelILj128ELj64E21rocsparse_complex_numIdEiiS2_S2_S2_EEvT3_20rocsparse_direction_NS_24const_host_device_scalarIT1_EES3_PKS3_PKT2_SC_S9_PKT4_PKT5_S7_PT6_21rocsparse_index_base_b.num_vgpr, 160
	.set _ZN9rocsparseL18bsrxmvn_4x4_kernelILj128ELj64E21rocsparse_complex_numIdEiiS2_S2_S2_EEvT3_20rocsparse_direction_NS_24const_host_device_scalarIT1_EES3_PKS3_PKT2_SC_S9_PKT4_PKT5_S7_PT6_21rocsparse_index_base_b.num_agpr, 0
	.set _ZN9rocsparseL18bsrxmvn_4x4_kernelILj128ELj64E21rocsparse_complex_numIdEiiS2_S2_S2_EEvT3_20rocsparse_direction_NS_24const_host_device_scalarIT1_EES3_PKS3_PKT2_SC_S9_PKT4_PKT5_S7_PT6_21rocsparse_index_base_b.numbered_sgpr, 16
	.set _ZN9rocsparseL18bsrxmvn_4x4_kernelILj128ELj64E21rocsparse_complex_numIdEiiS2_S2_S2_EEvT3_20rocsparse_direction_NS_24const_host_device_scalarIT1_EES3_PKS3_PKT2_SC_S9_PKT4_PKT5_S7_PT6_21rocsparse_index_base_b.num_named_barrier, 0
	.set _ZN9rocsparseL18bsrxmvn_4x4_kernelILj128ELj64E21rocsparse_complex_numIdEiiS2_S2_S2_EEvT3_20rocsparse_direction_NS_24const_host_device_scalarIT1_EES3_PKS3_PKT2_SC_S9_PKT4_PKT5_S7_PT6_21rocsparse_index_base_b.private_seg_size, 0
	.set _ZN9rocsparseL18bsrxmvn_4x4_kernelILj128ELj64E21rocsparse_complex_numIdEiiS2_S2_S2_EEvT3_20rocsparse_direction_NS_24const_host_device_scalarIT1_EES3_PKS3_PKT2_SC_S9_PKT4_PKT5_S7_PT6_21rocsparse_index_base_b.uses_vcc, 1
	.set _ZN9rocsparseL18bsrxmvn_4x4_kernelILj128ELj64E21rocsparse_complex_numIdEiiS2_S2_S2_EEvT3_20rocsparse_direction_NS_24const_host_device_scalarIT1_EES3_PKS3_PKT2_SC_S9_PKT4_PKT5_S7_PT6_21rocsparse_index_base_b.uses_flat_scratch, 0
	.set _ZN9rocsparseL18bsrxmvn_4x4_kernelILj128ELj64E21rocsparse_complex_numIdEiiS2_S2_S2_EEvT3_20rocsparse_direction_NS_24const_host_device_scalarIT1_EES3_PKS3_PKT2_SC_S9_PKT4_PKT5_S7_PT6_21rocsparse_index_base_b.has_dyn_sized_stack, 0
	.set _ZN9rocsparseL18bsrxmvn_4x4_kernelILj128ELj64E21rocsparse_complex_numIdEiiS2_S2_S2_EEvT3_20rocsparse_direction_NS_24const_host_device_scalarIT1_EES3_PKS3_PKT2_SC_S9_PKT4_PKT5_S7_PT6_21rocsparse_index_base_b.has_recursion, 0
	.set _ZN9rocsparseL18bsrxmvn_4x4_kernelILj128ELj64E21rocsparse_complex_numIdEiiS2_S2_S2_EEvT3_20rocsparse_direction_NS_24const_host_device_scalarIT1_EES3_PKS3_PKT2_SC_S9_PKT4_PKT5_S7_PT6_21rocsparse_index_base_b.has_indirect_call, 0
	.section	.AMDGPU.csdata,"",@progbits
; Kernel info:
; codeLenInByte = 11060
; TotalNumSgprs: 18
; NumVgprs: 160
; ScratchSize: 0
; MemoryBound: 1
; FloatMode: 240
; IeeeMode: 1
; LDSByteSize: 0 bytes/workgroup (compile time only)
; SGPRBlocks: 0
; VGPRBlocks: 19
; NumSGPRsForWavesPerEU: 18
; NumVGPRsForWavesPerEU: 160
; Occupancy: 6
; WaveLimiterHint : 1
; COMPUTE_PGM_RSRC2:SCRATCH_EN: 0
; COMPUTE_PGM_RSRC2:USER_SGPR: 6
; COMPUTE_PGM_RSRC2:TRAP_HANDLER: 0
; COMPUTE_PGM_RSRC2:TGID_X_EN: 1
; COMPUTE_PGM_RSRC2:TGID_Y_EN: 0
; COMPUTE_PGM_RSRC2:TGID_Z_EN: 0
; COMPUTE_PGM_RSRC2:TIDIG_COMP_CNT: 0
	.section	.text._ZN9rocsparseL18bsrxmvn_4x4_kernelILj128ELj4EflifffEEvT3_20rocsparse_direction_NS_24const_host_device_scalarIT1_EES1_PKS1_PKT2_SA_S7_PKT4_PKT5_S5_PT6_21rocsparse_index_base_b,"axG",@progbits,_ZN9rocsparseL18bsrxmvn_4x4_kernelILj128ELj4EflifffEEvT3_20rocsparse_direction_NS_24const_host_device_scalarIT1_EES1_PKS1_PKT2_SA_S7_PKT4_PKT5_S5_PT6_21rocsparse_index_base_b,comdat
	.globl	_ZN9rocsparseL18bsrxmvn_4x4_kernelILj128ELj4EflifffEEvT3_20rocsparse_direction_NS_24const_host_device_scalarIT1_EES1_PKS1_PKT2_SA_S7_PKT4_PKT5_S5_PT6_21rocsparse_index_base_b ; -- Begin function _ZN9rocsparseL18bsrxmvn_4x4_kernelILj128ELj4EflifffEEvT3_20rocsparse_direction_NS_24const_host_device_scalarIT1_EES1_PKS1_PKT2_SA_S7_PKT4_PKT5_S5_PT6_21rocsparse_index_base_b
	.p2align	8
	.type	_ZN9rocsparseL18bsrxmvn_4x4_kernelILj128ELj4EflifffEEvT3_20rocsparse_direction_NS_24const_host_device_scalarIT1_EES1_PKS1_PKT2_SA_S7_PKT4_PKT5_S5_PT6_21rocsparse_index_base_b,@function
_ZN9rocsparseL18bsrxmvn_4x4_kernelILj128ELj4EflifffEEvT3_20rocsparse_direction_NS_24const_host_device_scalarIT1_EES1_PKS1_PKT2_SA_S7_PKT4_PKT5_S5_PT6_21rocsparse_index_base_b: ; @_ZN9rocsparseL18bsrxmvn_4x4_kernelILj128ELj4EflifffEEvT3_20rocsparse_direction_NS_24const_host_device_scalarIT1_EES1_PKS1_PKT2_SA_S7_PKT4_PKT5_S5_PT6_21rocsparse_index_base_b
; %bb.0:
	s_clause 0x2
	s_load_dwordx2 s[18:19], s[4:5], 0x58
	s_load_dwordx2 s[16:17], s[4:5], 0x8
	;; [unrolled: 1-line block ×3, first 2 shown]
	s_waitcnt lgkmcnt(0)
	s_bitcmp1_b32 s19, 0
	s_cselect_b32 s0, -1, 0
	s_and_b32 vcc_lo, exec_lo, s0
	s_xor_b32 s0, s0, -1
	s_cbranch_vccnz .LBB20_2
; %bb.1:
	s_load_dword s16, s[16:17], 0x0
.LBB20_2:
	s_andn2_b32 vcc_lo, exec_lo, s0
	s_cbranch_vccnz .LBB20_4
; %bb.3:
	s_load_dword s2, s[2:3], 0x0
.LBB20_4:
	s_waitcnt lgkmcnt(0)
	v_cmp_neq_f32_e64 s0, s16, 0
	v_cmp_neq_f32_e64 s1, s2, 1.0
	s_mov_b32 s3, 0
	s_or_b32 s0, s0, s1
	s_andn2_b32 vcc_lo, exec_lo, s0
	s_cbranch_vccnz .LBB20_10
; %bb.5:
	s_clause 0x1
	s_load_dwordx2 s[8:9], s[4:5], 0x18
	s_load_dwordx2 s[0:1], s[4:5], 0x0
	v_lshrrev_b32_e32 v1, 2, v0
	v_lshl_or_b32 v4, s6, 5, v1
	s_waitcnt lgkmcnt(0)
	s_cmp_lg_u64 s[8:9], 0
	s_cbranch_scc0 .LBB20_11
; %bb.6:
	s_load_dword s3, s[4:5], 0x10
	s_mov_b32 s6, 0
                                        ; implicit-def: $vgpr1
	s_waitcnt lgkmcnt(0)
	v_cmp_gt_i32_e32 vcc_lo, s3, v4
	s_mov_b32 s3, 0
	s_and_saveexec_b32 s7, vcc_lo
	s_xor_b32 s7, exec_lo, s7
	s_cbranch_execz .LBB20_8
; %bb.7:
	v_ashrrev_i32_e32 v5, 31, v4
	s_mov_b32 s3, exec_lo
	v_lshlrev_b64 v[1:2], 2, v[4:5]
	v_add_co_u32 v1, vcc_lo, s8, v1
	v_add_co_ci_u32_e64 v2, null, s9, v2, vcc_lo
	global_load_dword v1, v[1:2], off
	s_waitcnt vmcnt(0)
	v_subrev_nc_u32_e32 v1, s18, v1
.LBB20_8:
	s_or_b32 exec_lo, exec_lo, s7
	s_and_b32 vcc_lo, exec_lo, s6
	s_cbranch_vccz .LBB20_12
.LBB20_9:
	v_cmp_gt_i32_e32 vcc_lo, s0, v4
	s_andn2_b32 s0, s3, exec_lo
	s_and_b32 s3, vcc_lo, exec_lo
	s_or_b32 s3, s0, s3
	s_and_saveexec_b32 s0, s3
	s_cbranch_execnz .LBB20_13
.LBB20_10:
	s_endpgm
.LBB20_11:
                                        ; implicit-def: $vgpr1
	s_cbranch_execnz .LBB20_9
.LBB20_12:
	v_mov_b32_e32 v4, v1
	s_and_saveexec_b32 s0, s3
	s_cbranch_execz .LBB20_10
.LBB20_13:
	s_load_dwordx8 s[8:15], s[4:5], 0x20
	v_ashrrev_i32_e32 v5, 31, v4
	v_and_b32_e32 v21, 3, v0
	s_load_dwordx2 s[6:7], s[4:5], 0x40
	v_mov_b32_e32 v22, 0
	v_lshlrev_b64 v[1:2], 3, v[4:5]
	s_waitcnt lgkmcnt(0)
	v_add_co_u32 v5, vcc_lo, s8, v1
	v_add_co_ci_u32_e64 v6, null, s9, v2, vcc_lo
	v_add_co_u32 v1, vcc_lo, s10, v1
	v_add_co_ci_u32_e64 v2, null, s11, v2, vcc_lo
	v_add_co_u32 v3, vcc_lo, v5, 8
	global_load_dwordx2 v[9:10], v[5:6], off
	v_add_co_ci_u32_e64 v7, null, 0, v6, vcc_lo
	s_cmp_eq_u64 s[10:11], 0
	s_cselect_b32 vcc_lo, -1, 0
	s_cmp_eq_u32 s1, 1
	v_cndmask_b32_e32 v2, v2, v7, vcc_lo
	v_cndmask_b32_e32 v1, v1, v3, vcc_lo
	global_load_dwordx2 v[2:3], v[1:2], off
	s_waitcnt vmcnt(1)
	v_sub_co_u32 v0, vcc_lo, v9, s18
	v_subrev_co_ci_u32_e64 v1, null, 0, v10, vcc_lo
	v_add_co_u32 v0, vcc_lo, v0, v21
	v_add_co_ci_u32_e64 v1, null, 0, v1, vcc_lo
	v_lshlrev_b64 v[5:6], 6, v[0:1]
	s_waitcnt vmcnt(0)
	v_sub_co_u32 v2, vcc_lo, v2, s18
	v_subrev_co_ci_u32_e64 v3, null, 0, v3, vcc_lo
	v_add_co_u32 v5, vcc_lo, s14, v5
	v_cmp_lt_i64_e64 s0, v[0:1], v[2:3]
	v_add_co_ci_u32_e64 v6, null, s15, v6, vcc_lo
	s_cbranch_scc1 .LBB20_25
; %bb.14:
	v_mov_b32_e32 v23, 0
	v_mov_b32_e32 v24, 0
	;; [unrolled: 1-line block ×3, first 2 shown]
	s_and_saveexec_b32 s3, s0
	s_cbranch_execz .LBB20_24
; %bb.15:
	v_or_b32_e32 v7, 4, v21
	v_not_b32_e32 v12, v9
	v_not_b32_e32 v11, v10
	v_sub_co_u32 v7, s1, v7, s18
	v_sub_co_ci_u32_e64 v8, null, 0, 0, s1
	v_sub_co_u32 v13, s1, s18, v21
	v_add_co_u32 v7, vcc_lo, v7, v9
	v_add_co_ci_u32_e64 v8, null, v8, v10, vcc_lo
	v_sub_co_ci_u32_e64 v14, null, 0, 0, s1
	s_mov_b32 s1, exec_lo
	v_cmp_gt_i64_e32 vcc_lo, v[7:8], v[2:3]
	v_cndmask_b32_e32 v16, v3, v8, vcc_lo
	v_cndmask_b32_e32 v7, v2, v7, vcc_lo
	v_add_co_u32 v8, vcc_lo, v13, v12
	v_add_co_ci_u32_e64 v11, null, v14, v11, vcc_lo
	v_mov_b32_e32 v14, v6
	v_add_co_u32 v15, vcc_lo, v8, v7
	v_mov_b32_e32 v8, 0
	v_add_co_ci_u32_e64 v16, null, v11, v16, vcc_lo
	v_mov_b32_e32 v12, v1
	v_and_b32_e32 v7, 12, v15
	v_mov_b32_e32 v24, v8
	v_mov_b32_e32 v23, v8
	;; [unrolled: 1-line block ×5, first 2 shown]
	v_cmpx_ne_u64_e32 12, v[7:8]
	s_cbranch_execz .LBB20_19
; %bb.16:
	v_lshrrev_b32_e32 v7, 2, v15
	v_mov_b32_e32 v14, v6
	v_mov_b32_e32 v12, v1
	;; [unrolled: 1-line block ×4, first 2 shown]
	v_add_nc_u32_e32 v17, 1, v7
	v_lshlrev_b64 v[7:8], 2, v[0:1]
	v_mov_b32_e32 v11, v0
	v_mov_b32_e32 v23, 0
	;; [unrolled: 1-line block ×3, first 2 shown]
	v_and_b32_e32 v19, 3, v17
	v_add_co_u32 v17, vcc_lo, s12, v7
	v_add_co_ci_u32_e64 v18, null, s13, v8, vcc_lo
	v_sub_co_u32 v19, s8, 0, v19
	v_sub_co_ci_u32_e64 v20, null, 0, 0, s8
	v_mov_b32_e32 v8, 0
	s_mov_b32 s8, 0
.LBB20_17:                              ; =>This Inner Loop Header: Depth=1
	global_load_dword v7, v[17:18], off
	s_clause 0x3
	global_load_dwordx4 v[25:28], v[13:14], off offset:48
	global_load_dwordx4 v[29:32], v[13:14], off offset:32
	;; [unrolled: 1-line block ×3, first 2 shown]
	global_load_dwordx4 v[37:40], v[13:14], off
	s_waitcnt vmcnt(4)
	v_subrev_nc_u32_e32 v7, s18, v7
	v_lshlrev_b32_e32 v41, 2, v7
	v_ashrrev_i32_e32 v42, 31, v41
	v_lshlrev_b64 v[41:42], 2, v[41:42]
	v_add_co_u32 v41, vcc_lo, s6, v41
	v_add_co_ci_u32_e64 v42, null, s7, v42, vcc_lo
	v_add_co_u32 v13, vcc_lo, 0x100, v13
	v_add_co_ci_u32_e64 v14, null, 0, v14, vcc_lo
	global_load_dwordx4 v[41:44], v[41:42], off
	v_add_co_u32 v11, vcc_lo, v11, 4
	v_add_co_ci_u32_e64 v12, null, 0, v12, vcc_lo
	v_add_co_u32 v17, vcc_lo, v17, 16
	v_add_co_ci_u32_e64 v18, null, 0, v18, vcc_lo
	v_add_co_u32 v19, vcc_lo, v19, 1
	v_add_co_ci_u32_e64 v20, null, 0, v20, vcc_lo
	v_cmp_eq_u64_e32 vcc_lo, 0, v[19:20]
	s_or_b32 s8, vcc_lo, s8
	s_waitcnt vmcnt(0)
	v_fmac_f32_e32 v8, v37, v41
	v_fmac_f32_e32 v24, v33, v41
	;; [unrolled: 1-line block ×16, first 2 shown]
	s_andn2_b32 exec_lo, exec_lo, s8
	s_cbranch_execnz .LBB20_17
; %bb.18:
	s_or_b32 exec_lo, exec_lo, s8
.LBB20_19:
	s_or_b32 exec_lo, exec_lo, s1
	s_mov_b32 s8, exec_lo
	v_cmpx_lt_u64_e32 11, v[15:16]
	s_cbranch_execz .LBB20_23
; %bb.20:
	v_lshlrev_b64 v[15:16], 2, v[11:12]
	s_mov_b32 s9, 0
	v_add_co_u32 v7, vcc_lo, s12, v15
	v_add_co_ci_u32_e64 v16, null, s13, v16, vcc_lo
	v_add_co_u32 v15, vcc_lo, v7, 32
	v_add_co_ci_u32_e64 v16, null, 0, v16, vcc_lo
.LBB20_21:                              ; =>This Inner Loop Header: Depth=1
	s_clause 0x1
	global_load_dword v7, v[15:16], off offset:-32
	global_load_dword v57, v[15:16], off offset:-16
	s_clause 0x8
	global_load_dwordx4 v[17:20], v[13:14], off offset:48
	global_load_dwordx4 v[25:28], v[13:14], off offset:32
	;; [unrolled: 1-line block ×3, first 2 shown]
	global_load_dwordx4 v[33:36], v[13:14], off
	global_load_dwordx4 v[37:40], v[13:14], off offset:304
	global_load_dwordx4 v[41:44], v[13:14], off offset:288
	;; [unrolled: 1-line block ×5, first 2 shown]
	s_clause 0x1
	global_load_dword v65, v[15:16], off
	global_load_dword v66, v[15:16], off offset:16
	s_waitcnt vmcnt(12)
	v_subrev_nc_u32_e32 v7, s18, v7
	s_waitcnt vmcnt(11)
	v_subrev_nc_u32_e32 v58, s18, v57
	v_lshlrev_b32_e32 v57, 2, v7
	v_lshlrev_b32_e32 v59, 2, v58
	v_ashrrev_i32_e32 v58, 31, v57
	v_ashrrev_i32_e32 v60, 31, v59
	s_waitcnt vmcnt(1)
	v_subrev_nc_u32_e32 v7, s18, v65
	s_waitcnt vmcnt(0)
	v_subrev_nc_u32_e32 v66, s18, v66
	v_lshlrev_b64 v[57:58], 2, v[57:58]
	v_lshlrev_b64 v[59:60], 2, v[59:60]
	v_lshlrev_b32_e32 v65, 2, v7
	v_add_co_u32 v57, vcc_lo, s6, v57
	v_add_co_ci_u32_e64 v58, null, s7, v58, vcc_lo
	v_add_co_u32 v61, vcc_lo, s6, v59
	v_add_co_ci_u32_e64 v62, null, s7, v60, vcc_lo
	s_clause 0x1
	global_load_dwordx4 v[57:60], v[57:58], off
	global_load_dwordx4 v[61:64], v[61:62], off
	s_waitcnt vmcnt(1)
	v_fmac_f32_e32 v23, v25, v57
	v_fmac_f32_e32 v8, v33, v57
	;; [unrolled: 1-line block ×14, first 2 shown]
	global_load_dwordx4 v[33:36], v[13:14], off offset:544
	v_fmac_f32_e32 v24, v32, v60
	s_clause 0x1
	global_load_dwordx4 v[29:32], v[13:14], off offset:528
	global_load_dwordx4 v[25:28], v[13:14], off offset:512
	s_waitcnt vmcnt(3)
	v_fmac_f32_e32 v23, v41, v61
	v_lshlrev_b32_e32 v41, 2, v66
	v_ashrrev_i32_e32 v66, 31, v65
	v_fmac_f32_e32 v22, v20, v60
	s_clause 0x1
	global_load_dwordx4 v[17:20], v[13:14], off offset:816
	global_load_dwordx4 v[57:60], v[13:14], off offset:800
	v_fmac_f32_e32 v23, v42, v62
	v_ashrrev_i32_e32 v42, 31, v41
	v_fmac_f32_e32 v8, v49, v61
	v_fmac_f32_e32 v24, v45, v61
	;; [unrolled: 1-line block ×4, first 2 shown]
	v_lshlrev_b64 v[41:42], 2, v[41:42]
	v_fmac_f32_e32 v8, v50, v62
	v_fmac_f32_e32 v24, v46, v62
	;; [unrolled: 1-line block ×4, first 2 shown]
	v_lshlrev_b64 v[43:44], 2, v[65:66]
	v_fmac_f32_e32 v8, v51, v63
	v_fmac_f32_e32 v24, v47, v63
	;; [unrolled: 1-line block ×3, first 2 shown]
	v_add_co_u32 v43, vcc_lo, s6, v43
	v_add_co_ci_u32_e64 v44, null, s7, v44, vcc_lo
	v_add_co_u32 v65, vcc_lo, s6, v41
	v_add_co_ci_u32_e64 v66, null, s7, v42, vcc_lo
	global_load_dwordx4 v[41:44], v[43:44], off
	v_fmac_f32_e32 v8, v52, v64
	global_load_dwordx4 v[49:52], v[13:14], off offset:784
	v_fmac_f32_e32 v24, v48, v64
	global_load_dwordx4 v[45:48], v[13:14], off offset:768
	v_fmac_f32_e32 v22, v40, v64
	global_load_dwordx4 v[37:40], v[65:66], off
	v_add_co_u32 v13, s1, 0x400, v13
	v_add_co_ci_u32_e64 v14, null, 0, v14, s1
	v_add_co_u32 v11, s1, v11, 16
	v_add_co_ci_u32_e64 v12, null, 0, v12, s1
	v_add_co_u32 v15, vcc_lo, v15, 64
	v_add_co_ci_u32_e64 v16, null, 0, v16, vcc_lo
	v_cmp_ge_i64_e32 vcc_lo, v[11:12], v[2:3]
	s_or_b32 s9, vcc_lo, s9
	s_waitcnt vmcnt(3)
	v_fmac_f32_e32 v8, v25, v41
	v_fmac_f32_e32 v24, v29, v41
	;; [unrolled: 1-line block ×16, first 2 shown]
	s_waitcnt vmcnt(0)
	v_fmac_f32_e32 v8, v45, v37
	v_fmac_f32_e32 v24, v49, v37
	;; [unrolled: 1-line block ×16, first 2 shown]
	s_andn2_b32 exec_lo, exec_lo, s9
	s_cbranch_execnz .LBB20_21
; %bb.22:
	s_or_b32 exec_lo, exec_lo, s9
.LBB20_23:
	s_or_b32 exec_lo, exec_lo, s8
.LBB20_24:
	s_or_b32 exec_lo, exec_lo, s3
	s_cbranch_execz .LBB20_26
	s_branch .LBB20_37
.LBB20_25:
                                        ; implicit-def: $vgpr22
                                        ; implicit-def: $vgpr23
                                        ; implicit-def: $vgpr24
                                        ; implicit-def: $vgpr8
.LBB20_26:
	v_mov_b32_e32 v22, 0
	v_mov_b32_e32 v23, 0
	;; [unrolled: 1-line block ×4, first 2 shown]
	s_and_saveexec_b32 s1, s0
	s_cbranch_execz .LBB20_36
; %bb.27:
	v_or_b32_e32 v7, 4, v21
	v_sub_co_u32 v7, s0, v7, s18
	v_sub_co_ci_u32_e64 v8, null, 0, 0, s0
	v_sub_co_u32 v11, s0, s18, v21
	v_add_co_u32 v7, vcc_lo, v7, v9
	v_add_co_ci_u32_e64 v8, null, v8, v10, vcc_lo
	v_not_b32_e32 v9, v9
	v_not_b32_e32 v10, v10
	v_sub_co_ci_u32_e64 v12, null, 0, 0, s0
	v_cmp_gt_i64_e32 vcc_lo, v[7:8], v[2:3]
	s_mov_b32 s0, exec_lo
	v_cndmask_b32_e32 v13, v3, v8, vcc_lo
	v_cndmask_b32_e32 v7, v2, v7, vcc_lo
	v_add_co_u32 v8, vcc_lo, v11, v9
	v_add_co_ci_u32_e64 v10, null, v12, v10, vcc_lo
	v_add_co_u32 v9, vcc_lo, v8, v7
	v_mov_b32_e32 v8, 0
	v_add_co_ci_u32_e64 v10, null, v10, v13, vcc_lo
	v_and_b32_e32 v7, 12, v9
	v_mov_b32_e32 v24, v8
	v_mov_b32_e32 v23, v8
	;; [unrolled: 1-line block ×3, first 2 shown]
	v_cmpx_ne_u64_e32 12, v[7:8]
	s_cbranch_execz .LBB20_31
; %bb.28:
	v_lshrrev_b32_e32 v7, 2, v9
	v_mov_b32_e32 v22, 0
	v_mov_b32_e32 v23, 0
	;; [unrolled: 1-line block ×3, first 2 shown]
	v_add_nc_u32_e32 v11, 1, v7
	v_lshlrev_b64 v[7:8], 2, v[0:1]
	v_and_b32_e32 v13, 3, v11
	v_add_co_u32 v11, vcc_lo, s12, v7
	v_add_co_ci_u32_e64 v12, null, s13, v8, vcc_lo
	v_sub_co_u32 v13, s3, 0, v13
	v_sub_co_ci_u32_e64 v14, null, 0, 0, s3
	v_mov_b32_e32 v8, 0
	s_mov_b32 s3, 0
.LBB20_29:                              ; =>This Inner Loop Header: Depth=1
	global_load_dword v7, v[11:12], off
	s_clause 0x1
	global_load_dwordx4 v[15:18], v[5:6], off offset:16
	global_load_dwordx4 v[25:28], v[5:6], off
	s_waitcnt vmcnt(2)
	v_subrev_nc_u32_e32 v7, s18, v7
	v_lshlrev_b32_e32 v19, 2, v7
	v_ashrrev_i32_e32 v20, 31, v19
	v_lshlrev_b64 v[19:20], 2, v[19:20]
	v_add_co_u32 v19, vcc_lo, s6, v19
	v_add_co_ci_u32_e64 v20, null, s7, v20, vcc_lo
	global_load_dwordx4 v[29:32], v[19:20], off
	s_clause 0x1
	global_load_dwordx4 v[33:36], v[5:6], off offset:32
	global_load_dwordx4 v[37:40], v[5:6], off offset:48
	v_add_co_u32 v5, vcc_lo, 0x100, v5
	v_add_co_ci_u32_e64 v6, null, 0, v6, vcc_lo
	v_add_co_u32 v0, vcc_lo, v0, 4
	v_add_co_ci_u32_e64 v1, null, 0, v1, vcc_lo
	;; [unrolled: 2-line block ×4, first 2 shown]
	v_cmp_eq_u64_e32 vcc_lo, 0, v[13:14]
	s_or_b32 s3, vcc_lo, s3
	s_waitcnt vmcnt(2)
	v_fmac_f32_e32 v8, v25, v29
	v_fmac_f32_e32 v24, v26, v29
	;; [unrolled: 1-line block ×8, first 2 shown]
	s_waitcnt vmcnt(1)
	v_fmac_f32_e32 v8, v33, v31
	v_fmac_f32_e32 v24, v34, v31
	;; [unrolled: 1-line block ×4, first 2 shown]
	s_waitcnt vmcnt(0)
	v_fmac_f32_e32 v8, v37, v32
	v_fmac_f32_e32 v24, v38, v32
	;; [unrolled: 1-line block ×4, first 2 shown]
	s_andn2_b32 exec_lo, exec_lo, s3
	s_cbranch_execnz .LBB20_29
; %bb.30:
	s_or_b32 exec_lo, exec_lo, s3
.LBB20_31:
	s_or_b32 exec_lo, exec_lo, s0
	s_mov_b32 s0, exec_lo
	v_cmpx_lt_u64_e32 11, v[9:10]
	s_cbranch_execz .LBB20_35
; %bb.32:
	v_lshlrev_b64 v[9:10], 2, v[0:1]
	s_mov_b32 s3, 0
	v_add_co_u32 v7, vcc_lo, s12, v9
	v_add_co_ci_u32_e64 v10, null, s13, v10, vcc_lo
	v_add_co_u32 v9, vcc_lo, v7, 32
	v_add_co_ci_u32_e64 v10, null, 0, v10, vcc_lo
.LBB20_33:                              ; =>This Inner Loop Header: Depth=1
	s_clause 0x1
	global_load_dword v7, v[9:10], off offset:-32
	global_load_dword v19, v[9:10], off offset:-16
	s_clause 0x8
	global_load_dwordx4 v[11:14], v[5:6], off offset:48
	global_load_dwordx4 v[15:18], v[5:6], off offset:32
	;; [unrolled: 1-line block ×3, first 2 shown]
	global_load_dwordx4 v[29:32], v[5:6], off
	global_load_dwordx4 v[33:36], v[5:6], off offset:304
	global_load_dwordx4 v[37:40], v[5:6], off offset:288
	;; [unrolled: 1-line block ×5, first 2 shown]
	s_clause 0x1
	global_load_dword v61, v[9:10], off
	global_load_dword v62, v[9:10], off offset:16
	s_waitcnt vmcnt(12)
	v_subrev_nc_u32_e32 v7, s18, v7
	s_waitcnt vmcnt(11)
	v_subrev_nc_u32_e32 v20, s18, v19
	v_lshlrev_b32_e32 v19, 2, v7
	v_lshlrev_b32_e32 v53, 2, v20
	v_ashrrev_i32_e32 v20, 31, v19
	v_ashrrev_i32_e32 v54, 31, v53
	s_waitcnt vmcnt(1)
	v_subrev_nc_u32_e32 v7, s18, v61
	v_lshlrev_b64 v[19:20], 2, v[19:20]
	v_lshlrev_b64 v[53:54], 2, v[53:54]
	v_add_co_u32 v19, vcc_lo, s6, v19
	v_add_co_ci_u32_e64 v20, null, s7, v20, vcc_lo
	v_add_co_u32 v57, vcc_lo, s6, v53
	v_add_co_ci_u32_e64 v58, null, s7, v54, vcc_lo
	s_clause 0x1
	global_load_dwordx4 v[53:56], v[19:20], off
	global_load_dwordx4 v[57:60], v[57:58], off
	s_waitcnt vmcnt(2)
	v_subrev_nc_u32_e32 v20, s18, v62
	v_lshlrev_b32_e32 v19, 2, v7
	s_waitcnt vmcnt(1)
	v_fmac_f32_e32 v8, v29, v53
	v_fmac_f32_e32 v24, v30, v53
	;; [unrolled: 1-line block ×4, first 2 shown]
	v_lshlrev_b32_e32 v53, 2, v20
	v_fmac_f32_e32 v8, v25, v54
	v_fmac_f32_e32 v24, v26, v54
	v_ashrrev_i32_e32 v20, 31, v19
	v_fmac_f32_e32 v23, v27, v54
	v_fmac_f32_e32 v22, v28, v54
	;; [unrolled: 1-line block ×4, first 2 shown]
	global_load_dwordx4 v[25:28], v[5:6], off offset:528
	v_fmac_f32_e32 v23, v17, v55
	v_fmac_f32_e32 v22, v18, v55
	;; [unrolled: 1-line block ×4, first 2 shown]
	v_lshlrev_b64 v[11:12], 2, v[19:20]
	global_load_dwordx4 v[15:18], v[5:6], off offset:512
	v_fmac_f32_e32 v23, v13, v56
	v_fmac_f32_e32 v22, v14, v56
	v_ashrrev_i32_e32 v54, 31, v53
	global_load_dwordx4 v[29:32], v[5:6], off offset:544
	v_add_co_u32 v11, vcc_lo, s6, v11
	v_add_co_ci_u32_e64 v12, null, s7, v12, vcc_lo
	v_lshlrev_b64 v[19:20], 2, v[53:54]
	s_waitcnt vmcnt(3)
	v_fmac_f32_e32 v8, v45, v57
	v_fmac_f32_e32 v24, v46, v57
	global_load_dwordx4 v[11:14], v[11:12], off
	v_fmac_f32_e32 v23, v47, v57
	v_fmac_f32_e32 v22, v48, v57
	v_add_co_u32 v19, vcc_lo, s6, v19
	v_add_co_ci_u32_e64 v20, null, s7, v20, vcc_lo
	global_load_dwordx4 v[45:48], v[5:6], off offset:768
	v_fmac_f32_e32 v8, v41, v58
	v_fmac_f32_e32 v24, v42, v58
	v_fmac_f32_e32 v23, v43, v58
	v_fmac_f32_e32 v22, v44, v58
	global_load_dwordx4 v[41:44], v[19:20], off
	global_load_dwordx4 v[53:56], v[5:6], off offset:784
	v_fmac_f32_e32 v8, v37, v59
	v_fmac_f32_e32 v24, v38, v59
	;; [unrolled: 1-line block ×4, first 2 shown]
	global_load_dwordx4 v[37:40], v[5:6], off offset:800
	v_fmac_f32_e32 v8, v33, v60
	v_fmac_f32_e32 v24, v34, v60
	;; [unrolled: 1-line block ×4, first 2 shown]
	global_load_dwordx4 v[33:36], v[5:6], off offset:816
	v_add_co_u32 v5, vcc_lo, 0x400, v5
	v_add_co_ci_u32_e64 v6, null, 0, v6, vcc_lo
	v_add_co_u32 v0, vcc_lo, v0, 16
	v_add_co_ci_u32_e64 v1, null, 0, v1, vcc_lo
	;; [unrolled: 2-line block ×3, first 2 shown]
	v_cmp_ge_i64_e32 vcc_lo, v[0:1], v[2:3]
	s_or_b32 s3, vcc_lo, s3
	s_waitcnt vmcnt(5)
	v_fmac_f32_e32 v8, v15, v11
	v_fmac_f32_e32 v24, v16, v11
	;; [unrolled: 1-line block ×16, first 2 shown]
	s_waitcnt vmcnt(3)
	v_fmac_f32_e32 v8, v45, v41
	v_fmac_f32_e32 v24, v46, v41
	v_fmac_f32_e32 v23, v47, v41
	v_fmac_f32_e32 v22, v48, v41
	s_waitcnt vmcnt(2)
	v_fmac_f32_e32 v8, v53, v42
	v_fmac_f32_e32 v24, v54, v42
	v_fmac_f32_e32 v23, v55, v42
	v_fmac_f32_e32 v22, v56, v42
	;; [unrolled: 5-line block ×4, first 2 shown]
	s_andn2_b32 exec_lo, exec_lo, s3
	s_cbranch_execnz .LBB20_33
; %bb.34:
	s_or_b32 exec_lo, exec_lo, s3
.LBB20_35:
	s_or_b32 exec_lo, exec_lo, s0
.LBB20_36:
	s_or_b32 exec_lo, exec_lo, s1
.LBB20_37:
	v_mbcnt_lo_u32_b32 v0, -1, 0
	s_mov_b32 s3, -1
	v_xor_b32_e32 v1, 2, v0
	v_cmp_gt_i32_e32 vcc_lo, 32, v1
	v_cndmask_b32_e32 v1, v0, v1, vcc_lo
	v_lshlrev_b32_e32 v1, 2, v1
	ds_bpermute_b32 v2, v1, v8
	ds_bpermute_b32 v3, v1, v24
	;; [unrolled: 1-line block ×4, first 2 shown]
	v_xor_b32_e32 v1, 1, v0
	v_cmp_gt_i32_e32 vcc_lo, 32, v1
	v_cndmask_b32_e32 v0, v0, v1, vcc_lo
	v_cmp_eq_u32_e32 vcc_lo, 3, v21
	v_lshlrev_b32_e32 v9, 2, v0
	s_waitcnt lgkmcnt(3)
	v_add_f32_e32 v0, v8, v2
	s_waitcnt lgkmcnt(2)
	v_add_f32_e32 v1, v24, v3
	;; [unrolled: 2-line block ×4, first 2 shown]
	ds_bpermute_b32 v5, v9, v0
	ds_bpermute_b32 v6, v9, v1
	;; [unrolled: 1-line block ×4, first 2 shown]
	s_and_b32 exec_lo, exec_lo, vcc_lo
	s_cbranch_execz .LBB20_10
; %bb.38:
	s_load_dwordx2 s[0:1], s[4:5], 0x50
	s_waitcnt lgkmcnt(0)
	v_add_f32_e32 v0, v0, v5
	v_add_f32_e32 v1, v1, v6
	;; [unrolled: 1-line block ×4, first 2 shown]
	v_cmp_eq_f32_e64 s4, s2, 0
	v_mul_f32_e32 v0, s16, v0
	v_mul_f32_e32 v1, s16, v1
	;; [unrolled: 1-line block ×4, first 2 shown]
	v_lshlrev_b32_e32 v4, 2, v4
	s_and_b32 vcc_lo, exec_lo, s4
	s_cbranch_vccz .LBB20_40
; %bb.39:
	v_ashrrev_i32_e32 v5, 31, v4
	s_mov_b32 s3, 0
	v_lshlrev_b64 v[5:6], 2, v[4:5]
	v_add_co_u32 v5, vcc_lo, s0, v5
	v_add_co_ci_u32_e64 v6, null, s1, v6, vcc_lo
	global_store_dwordx4 v[5:6], v[0:3], off
.LBB20_40:
	s_andn2_b32 vcc_lo, exec_lo, s3
	s_cbranch_vccnz .LBB20_10
; %bb.41:
	v_ashrrev_i32_e32 v5, 31, v4
	v_lshlrev_b64 v[4:5], 2, v[4:5]
	v_add_co_u32 v8, vcc_lo, s0, v4
	v_add_co_ci_u32_e64 v9, null, s1, v5, vcc_lo
	global_load_dwordx4 v[4:7], v[8:9], off
	s_waitcnt vmcnt(0)
	v_fmac_f32_e32 v0, s2, v4
	v_fmac_f32_e32 v1, s2, v5
	;; [unrolled: 1-line block ×4, first 2 shown]
	global_store_dwordx4 v[8:9], v[0:3], off
	s_endpgm
	.section	.rodata,"a",@progbits
	.p2align	6, 0x0
	.amdhsa_kernel _ZN9rocsparseL18bsrxmvn_4x4_kernelILj128ELj4EflifffEEvT3_20rocsparse_direction_NS_24const_host_device_scalarIT1_EES1_PKS1_PKT2_SA_S7_PKT4_PKT5_S5_PT6_21rocsparse_index_base_b
		.amdhsa_group_segment_fixed_size 0
		.amdhsa_private_segment_fixed_size 0
		.amdhsa_kernarg_size 96
		.amdhsa_user_sgpr_count 6
		.amdhsa_user_sgpr_private_segment_buffer 1
		.amdhsa_user_sgpr_dispatch_ptr 0
		.amdhsa_user_sgpr_queue_ptr 0
		.amdhsa_user_sgpr_kernarg_segment_ptr 1
		.amdhsa_user_sgpr_dispatch_id 0
		.amdhsa_user_sgpr_flat_scratch_init 0
		.amdhsa_user_sgpr_private_segment_size 0
		.amdhsa_wavefront_size32 1
		.amdhsa_uses_dynamic_stack 0
		.amdhsa_system_sgpr_private_segment_wavefront_offset 0
		.amdhsa_system_sgpr_workgroup_id_x 1
		.amdhsa_system_sgpr_workgroup_id_y 0
		.amdhsa_system_sgpr_workgroup_id_z 0
		.amdhsa_system_sgpr_workgroup_info 0
		.amdhsa_system_vgpr_workitem_id 0
		.amdhsa_next_free_vgpr 67
		.amdhsa_next_free_sgpr 20
		.amdhsa_reserve_vcc 1
		.amdhsa_reserve_flat_scratch 0
		.amdhsa_float_round_mode_32 0
		.amdhsa_float_round_mode_16_64 0
		.amdhsa_float_denorm_mode_32 3
		.amdhsa_float_denorm_mode_16_64 3
		.amdhsa_dx10_clamp 1
		.amdhsa_ieee_mode 1
		.amdhsa_fp16_overflow 0
		.amdhsa_workgroup_processor_mode 1
		.amdhsa_memory_ordered 1
		.amdhsa_forward_progress 1
		.amdhsa_shared_vgpr_count 0
		.amdhsa_exception_fp_ieee_invalid_op 0
		.amdhsa_exception_fp_denorm_src 0
		.amdhsa_exception_fp_ieee_div_zero 0
		.amdhsa_exception_fp_ieee_overflow 0
		.amdhsa_exception_fp_ieee_underflow 0
		.amdhsa_exception_fp_ieee_inexact 0
		.amdhsa_exception_int_div_zero 0
	.end_amdhsa_kernel
	.section	.text._ZN9rocsparseL18bsrxmvn_4x4_kernelILj128ELj4EflifffEEvT3_20rocsparse_direction_NS_24const_host_device_scalarIT1_EES1_PKS1_PKT2_SA_S7_PKT4_PKT5_S5_PT6_21rocsparse_index_base_b,"axG",@progbits,_ZN9rocsparseL18bsrxmvn_4x4_kernelILj128ELj4EflifffEEvT3_20rocsparse_direction_NS_24const_host_device_scalarIT1_EES1_PKS1_PKT2_SA_S7_PKT4_PKT5_S5_PT6_21rocsparse_index_base_b,comdat
.Lfunc_end20:
	.size	_ZN9rocsparseL18bsrxmvn_4x4_kernelILj128ELj4EflifffEEvT3_20rocsparse_direction_NS_24const_host_device_scalarIT1_EES1_PKS1_PKT2_SA_S7_PKT4_PKT5_S5_PT6_21rocsparse_index_base_b, .Lfunc_end20-_ZN9rocsparseL18bsrxmvn_4x4_kernelILj128ELj4EflifffEEvT3_20rocsparse_direction_NS_24const_host_device_scalarIT1_EES1_PKS1_PKT2_SA_S7_PKT4_PKT5_S5_PT6_21rocsparse_index_base_b
                                        ; -- End function
	.set _ZN9rocsparseL18bsrxmvn_4x4_kernelILj128ELj4EflifffEEvT3_20rocsparse_direction_NS_24const_host_device_scalarIT1_EES1_PKS1_PKT2_SA_S7_PKT4_PKT5_S5_PT6_21rocsparse_index_base_b.num_vgpr, 67
	.set _ZN9rocsparseL18bsrxmvn_4x4_kernelILj128ELj4EflifffEEvT3_20rocsparse_direction_NS_24const_host_device_scalarIT1_EES1_PKS1_PKT2_SA_S7_PKT4_PKT5_S5_PT6_21rocsparse_index_base_b.num_agpr, 0
	.set _ZN9rocsparseL18bsrxmvn_4x4_kernelILj128ELj4EflifffEEvT3_20rocsparse_direction_NS_24const_host_device_scalarIT1_EES1_PKS1_PKT2_SA_S7_PKT4_PKT5_S5_PT6_21rocsparse_index_base_b.numbered_sgpr, 20
	.set _ZN9rocsparseL18bsrxmvn_4x4_kernelILj128ELj4EflifffEEvT3_20rocsparse_direction_NS_24const_host_device_scalarIT1_EES1_PKS1_PKT2_SA_S7_PKT4_PKT5_S5_PT6_21rocsparse_index_base_b.num_named_barrier, 0
	.set _ZN9rocsparseL18bsrxmvn_4x4_kernelILj128ELj4EflifffEEvT3_20rocsparse_direction_NS_24const_host_device_scalarIT1_EES1_PKS1_PKT2_SA_S7_PKT4_PKT5_S5_PT6_21rocsparse_index_base_b.private_seg_size, 0
	.set _ZN9rocsparseL18bsrxmvn_4x4_kernelILj128ELj4EflifffEEvT3_20rocsparse_direction_NS_24const_host_device_scalarIT1_EES1_PKS1_PKT2_SA_S7_PKT4_PKT5_S5_PT6_21rocsparse_index_base_b.uses_vcc, 1
	.set _ZN9rocsparseL18bsrxmvn_4x4_kernelILj128ELj4EflifffEEvT3_20rocsparse_direction_NS_24const_host_device_scalarIT1_EES1_PKS1_PKT2_SA_S7_PKT4_PKT5_S5_PT6_21rocsparse_index_base_b.uses_flat_scratch, 0
	.set _ZN9rocsparseL18bsrxmvn_4x4_kernelILj128ELj4EflifffEEvT3_20rocsparse_direction_NS_24const_host_device_scalarIT1_EES1_PKS1_PKT2_SA_S7_PKT4_PKT5_S5_PT6_21rocsparse_index_base_b.has_dyn_sized_stack, 0
	.set _ZN9rocsparseL18bsrxmvn_4x4_kernelILj128ELj4EflifffEEvT3_20rocsparse_direction_NS_24const_host_device_scalarIT1_EES1_PKS1_PKT2_SA_S7_PKT4_PKT5_S5_PT6_21rocsparse_index_base_b.has_recursion, 0
	.set _ZN9rocsparseL18bsrxmvn_4x4_kernelILj128ELj4EflifffEEvT3_20rocsparse_direction_NS_24const_host_device_scalarIT1_EES1_PKS1_PKT2_SA_S7_PKT4_PKT5_S5_PT6_21rocsparse_index_base_b.has_indirect_call, 0
	.section	.AMDGPU.csdata,"",@progbits
; Kernel info:
; codeLenInByte = 3432
; TotalNumSgprs: 22
; NumVgprs: 67
; ScratchSize: 0
; MemoryBound: 0
; FloatMode: 240
; IeeeMode: 1
; LDSByteSize: 0 bytes/workgroup (compile time only)
; SGPRBlocks: 0
; VGPRBlocks: 8
; NumSGPRsForWavesPerEU: 22
; NumVGPRsForWavesPerEU: 67
; Occupancy: 12
; WaveLimiterHint : 1
; COMPUTE_PGM_RSRC2:SCRATCH_EN: 0
; COMPUTE_PGM_RSRC2:USER_SGPR: 6
; COMPUTE_PGM_RSRC2:TRAP_HANDLER: 0
; COMPUTE_PGM_RSRC2:TGID_X_EN: 1
; COMPUTE_PGM_RSRC2:TGID_Y_EN: 0
; COMPUTE_PGM_RSRC2:TGID_Z_EN: 0
; COMPUTE_PGM_RSRC2:TIDIG_COMP_CNT: 0
	.section	.text._ZN9rocsparseL18bsrxmvn_4x4_kernelILj128ELj8EflifffEEvT3_20rocsparse_direction_NS_24const_host_device_scalarIT1_EES1_PKS1_PKT2_SA_S7_PKT4_PKT5_S5_PT6_21rocsparse_index_base_b,"axG",@progbits,_ZN9rocsparseL18bsrxmvn_4x4_kernelILj128ELj8EflifffEEvT3_20rocsparse_direction_NS_24const_host_device_scalarIT1_EES1_PKS1_PKT2_SA_S7_PKT4_PKT5_S5_PT6_21rocsparse_index_base_b,comdat
	.globl	_ZN9rocsparseL18bsrxmvn_4x4_kernelILj128ELj8EflifffEEvT3_20rocsparse_direction_NS_24const_host_device_scalarIT1_EES1_PKS1_PKT2_SA_S7_PKT4_PKT5_S5_PT6_21rocsparse_index_base_b ; -- Begin function _ZN9rocsparseL18bsrxmvn_4x4_kernelILj128ELj8EflifffEEvT3_20rocsparse_direction_NS_24const_host_device_scalarIT1_EES1_PKS1_PKT2_SA_S7_PKT4_PKT5_S5_PT6_21rocsparse_index_base_b
	.p2align	8
	.type	_ZN9rocsparseL18bsrxmvn_4x4_kernelILj128ELj8EflifffEEvT3_20rocsparse_direction_NS_24const_host_device_scalarIT1_EES1_PKS1_PKT2_SA_S7_PKT4_PKT5_S5_PT6_21rocsparse_index_base_b,@function
_ZN9rocsparseL18bsrxmvn_4x4_kernelILj128ELj8EflifffEEvT3_20rocsparse_direction_NS_24const_host_device_scalarIT1_EES1_PKS1_PKT2_SA_S7_PKT4_PKT5_S5_PT6_21rocsparse_index_base_b: ; @_ZN9rocsparseL18bsrxmvn_4x4_kernelILj128ELj8EflifffEEvT3_20rocsparse_direction_NS_24const_host_device_scalarIT1_EES1_PKS1_PKT2_SA_S7_PKT4_PKT5_S5_PT6_21rocsparse_index_base_b
; %bb.0:
	s_clause 0x2
	s_load_dwordx2 s[18:19], s[4:5], 0x58
	s_load_dwordx2 s[16:17], s[4:5], 0x8
	;; [unrolled: 1-line block ×3, first 2 shown]
	s_waitcnt lgkmcnt(0)
	s_bitcmp1_b32 s19, 0
	s_cselect_b32 s0, -1, 0
	s_and_b32 vcc_lo, exec_lo, s0
	s_xor_b32 s0, s0, -1
	s_cbranch_vccnz .LBB21_2
; %bb.1:
	s_load_dword s16, s[16:17], 0x0
.LBB21_2:
	s_andn2_b32 vcc_lo, exec_lo, s0
	s_cbranch_vccnz .LBB21_4
; %bb.3:
	s_load_dword s2, s[2:3], 0x0
.LBB21_4:
	s_waitcnt lgkmcnt(0)
	v_cmp_neq_f32_e64 s0, s16, 0
	v_cmp_neq_f32_e64 s1, s2, 1.0
	s_mov_b32 s3, 0
	s_or_b32 s0, s0, s1
	s_andn2_b32 vcc_lo, exec_lo, s0
	s_cbranch_vccnz .LBB21_10
; %bb.5:
	s_clause 0x1
	s_load_dwordx2 s[8:9], s[4:5], 0x18
	s_load_dwordx2 s[0:1], s[4:5], 0x0
	v_lshrrev_b32_e32 v1, 3, v0
	v_lshl_or_b32 v4, s6, 4, v1
	s_waitcnt lgkmcnt(0)
	s_cmp_lg_u64 s[8:9], 0
	s_cbranch_scc0 .LBB21_11
; %bb.6:
	s_load_dword s3, s[4:5], 0x10
	s_mov_b32 s6, 0
                                        ; implicit-def: $vgpr1
	s_waitcnt lgkmcnt(0)
	v_cmp_gt_i32_e32 vcc_lo, s3, v4
	s_mov_b32 s3, 0
	s_and_saveexec_b32 s7, vcc_lo
	s_xor_b32 s7, exec_lo, s7
	s_cbranch_execz .LBB21_8
; %bb.7:
	v_ashrrev_i32_e32 v5, 31, v4
	s_mov_b32 s3, exec_lo
	v_lshlrev_b64 v[1:2], 2, v[4:5]
	v_add_co_u32 v1, vcc_lo, s8, v1
	v_add_co_ci_u32_e64 v2, null, s9, v2, vcc_lo
	global_load_dword v1, v[1:2], off
	s_waitcnt vmcnt(0)
	v_subrev_nc_u32_e32 v1, s18, v1
.LBB21_8:
	s_or_b32 exec_lo, exec_lo, s7
	s_and_b32 vcc_lo, exec_lo, s6
	s_cbranch_vccz .LBB21_12
.LBB21_9:
	v_cmp_gt_i32_e32 vcc_lo, s0, v4
	s_andn2_b32 s0, s3, exec_lo
	s_and_b32 s3, vcc_lo, exec_lo
	s_or_b32 s3, s0, s3
	s_and_saveexec_b32 s0, s3
	s_cbranch_execnz .LBB21_13
.LBB21_10:
	s_endpgm
.LBB21_11:
                                        ; implicit-def: $vgpr1
	s_cbranch_execnz .LBB21_9
.LBB21_12:
	v_mov_b32_e32 v4, v1
	s_and_saveexec_b32 s0, s3
	s_cbranch_execz .LBB21_10
.LBB21_13:
	s_load_dwordx8 s[8:15], s[4:5], 0x20
	v_ashrrev_i32_e32 v5, 31, v4
	v_and_b32_e32 v21, 7, v0
	s_load_dwordx2 s[6:7], s[4:5], 0x40
	v_mov_b32_e32 v22, 0
	v_lshlrev_b64 v[1:2], 3, v[4:5]
	s_waitcnt lgkmcnt(0)
	v_add_co_u32 v5, vcc_lo, s8, v1
	v_add_co_ci_u32_e64 v6, null, s9, v2, vcc_lo
	v_add_co_u32 v1, vcc_lo, s10, v1
	v_add_co_ci_u32_e64 v2, null, s11, v2, vcc_lo
	v_add_co_u32 v3, vcc_lo, v5, 8
	global_load_dwordx2 v[9:10], v[5:6], off
	v_add_co_ci_u32_e64 v7, null, 0, v6, vcc_lo
	s_cmp_eq_u64 s[10:11], 0
	s_cselect_b32 vcc_lo, -1, 0
	s_cmp_eq_u32 s1, 1
	v_cndmask_b32_e32 v2, v2, v7, vcc_lo
	v_cndmask_b32_e32 v1, v1, v3, vcc_lo
	global_load_dwordx2 v[2:3], v[1:2], off
	s_waitcnt vmcnt(1)
	v_sub_co_u32 v0, vcc_lo, v9, s18
	v_subrev_co_ci_u32_e64 v1, null, 0, v10, vcc_lo
	v_add_co_u32 v0, vcc_lo, v0, v21
	v_add_co_ci_u32_e64 v1, null, 0, v1, vcc_lo
	v_lshlrev_b64 v[5:6], 6, v[0:1]
	s_waitcnt vmcnt(0)
	v_sub_co_u32 v2, vcc_lo, v2, s18
	v_subrev_co_ci_u32_e64 v3, null, 0, v3, vcc_lo
	v_add_co_u32 v5, vcc_lo, s14, v5
	v_cmp_lt_i64_e64 s0, v[0:1], v[2:3]
	v_add_co_ci_u32_e64 v6, null, s15, v6, vcc_lo
	s_cbranch_scc1 .LBB21_25
; %bb.14:
	v_mov_b32_e32 v23, 0
	v_mov_b32_e32 v24, 0
	;; [unrolled: 1-line block ×3, first 2 shown]
	s_and_saveexec_b32 s3, s0
	s_cbranch_execz .LBB21_24
; %bb.15:
	v_or_b32_e32 v7, 8, v21
	v_not_b32_e32 v12, v9
	v_not_b32_e32 v11, v10
	v_sub_co_u32 v7, s1, v7, s18
	v_sub_co_ci_u32_e64 v8, null, 0, 0, s1
	v_sub_co_u32 v13, s1, s18, v21
	v_add_co_u32 v7, vcc_lo, v7, v9
	v_add_co_ci_u32_e64 v8, null, v8, v10, vcc_lo
	v_sub_co_ci_u32_e64 v14, null, 0, 0, s1
	s_mov_b32 s1, exec_lo
	v_cmp_gt_i64_e32 vcc_lo, v[7:8], v[2:3]
	v_cndmask_b32_e32 v16, v3, v8, vcc_lo
	v_cndmask_b32_e32 v7, v2, v7, vcc_lo
	v_add_co_u32 v8, vcc_lo, v13, v12
	v_add_co_ci_u32_e64 v11, null, v14, v11, vcc_lo
	v_mov_b32_e32 v14, v6
	v_add_co_u32 v15, vcc_lo, v8, v7
	v_mov_b32_e32 v8, 0
	v_add_co_ci_u32_e64 v16, null, v11, v16, vcc_lo
	v_mov_b32_e32 v12, v1
	v_and_b32_e32 v7, 24, v15
	v_mov_b32_e32 v24, v8
	v_mov_b32_e32 v23, v8
	;; [unrolled: 1-line block ×5, first 2 shown]
	v_cmpx_ne_u64_e32 24, v[7:8]
	s_cbranch_execz .LBB21_19
; %bb.16:
	v_lshrrev_b32_e32 v7, 3, v15
	v_mov_b32_e32 v14, v6
	v_mov_b32_e32 v12, v1
	;; [unrolled: 1-line block ×4, first 2 shown]
	v_add_nc_u32_e32 v17, 1, v7
	v_lshlrev_b64 v[7:8], 2, v[0:1]
	v_mov_b32_e32 v11, v0
	v_mov_b32_e32 v23, 0
	;; [unrolled: 1-line block ×3, first 2 shown]
	v_and_b32_e32 v19, 3, v17
	v_add_co_u32 v17, vcc_lo, s12, v7
	v_add_co_ci_u32_e64 v18, null, s13, v8, vcc_lo
	v_sub_co_u32 v19, s8, 0, v19
	v_sub_co_ci_u32_e64 v20, null, 0, 0, s8
	v_mov_b32_e32 v8, 0
	s_mov_b32 s8, 0
.LBB21_17:                              ; =>This Inner Loop Header: Depth=1
	global_load_dword v7, v[17:18], off
	s_clause 0x3
	global_load_dwordx4 v[25:28], v[13:14], off offset:48
	global_load_dwordx4 v[29:32], v[13:14], off offset:32
	;; [unrolled: 1-line block ×3, first 2 shown]
	global_load_dwordx4 v[37:40], v[13:14], off
	s_waitcnt vmcnt(4)
	v_subrev_nc_u32_e32 v7, s18, v7
	v_lshlrev_b32_e32 v41, 2, v7
	v_ashrrev_i32_e32 v42, 31, v41
	v_lshlrev_b64 v[41:42], 2, v[41:42]
	v_add_co_u32 v41, vcc_lo, s6, v41
	v_add_co_ci_u32_e64 v42, null, s7, v42, vcc_lo
	v_add_co_u32 v13, vcc_lo, 0x200, v13
	v_add_co_ci_u32_e64 v14, null, 0, v14, vcc_lo
	global_load_dwordx4 v[41:44], v[41:42], off
	v_add_co_u32 v11, vcc_lo, v11, 8
	v_add_co_ci_u32_e64 v12, null, 0, v12, vcc_lo
	v_add_co_u32 v17, vcc_lo, v17, 32
	v_add_co_ci_u32_e64 v18, null, 0, v18, vcc_lo
	;; [unrolled: 2-line block ×3, first 2 shown]
	v_cmp_eq_u64_e32 vcc_lo, 0, v[19:20]
	s_or_b32 s8, vcc_lo, s8
	s_waitcnt vmcnt(0)
	v_fmac_f32_e32 v8, v37, v41
	v_fmac_f32_e32 v24, v33, v41
	;; [unrolled: 1-line block ×16, first 2 shown]
	s_andn2_b32 exec_lo, exec_lo, s8
	s_cbranch_execnz .LBB21_17
; %bb.18:
	s_or_b32 exec_lo, exec_lo, s8
.LBB21_19:
	s_or_b32 exec_lo, exec_lo, s1
	s_mov_b32 s8, exec_lo
	v_cmpx_lt_u64_e32 23, v[15:16]
	s_cbranch_execz .LBB21_23
; %bb.20:
	v_lshlrev_b64 v[15:16], 2, v[11:12]
	s_mov_b32 s9, 0
	v_add_co_u32 v7, vcc_lo, s12, v15
	v_add_co_ci_u32_e64 v16, null, s13, v16, vcc_lo
	v_add_co_u32 v15, vcc_lo, v7, 64
	v_add_co_ci_u32_e64 v16, null, 0, v16, vcc_lo
.LBB21_21:                              ; =>This Inner Loop Header: Depth=1
	s_clause 0x1
	global_load_dword v7, v[15:16], off offset:-64
	global_load_dword v57, v[15:16], off offset:-32
	s_clause 0x8
	global_load_dwordx4 v[17:20], v[13:14], off offset:48
	global_load_dwordx4 v[25:28], v[13:14], off offset:32
	;; [unrolled: 1-line block ×3, first 2 shown]
	global_load_dwordx4 v[33:36], v[13:14], off
	global_load_dwordx4 v[37:40], v[13:14], off offset:560
	global_load_dwordx4 v[41:44], v[13:14], off offset:544
	;; [unrolled: 1-line block ×5, first 2 shown]
	s_clause 0x1
	global_load_dword v65, v[15:16], off
	global_load_dword v66, v[15:16], off offset:32
	s_waitcnt vmcnt(12)
	v_subrev_nc_u32_e32 v7, s18, v7
	s_waitcnt vmcnt(11)
	v_subrev_nc_u32_e32 v58, s18, v57
	v_lshlrev_b32_e32 v57, 2, v7
	v_lshlrev_b32_e32 v59, 2, v58
	v_ashrrev_i32_e32 v58, 31, v57
	v_ashrrev_i32_e32 v60, 31, v59
	s_waitcnt vmcnt(1)
	v_subrev_nc_u32_e32 v7, s18, v65
	s_waitcnt vmcnt(0)
	v_subrev_nc_u32_e32 v66, s18, v66
	v_lshlrev_b64 v[57:58], 2, v[57:58]
	v_lshlrev_b64 v[59:60], 2, v[59:60]
	v_lshlrev_b32_e32 v65, 2, v7
	v_add_co_u32 v57, vcc_lo, s6, v57
	v_add_co_ci_u32_e64 v58, null, s7, v58, vcc_lo
	v_add_co_u32 v61, vcc_lo, s6, v59
	v_add_co_ci_u32_e64 v62, null, s7, v60, vcc_lo
	s_clause 0x1
	global_load_dwordx4 v[57:60], v[57:58], off
	global_load_dwordx4 v[61:64], v[61:62], off
	s_waitcnt vmcnt(1)
	v_fmac_f32_e32 v23, v25, v57
	v_fmac_f32_e32 v8, v33, v57
	;; [unrolled: 1-line block ×14, first 2 shown]
	global_load_dwordx4 v[33:36], v[13:14], off offset:1056
	v_fmac_f32_e32 v24, v32, v60
	s_clause 0x1
	global_load_dwordx4 v[29:32], v[13:14], off offset:1040
	global_load_dwordx4 v[25:28], v[13:14], off offset:1024
	s_waitcnt vmcnt(3)
	v_fmac_f32_e32 v23, v41, v61
	v_lshlrev_b32_e32 v41, 2, v66
	v_ashrrev_i32_e32 v66, 31, v65
	v_fmac_f32_e32 v22, v20, v60
	s_clause 0x1
	global_load_dwordx4 v[17:20], v[13:14], off offset:1584
	global_load_dwordx4 v[57:60], v[13:14], off offset:1568
	v_fmac_f32_e32 v23, v42, v62
	v_ashrrev_i32_e32 v42, 31, v41
	v_fmac_f32_e32 v8, v49, v61
	v_fmac_f32_e32 v24, v45, v61
	;; [unrolled: 1-line block ×4, first 2 shown]
	v_lshlrev_b64 v[41:42], 2, v[41:42]
	v_fmac_f32_e32 v8, v50, v62
	v_fmac_f32_e32 v24, v46, v62
	;; [unrolled: 1-line block ×4, first 2 shown]
	v_lshlrev_b64 v[43:44], 2, v[65:66]
	v_fmac_f32_e32 v8, v51, v63
	v_fmac_f32_e32 v24, v47, v63
	;; [unrolled: 1-line block ×3, first 2 shown]
	v_add_co_u32 v43, vcc_lo, s6, v43
	v_add_co_ci_u32_e64 v44, null, s7, v44, vcc_lo
	v_add_co_u32 v65, vcc_lo, s6, v41
	v_add_co_ci_u32_e64 v66, null, s7, v42, vcc_lo
	global_load_dwordx4 v[41:44], v[43:44], off
	v_fmac_f32_e32 v8, v52, v64
	global_load_dwordx4 v[49:52], v[13:14], off offset:1552
	v_fmac_f32_e32 v24, v48, v64
	global_load_dwordx4 v[45:48], v[13:14], off offset:1536
	v_fmac_f32_e32 v22, v40, v64
	global_load_dwordx4 v[37:40], v[65:66], off
	v_add_co_u32 v13, s1, 0x800, v13
	v_add_co_ci_u32_e64 v14, null, 0, v14, s1
	v_add_co_u32 v11, s1, v11, 32
	v_add_co_ci_u32_e64 v12, null, 0, v12, s1
	v_add_co_u32 v15, vcc_lo, 0x80, v15
	v_add_co_ci_u32_e64 v16, null, 0, v16, vcc_lo
	v_cmp_ge_i64_e32 vcc_lo, v[11:12], v[2:3]
	s_or_b32 s9, vcc_lo, s9
	s_waitcnt vmcnt(3)
	v_fmac_f32_e32 v8, v25, v41
	v_fmac_f32_e32 v24, v29, v41
	;; [unrolled: 1-line block ×16, first 2 shown]
	s_waitcnt vmcnt(0)
	v_fmac_f32_e32 v8, v45, v37
	v_fmac_f32_e32 v24, v49, v37
	v_fmac_f32_e32 v23, v57, v37
	v_fmac_f32_e32 v22, v17, v37
	v_fmac_f32_e32 v8, v46, v38
	v_fmac_f32_e32 v24, v50, v38
	v_fmac_f32_e32 v23, v58, v38
	v_fmac_f32_e32 v22, v18, v38
	v_fmac_f32_e32 v8, v47, v39
	v_fmac_f32_e32 v24, v51, v39
	v_fmac_f32_e32 v23, v59, v39
	v_fmac_f32_e32 v22, v19, v39
	v_fmac_f32_e32 v8, v48, v40
	v_fmac_f32_e32 v24, v52, v40
	v_fmac_f32_e32 v23, v60, v40
	v_fmac_f32_e32 v22, v20, v40
	s_andn2_b32 exec_lo, exec_lo, s9
	s_cbranch_execnz .LBB21_21
; %bb.22:
	s_or_b32 exec_lo, exec_lo, s9
.LBB21_23:
	s_or_b32 exec_lo, exec_lo, s8
.LBB21_24:
	s_or_b32 exec_lo, exec_lo, s3
	s_cbranch_execz .LBB21_26
	s_branch .LBB21_37
.LBB21_25:
                                        ; implicit-def: $vgpr22
                                        ; implicit-def: $vgpr23
                                        ; implicit-def: $vgpr24
                                        ; implicit-def: $vgpr8
.LBB21_26:
	v_mov_b32_e32 v22, 0
	v_mov_b32_e32 v23, 0
	;; [unrolled: 1-line block ×4, first 2 shown]
	s_and_saveexec_b32 s1, s0
	s_cbranch_execz .LBB21_36
; %bb.27:
	v_or_b32_e32 v7, 8, v21
	v_sub_co_u32 v7, s0, v7, s18
	v_sub_co_ci_u32_e64 v8, null, 0, 0, s0
	v_sub_co_u32 v11, s0, s18, v21
	v_add_co_u32 v7, vcc_lo, v7, v9
	v_add_co_ci_u32_e64 v8, null, v8, v10, vcc_lo
	v_not_b32_e32 v9, v9
	v_not_b32_e32 v10, v10
	v_sub_co_ci_u32_e64 v12, null, 0, 0, s0
	v_cmp_gt_i64_e32 vcc_lo, v[7:8], v[2:3]
	s_mov_b32 s0, exec_lo
	v_cndmask_b32_e32 v13, v3, v8, vcc_lo
	v_cndmask_b32_e32 v7, v2, v7, vcc_lo
	v_add_co_u32 v8, vcc_lo, v11, v9
	v_add_co_ci_u32_e64 v10, null, v12, v10, vcc_lo
	v_add_co_u32 v9, vcc_lo, v8, v7
	v_mov_b32_e32 v8, 0
	v_add_co_ci_u32_e64 v10, null, v10, v13, vcc_lo
	v_and_b32_e32 v7, 24, v9
	v_mov_b32_e32 v24, v8
	v_mov_b32_e32 v23, v8
	;; [unrolled: 1-line block ×3, first 2 shown]
	v_cmpx_ne_u64_e32 24, v[7:8]
	s_cbranch_execz .LBB21_31
; %bb.28:
	v_lshrrev_b32_e32 v7, 3, v9
	v_mov_b32_e32 v22, 0
	v_mov_b32_e32 v23, 0
	;; [unrolled: 1-line block ×3, first 2 shown]
	v_add_nc_u32_e32 v11, 1, v7
	v_lshlrev_b64 v[7:8], 2, v[0:1]
	v_and_b32_e32 v13, 3, v11
	v_add_co_u32 v11, vcc_lo, s12, v7
	v_add_co_ci_u32_e64 v12, null, s13, v8, vcc_lo
	v_sub_co_u32 v13, s3, 0, v13
	v_sub_co_ci_u32_e64 v14, null, 0, 0, s3
	v_mov_b32_e32 v8, 0
	s_mov_b32 s3, 0
.LBB21_29:                              ; =>This Inner Loop Header: Depth=1
	global_load_dword v7, v[11:12], off
	s_clause 0x1
	global_load_dwordx4 v[15:18], v[5:6], off offset:16
	global_load_dwordx4 v[25:28], v[5:6], off
	s_waitcnt vmcnt(2)
	v_subrev_nc_u32_e32 v7, s18, v7
	v_lshlrev_b32_e32 v19, 2, v7
	v_ashrrev_i32_e32 v20, 31, v19
	v_lshlrev_b64 v[19:20], 2, v[19:20]
	v_add_co_u32 v19, vcc_lo, s6, v19
	v_add_co_ci_u32_e64 v20, null, s7, v20, vcc_lo
	global_load_dwordx4 v[29:32], v[19:20], off
	s_clause 0x1
	global_load_dwordx4 v[33:36], v[5:6], off offset:32
	global_load_dwordx4 v[37:40], v[5:6], off offset:48
	v_add_co_u32 v5, vcc_lo, 0x200, v5
	v_add_co_ci_u32_e64 v6, null, 0, v6, vcc_lo
	v_add_co_u32 v0, vcc_lo, v0, 8
	v_add_co_ci_u32_e64 v1, null, 0, v1, vcc_lo
	;; [unrolled: 2-line block ×4, first 2 shown]
	v_cmp_eq_u64_e32 vcc_lo, 0, v[13:14]
	s_or_b32 s3, vcc_lo, s3
	s_waitcnt vmcnt(2)
	v_fmac_f32_e32 v8, v25, v29
	v_fmac_f32_e32 v24, v26, v29
	;; [unrolled: 1-line block ×8, first 2 shown]
	s_waitcnt vmcnt(1)
	v_fmac_f32_e32 v8, v33, v31
	v_fmac_f32_e32 v24, v34, v31
	;; [unrolled: 1-line block ×4, first 2 shown]
	s_waitcnt vmcnt(0)
	v_fmac_f32_e32 v8, v37, v32
	v_fmac_f32_e32 v24, v38, v32
	v_fmac_f32_e32 v23, v39, v32
	v_fmac_f32_e32 v22, v40, v32
	s_andn2_b32 exec_lo, exec_lo, s3
	s_cbranch_execnz .LBB21_29
; %bb.30:
	s_or_b32 exec_lo, exec_lo, s3
.LBB21_31:
	s_or_b32 exec_lo, exec_lo, s0
	s_mov_b32 s0, exec_lo
	v_cmpx_lt_u64_e32 23, v[9:10]
	s_cbranch_execz .LBB21_35
; %bb.32:
	v_lshlrev_b64 v[9:10], 2, v[0:1]
	s_mov_b32 s3, 0
	v_add_co_u32 v7, vcc_lo, s12, v9
	v_add_co_ci_u32_e64 v10, null, s13, v10, vcc_lo
	v_add_co_u32 v9, vcc_lo, v7, 64
	v_add_co_ci_u32_e64 v10, null, 0, v10, vcc_lo
.LBB21_33:                              ; =>This Inner Loop Header: Depth=1
	s_clause 0x1
	global_load_dword v7, v[9:10], off offset:-64
	global_load_dword v19, v[9:10], off offset:-32
	s_clause 0x8
	global_load_dwordx4 v[11:14], v[5:6], off offset:48
	global_load_dwordx4 v[15:18], v[5:6], off offset:32
	;; [unrolled: 1-line block ×3, first 2 shown]
	global_load_dwordx4 v[29:32], v[5:6], off
	global_load_dwordx4 v[33:36], v[5:6], off offset:560
	global_load_dwordx4 v[37:40], v[5:6], off offset:544
	;; [unrolled: 1-line block ×5, first 2 shown]
	s_clause 0x1
	global_load_dword v61, v[9:10], off
	global_load_dword v62, v[9:10], off offset:32
	s_waitcnt vmcnt(12)
	v_subrev_nc_u32_e32 v7, s18, v7
	s_waitcnt vmcnt(11)
	v_subrev_nc_u32_e32 v20, s18, v19
	v_lshlrev_b32_e32 v19, 2, v7
	v_lshlrev_b32_e32 v53, 2, v20
	v_ashrrev_i32_e32 v20, 31, v19
	v_ashrrev_i32_e32 v54, 31, v53
	s_waitcnt vmcnt(1)
	v_subrev_nc_u32_e32 v7, s18, v61
	v_lshlrev_b64 v[19:20], 2, v[19:20]
	v_lshlrev_b64 v[53:54], 2, v[53:54]
	v_add_co_u32 v19, vcc_lo, s6, v19
	v_add_co_ci_u32_e64 v20, null, s7, v20, vcc_lo
	v_add_co_u32 v57, vcc_lo, s6, v53
	v_add_co_ci_u32_e64 v58, null, s7, v54, vcc_lo
	s_clause 0x1
	global_load_dwordx4 v[53:56], v[19:20], off
	global_load_dwordx4 v[57:60], v[57:58], off
	s_waitcnt vmcnt(2)
	v_subrev_nc_u32_e32 v20, s18, v62
	v_lshlrev_b32_e32 v19, 2, v7
	s_waitcnt vmcnt(1)
	v_fmac_f32_e32 v8, v29, v53
	v_fmac_f32_e32 v24, v30, v53
	;; [unrolled: 1-line block ×4, first 2 shown]
	v_lshlrev_b32_e32 v53, 2, v20
	v_fmac_f32_e32 v8, v25, v54
	v_fmac_f32_e32 v24, v26, v54
	v_ashrrev_i32_e32 v20, 31, v19
	v_fmac_f32_e32 v23, v27, v54
	v_fmac_f32_e32 v22, v28, v54
	;; [unrolled: 1-line block ×4, first 2 shown]
	global_load_dwordx4 v[25:28], v[5:6], off offset:1040
	v_fmac_f32_e32 v23, v17, v55
	v_fmac_f32_e32 v22, v18, v55
	;; [unrolled: 1-line block ×4, first 2 shown]
	v_lshlrev_b64 v[11:12], 2, v[19:20]
	global_load_dwordx4 v[15:18], v[5:6], off offset:1024
	v_fmac_f32_e32 v23, v13, v56
	v_fmac_f32_e32 v22, v14, v56
	v_ashrrev_i32_e32 v54, 31, v53
	global_load_dwordx4 v[29:32], v[5:6], off offset:1056
	v_add_co_u32 v11, vcc_lo, s6, v11
	v_add_co_ci_u32_e64 v12, null, s7, v12, vcc_lo
	v_lshlrev_b64 v[19:20], 2, v[53:54]
	s_waitcnt vmcnt(3)
	v_fmac_f32_e32 v8, v45, v57
	v_fmac_f32_e32 v24, v46, v57
	global_load_dwordx4 v[11:14], v[11:12], off
	v_fmac_f32_e32 v23, v47, v57
	v_fmac_f32_e32 v22, v48, v57
	v_add_co_u32 v19, vcc_lo, s6, v19
	v_add_co_ci_u32_e64 v20, null, s7, v20, vcc_lo
	global_load_dwordx4 v[45:48], v[5:6], off offset:1536
	v_fmac_f32_e32 v8, v41, v58
	v_fmac_f32_e32 v24, v42, v58
	;; [unrolled: 1-line block ×4, first 2 shown]
	global_load_dwordx4 v[41:44], v[19:20], off
	global_load_dwordx4 v[53:56], v[5:6], off offset:1552
	v_fmac_f32_e32 v8, v37, v59
	v_fmac_f32_e32 v24, v38, v59
	;; [unrolled: 1-line block ×4, first 2 shown]
	global_load_dwordx4 v[37:40], v[5:6], off offset:1568
	v_fmac_f32_e32 v8, v33, v60
	v_fmac_f32_e32 v24, v34, v60
	;; [unrolled: 1-line block ×4, first 2 shown]
	global_load_dwordx4 v[33:36], v[5:6], off offset:1584
	v_add_co_u32 v5, vcc_lo, 0x800, v5
	v_add_co_ci_u32_e64 v6, null, 0, v6, vcc_lo
	v_add_co_u32 v0, vcc_lo, v0, 32
	v_add_co_ci_u32_e64 v1, null, 0, v1, vcc_lo
	;; [unrolled: 2-line block ×3, first 2 shown]
	v_cmp_ge_i64_e32 vcc_lo, v[0:1], v[2:3]
	s_or_b32 s3, vcc_lo, s3
	s_waitcnt vmcnt(5)
	v_fmac_f32_e32 v8, v15, v11
	v_fmac_f32_e32 v24, v16, v11
	;; [unrolled: 1-line block ×16, first 2 shown]
	s_waitcnt vmcnt(3)
	v_fmac_f32_e32 v8, v45, v41
	v_fmac_f32_e32 v24, v46, v41
	v_fmac_f32_e32 v23, v47, v41
	v_fmac_f32_e32 v22, v48, v41
	s_waitcnt vmcnt(2)
	v_fmac_f32_e32 v8, v53, v42
	v_fmac_f32_e32 v24, v54, v42
	v_fmac_f32_e32 v23, v55, v42
	v_fmac_f32_e32 v22, v56, v42
	s_waitcnt vmcnt(1)
	v_fmac_f32_e32 v8, v37, v43
	v_fmac_f32_e32 v24, v38, v43
	v_fmac_f32_e32 v23, v39, v43
	v_fmac_f32_e32 v22, v40, v43
	s_waitcnt vmcnt(0)
	v_fmac_f32_e32 v8, v33, v44
	v_fmac_f32_e32 v24, v34, v44
	v_fmac_f32_e32 v23, v35, v44
	v_fmac_f32_e32 v22, v36, v44
	s_andn2_b32 exec_lo, exec_lo, s3
	s_cbranch_execnz .LBB21_33
; %bb.34:
	s_or_b32 exec_lo, exec_lo, s3
.LBB21_35:
	s_or_b32 exec_lo, exec_lo, s0
.LBB21_36:
	s_or_b32 exec_lo, exec_lo, s1
.LBB21_37:
	v_mbcnt_lo_u32_b32 v0, -1, 0
	s_mov_b32 s3, -1
	v_xor_b32_e32 v1, 4, v0
	v_xor_b32_e32 v6, 2, v0
	;; [unrolled: 1-line block ×3, first 2 shown]
	v_cmp_gt_i32_e32 vcc_lo, 32, v1
	v_cndmask_b32_e32 v1, v0, v1, vcc_lo
	v_cmp_gt_i32_e32 vcc_lo, 32, v6
	v_lshlrev_b32_e32 v1, 2, v1
	v_cndmask_b32_e32 v6, v0, v6, vcc_lo
	v_cmp_gt_i32_e32 vcc_lo, 32, v10
	ds_bpermute_b32 v2, v1, v8
	ds_bpermute_b32 v3, v1, v24
	ds_bpermute_b32 v5, v1, v23
	ds_bpermute_b32 v1, v1, v22
	v_lshlrev_b32_e32 v6, 2, v6
	v_cndmask_b32_e32 v0, v0, v10, vcc_lo
	v_cmp_eq_u32_e32 vcc_lo, 7, v21
	v_lshlrev_b32_e32 v10, 2, v0
	s_waitcnt lgkmcnt(3)
	v_add_f32_e32 v2, v8, v2
	s_waitcnt lgkmcnt(2)
	v_add_f32_e32 v3, v24, v3
	;; [unrolled: 2-line block ×4, first 2 shown]
	ds_bpermute_b32 v1, v6, v2
	ds_bpermute_b32 v8, v6, v3
	;; [unrolled: 1-line block ×4, first 2 shown]
	s_waitcnt lgkmcnt(3)
	v_add_f32_e32 v0, v2, v1
	s_waitcnt lgkmcnt(2)
	v_add_f32_e32 v1, v3, v8
	;; [unrolled: 2-line block ×4, first 2 shown]
	ds_bpermute_b32 v5, v10, v0
	ds_bpermute_b32 v6, v10, v1
	;; [unrolled: 1-line block ×4, first 2 shown]
	s_and_b32 exec_lo, exec_lo, vcc_lo
	s_cbranch_execz .LBB21_10
; %bb.38:
	s_load_dwordx2 s[0:1], s[4:5], 0x50
	s_waitcnt lgkmcnt(0)
	v_add_f32_e32 v0, v0, v5
	v_add_f32_e32 v1, v1, v6
	;; [unrolled: 1-line block ×4, first 2 shown]
	v_cmp_eq_f32_e64 s4, s2, 0
	v_mul_f32_e32 v0, s16, v0
	v_mul_f32_e32 v1, s16, v1
	;; [unrolled: 1-line block ×4, first 2 shown]
	v_lshlrev_b32_e32 v4, 2, v4
	s_and_b32 vcc_lo, exec_lo, s4
	s_cbranch_vccz .LBB21_40
; %bb.39:
	v_ashrrev_i32_e32 v5, 31, v4
	s_mov_b32 s3, 0
	v_lshlrev_b64 v[5:6], 2, v[4:5]
	v_add_co_u32 v5, vcc_lo, s0, v5
	v_add_co_ci_u32_e64 v6, null, s1, v6, vcc_lo
	global_store_dwordx4 v[5:6], v[0:3], off
.LBB21_40:
	s_andn2_b32 vcc_lo, exec_lo, s3
	s_cbranch_vccnz .LBB21_10
; %bb.41:
	v_ashrrev_i32_e32 v5, 31, v4
	v_lshlrev_b64 v[4:5], 2, v[4:5]
	v_add_co_u32 v8, vcc_lo, s0, v4
	v_add_co_ci_u32_e64 v9, null, s1, v5, vcc_lo
	global_load_dwordx4 v[4:7], v[8:9], off
	s_waitcnt vmcnt(0)
	v_fmac_f32_e32 v0, s2, v4
	v_fmac_f32_e32 v1, s2, v5
	;; [unrolled: 1-line block ×4, first 2 shown]
	global_store_dwordx4 v[8:9], v[0:3], off
	s_endpgm
	.section	.rodata,"a",@progbits
	.p2align	6, 0x0
	.amdhsa_kernel _ZN9rocsparseL18bsrxmvn_4x4_kernelILj128ELj8EflifffEEvT3_20rocsparse_direction_NS_24const_host_device_scalarIT1_EES1_PKS1_PKT2_SA_S7_PKT4_PKT5_S5_PT6_21rocsparse_index_base_b
		.amdhsa_group_segment_fixed_size 0
		.amdhsa_private_segment_fixed_size 0
		.amdhsa_kernarg_size 96
		.amdhsa_user_sgpr_count 6
		.amdhsa_user_sgpr_private_segment_buffer 1
		.amdhsa_user_sgpr_dispatch_ptr 0
		.amdhsa_user_sgpr_queue_ptr 0
		.amdhsa_user_sgpr_kernarg_segment_ptr 1
		.amdhsa_user_sgpr_dispatch_id 0
		.amdhsa_user_sgpr_flat_scratch_init 0
		.amdhsa_user_sgpr_private_segment_size 0
		.amdhsa_wavefront_size32 1
		.amdhsa_uses_dynamic_stack 0
		.amdhsa_system_sgpr_private_segment_wavefront_offset 0
		.amdhsa_system_sgpr_workgroup_id_x 1
		.amdhsa_system_sgpr_workgroup_id_y 0
		.amdhsa_system_sgpr_workgroup_id_z 0
		.amdhsa_system_sgpr_workgroup_info 0
		.amdhsa_system_vgpr_workitem_id 0
		.amdhsa_next_free_vgpr 67
		.amdhsa_next_free_sgpr 20
		.amdhsa_reserve_vcc 1
		.amdhsa_reserve_flat_scratch 0
		.amdhsa_float_round_mode_32 0
		.amdhsa_float_round_mode_16_64 0
		.amdhsa_float_denorm_mode_32 3
		.amdhsa_float_denorm_mode_16_64 3
		.amdhsa_dx10_clamp 1
		.amdhsa_ieee_mode 1
		.amdhsa_fp16_overflow 0
		.amdhsa_workgroup_processor_mode 1
		.amdhsa_memory_ordered 1
		.amdhsa_forward_progress 1
		.amdhsa_shared_vgpr_count 0
		.amdhsa_exception_fp_ieee_invalid_op 0
		.amdhsa_exception_fp_denorm_src 0
		.amdhsa_exception_fp_ieee_div_zero 0
		.amdhsa_exception_fp_ieee_overflow 0
		.amdhsa_exception_fp_ieee_underflow 0
		.amdhsa_exception_fp_ieee_inexact 0
		.amdhsa_exception_int_div_zero 0
	.end_amdhsa_kernel
	.section	.text._ZN9rocsparseL18bsrxmvn_4x4_kernelILj128ELj8EflifffEEvT3_20rocsparse_direction_NS_24const_host_device_scalarIT1_EES1_PKS1_PKT2_SA_S7_PKT4_PKT5_S5_PT6_21rocsparse_index_base_b,"axG",@progbits,_ZN9rocsparseL18bsrxmvn_4x4_kernelILj128ELj8EflifffEEvT3_20rocsparse_direction_NS_24const_host_device_scalarIT1_EES1_PKS1_PKT2_SA_S7_PKT4_PKT5_S5_PT6_21rocsparse_index_base_b,comdat
.Lfunc_end21:
	.size	_ZN9rocsparseL18bsrxmvn_4x4_kernelILj128ELj8EflifffEEvT3_20rocsparse_direction_NS_24const_host_device_scalarIT1_EES1_PKS1_PKT2_SA_S7_PKT4_PKT5_S5_PT6_21rocsparse_index_base_b, .Lfunc_end21-_ZN9rocsparseL18bsrxmvn_4x4_kernelILj128ELj8EflifffEEvT3_20rocsparse_direction_NS_24const_host_device_scalarIT1_EES1_PKS1_PKT2_SA_S7_PKT4_PKT5_S5_PT6_21rocsparse_index_base_b
                                        ; -- End function
	.set _ZN9rocsparseL18bsrxmvn_4x4_kernelILj128ELj8EflifffEEvT3_20rocsparse_direction_NS_24const_host_device_scalarIT1_EES1_PKS1_PKT2_SA_S7_PKT4_PKT5_S5_PT6_21rocsparse_index_base_b.num_vgpr, 67
	.set _ZN9rocsparseL18bsrxmvn_4x4_kernelILj128ELj8EflifffEEvT3_20rocsparse_direction_NS_24const_host_device_scalarIT1_EES1_PKS1_PKT2_SA_S7_PKT4_PKT5_S5_PT6_21rocsparse_index_base_b.num_agpr, 0
	.set _ZN9rocsparseL18bsrxmvn_4x4_kernelILj128ELj8EflifffEEvT3_20rocsparse_direction_NS_24const_host_device_scalarIT1_EES1_PKS1_PKT2_SA_S7_PKT4_PKT5_S5_PT6_21rocsparse_index_base_b.numbered_sgpr, 20
	.set _ZN9rocsparseL18bsrxmvn_4x4_kernelILj128ELj8EflifffEEvT3_20rocsparse_direction_NS_24const_host_device_scalarIT1_EES1_PKS1_PKT2_SA_S7_PKT4_PKT5_S5_PT6_21rocsparse_index_base_b.num_named_barrier, 0
	.set _ZN9rocsparseL18bsrxmvn_4x4_kernelILj128ELj8EflifffEEvT3_20rocsparse_direction_NS_24const_host_device_scalarIT1_EES1_PKS1_PKT2_SA_S7_PKT4_PKT5_S5_PT6_21rocsparse_index_base_b.private_seg_size, 0
	.set _ZN9rocsparseL18bsrxmvn_4x4_kernelILj128ELj8EflifffEEvT3_20rocsparse_direction_NS_24const_host_device_scalarIT1_EES1_PKS1_PKT2_SA_S7_PKT4_PKT5_S5_PT6_21rocsparse_index_base_b.uses_vcc, 1
	.set _ZN9rocsparseL18bsrxmvn_4x4_kernelILj128ELj8EflifffEEvT3_20rocsparse_direction_NS_24const_host_device_scalarIT1_EES1_PKS1_PKT2_SA_S7_PKT4_PKT5_S5_PT6_21rocsparse_index_base_b.uses_flat_scratch, 0
	.set _ZN9rocsparseL18bsrxmvn_4x4_kernelILj128ELj8EflifffEEvT3_20rocsparse_direction_NS_24const_host_device_scalarIT1_EES1_PKS1_PKT2_SA_S7_PKT4_PKT5_S5_PT6_21rocsparse_index_base_b.has_dyn_sized_stack, 0
	.set _ZN9rocsparseL18bsrxmvn_4x4_kernelILj128ELj8EflifffEEvT3_20rocsparse_direction_NS_24const_host_device_scalarIT1_EES1_PKS1_PKT2_SA_S7_PKT4_PKT5_S5_PT6_21rocsparse_index_base_b.has_recursion, 0
	.set _ZN9rocsparseL18bsrxmvn_4x4_kernelILj128ELj8EflifffEEvT3_20rocsparse_direction_NS_24const_host_device_scalarIT1_EES1_PKS1_PKT2_SA_S7_PKT4_PKT5_S5_PT6_21rocsparse_index_base_b.has_indirect_call, 0
	.section	.AMDGPU.csdata,"",@progbits
; Kernel info:
; codeLenInByte = 3520
; TotalNumSgprs: 22
; NumVgprs: 67
; ScratchSize: 0
; MemoryBound: 0
; FloatMode: 240
; IeeeMode: 1
; LDSByteSize: 0 bytes/workgroup (compile time only)
; SGPRBlocks: 0
; VGPRBlocks: 8
; NumSGPRsForWavesPerEU: 22
; NumVGPRsForWavesPerEU: 67
; Occupancy: 12
; WaveLimiterHint : 1
; COMPUTE_PGM_RSRC2:SCRATCH_EN: 0
; COMPUTE_PGM_RSRC2:USER_SGPR: 6
; COMPUTE_PGM_RSRC2:TRAP_HANDLER: 0
; COMPUTE_PGM_RSRC2:TGID_X_EN: 1
; COMPUTE_PGM_RSRC2:TGID_Y_EN: 0
; COMPUTE_PGM_RSRC2:TGID_Z_EN: 0
; COMPUTE_PGM_RSRC2:TIDIG_COMP_CNT: 0
	.section	.text._ZN9rocsparseL18bsrxmvn_4x4_kernelILj128ELj16EflifffEEvT3_20rocsparse_direction_NS_24const_host_device_scalarIT1_EES1_PKS1_PKT2_SA_S7_PKT4_PKT5_S5_PT6_21rocsparse_index_base_b,"axG",@progbits,_ZN9rocsparseL18bsrxmvn_4x4_kernelILj128ELj16EflifffEEvT3_20rocsparse_direction_NS_24const_host_device_scalarIT1_EES1_PKS1_PKT2_SA_S7_PKT4_PKT5_S5_PT6_21rocsparse_index_base_b,comdat
	.globl	_ZN9rocsparseL18bsrxmvn_4x4_kernelILj128ELj16EflifffEEvT3_20rocsparse_direction_NS_24const_host_device_scalarIT1_EES1_PKS1_PKT2_SA_S7_PKT4_PKT5_S5_PT6_21rocsparse_index_base_b ; -- Begin function _ZN9rocsparseL18bsrxmvn_4x4_kernelILj128ELj16EflifffEEvT3_20rocsparse_direction_NS_24const_host_device_scalarIT1_EES1_PKS1_PKT2_SA_S7_PKT4_PKT5_S5_PT6_21rocsparse_index_base_b
	.p2align	8
	.type	_ZN9rocsparseL18bsrxmvn_4x4_kernelILj128ELj16EflifffEEvT3_20rocsparse_direction_NS_24const_host_device_scalarIT1_EES1_PKS1_PKT2_SA_S7_PKT4_PKT5_S5_PT6_21rocsparse_index_base_b,@function
_ZN9rocsparseL18bsrxmvn_4x4_kernelILj128ELj16EflifffEEvT3_20rocsparse_direction_NS_24const_host_device_scalarIT1_EES1_PKS1_PKT2_SA_S7_PKT4_PKT5_S5_PT6_21rocsparse_index_base_b: ; @_ZN9rocsparseL18bsrxmvn_4x4_kernelILj128ELj16EflifffEEvT3_20rocsparse_direction_NS_24const_host_device_scalarIT1_EES1_PKS1_PKT2_SA_S7_PKT4_PKT5_S5_PT6_21rocsparse_index_base_b
; %bb.0:
	s_clause 0x2
	s_load_dwordx2 s[18:19], s[4:5], 0x58
	s_load_dwordx2 s[16:17], s[4:5], 0x8
	s_load_dwordx2 s[2:3], s[4:5], 0x48
	s_waitcnt lgkmcnt(0)
	s_bitcmp1_b32 s19, 0
	s_cselect_b32 s0, -1, 0
	s_and_b32 vcc_lo, exec_lo, s0
	s_xor_b32 s0, s0, -1
	s_cbranch_vccnz .LBB22_2
; %bb.1:
	s_load_dword s16, s[16:17], 0x0
.LBB22_2:
	s_andn2_b32 vcc_lo, exec_lo, s0
	s_cbranch_vccnz .LBB22_4
; %bb.3:
	s_load_dword s2, s[2:3], 0x0
.LBB22_4:
	s_waitcnt lgkmcnt(0)
	v_cmp_neq_f32_e64 s0, s16, 0
	v_cmp_neq_f32_e64 s1, s2, 1.0
	s_mov_b32 s3, 0
	s_or_b32 s0, s0, s1
	s_andn2_b32 vcc_lo, exec_lo, s0
	s_cbranch_vccnz .LBB22_10
; %bb.5:
	s_clause 0x1
	s_load_dwordx2 s[8:9], s[4:5], 0x18
	s_load_dwordx2 s[0:1], s[4:5], 0x0
	v_lshrrev_b32_e32 v1, 4, v0
	v_lshl_or_b32 v4, s6, 3, v1
	s_waitcnt lgkmcnt(0)
	s_cmp_lg_u64 s[8:9], 0
	s_cbranch_scc0 .LBB22_11
; %bb.6:
	s_load_dword s3, s[4:5], 0x10
	s_mov_b32 s6, 0
                                        ; implicit-def: $vgpr1
	s_waitcnt lgkmcnt(0)
	v_cmp_gt_i32_e32 vcc_lo, s3, v4
	s_mov_b32 s3, 0
	s_and_saveexec_b32 s7, vcc_lo
	s_xor_b32 s7, exec_lo, s7
	s_cbranch_execz .LBB22_8
; %bb.7:
	v_ashrrev_i32_e32 v5, 31, v4
	s_mov_b32 s3, exec_lo
	v_lshlrev_b64 v[1:2], 2, v[4:5]
	v_add_co_u32 v1, vcc_lo, s8, v1
	v_add_co_ci_u32_e64 v2, null, s9, v2, vcc_lo
	global_load_dword v1, v[1:2], off
	s_waitcnt vmcnt(0)
	v_subrev_nc_u32_e32 v1, s18, v1
.LBB22_8:
	s_or_b32 exec_lo, exec_lo, s7
	s_and_b32 vcc_lo, exec_lo, s6
	s_cbranch_vccz .LBB22_12
.LBB22_9:
	v_cmp_gt_i32_e32 vcc_lo, s0, v4
	s_andn2_b32 s0, s3, exec_lo
	s_and_b32 s3, vcc_lo, exec_lo
	s_or_b32 s3, s0, s3
	s_and_saveexec_b32 s0, s3
	s_cbranch_execnz .LBB22_13
.LBB22_10:
	s_endpgm
.LBB22_11:
                                        ; implicit-def: $vgpr1
	s_cbranch_execnz .LBB22_9
.LBB22_12:
	v_mov_b32_e32 v4, v1
	s_and_saveexec_b32 s0, s3
	s_cbranch_execz .LBB22_10
.LBB22_13:
	s_load_dwordx8 s[8:15], s[4:5], 0x20
	v_ashrrev_i32_e32 v5, 31, v4
	v_and_b32_e32 v21, 15, v0
	s_load_dwordx2 s[6:7], s[4:5], 0x40
	v_mov_b32_e32 v22, 0
	v_lshlrev_b64 v[1:2], 3, v[4:5]
	s_waitcnt lgkmcnt(0)
	v_add_co_u32 v5, vcc_lo, s8, v1
	v_add_co_ci_u32_e64 v6, null, s9, v2, vcc_lo
	v_add_co_u32 v1, vcc_lo, s10, v1
	v_add_co_ci_u32_e64 v2, null, s11, v2, vcc_lo
	v_add_co_u32 v3, vcc_lo, v5, 8
	global_load_dwordx2 v[9:10], v[5:6], off
	v_add_co_ci_u32_e64 v7, null, 0, v6, vcc_lo
	s_cmp_eq_u64 s[10:11], 0
	s_cselect_b32 vcc_lo, -1, 0
	s_cmp_eq_u32 s1, 1
	v_cndmask_b32_e32 v2, v2, v7, vcc_lo
	v_cndmask_b32_e32 v1, v1, v3, vcc_lo
	global_load_dwordx2 v[2:3], v[1:2], off
	s_waitcnt vmcnt(1)
	v_sub_co_u32 v0, vcc_lo, v9, s18
	v_subrev_co_ci_u32_e64 v1, null, 0, v10, vcc_lo
	v_add_co_u32 v0, vcc_lo, v0, v21
	v_add_co_ci_u32_e64 v1, null, 0, v1, vcc_lo
	v_lshlrev_b64 v[5:6], 6, v[0:1]
	s_waitcnt vmcnt(0)
	v_sub_co_u32 v2, vcc_lo, v2, s18
	v_subrev_co_ci_u32_e64 v3, null, 0, v3, vcc_lo
	v_add_co_u32 v5, vcc_lo, s14, v5
	v_cmp_lt_i64_e64 s0, v[0:1], v[2:3]
	v_add_co_ci_u32_e64 v6, null, s15, v6, vcc_lo
	s_cbranch_scc1 .LBB22_25
; %bb.14:
	v_mov_b32_e32 v23, 0
	v_mov_b32_e32 v24, 0
	;; [unrolled: 1-line block ×3, first 2 shown]
	s_and_saveexec_b32 s3, s0
	s_cbranch_execz .LBB22_24
; %bb.15:
	v_or_b32_e32 v7, 16, v21
	v_not_b32_e32 v12, v9
	v_not_b32_e32 v11, v10
	v_sub_co_u32 v7, s1, v7, s18
	v_sub_co_ci_u32_e64 v8, null, 0, 0, s1
	v_sub_co_u32 v13, s1, s18, v21
	v_add_co_u32 v7, vcc_lo, v7, v9
	v_add_co_ci_u32_e64 v8, null, v8, v10, vcc_lo
	v_sub_co_ci_u32_e64 v14, null, 0, 0, s1
	s_mov_b32 s1, exec_lo
	v_cmp_gt_i64_e32 vcc_lo, v[7:8], v[2:3]
	v_cndmask_b32_e32 v16, v3, v8, vcc_lo
	v_cndmask_b32_e32 v7, v2, v7, vcc_lo
	v_add_co_u32 v8, vcc_lo, v13, v12
	v_add_co_ci_u32_e64 v11, null, v14, v11, vcc_lo
	v_mov_b32_e32 v14, v6
	v_add_co_u32 v15, vcc_lo, v8, v7
	v_mov_b32_e32 v8, 0
	v_add_co_ci_u32_e64 v16, null, v11, v16, vcc_lo
	v_mov_b32_e32 v12, v1
	v_and_b32_e32 v7, 48, v15
	v_mov_b32_e32 v24, v8
	v_mov_b32_e32 v23, v8
	;; [unrolled: 1-line block ×5, first 2 shown]
	v_cmpx_ne_u64_e32 48, v[7:8]
	s_cbranch_execz .LBB22_19
; %bb.16:
	v_lshrrev_b32_e32 v7, 4, v15
	v_mov_b32_e32 v14, v6
	v_mov_b32_e32 v12, v1
	;; [unrolled: 1-line block ×4, first 2 shown]
	v_add_nc_u32_e32 v17, 1, v7
	v_lshlrev_b64 v[7:8], 2, v[0:1]
	v_mov_b32_e32 v11, v0
	v_mov_b32_e32 v23, 0
	;; [unrolled: 1-line block ×3, first 2 shown]
	v_and_b32_e32 v19, 3, v17
	v_add_co_u32 v17, vcc_lo, s12, v7
	v_add_co_ci_u32_e64 v18, null, s13, v8, vcc_lo
	v_sub_co_u32 v19, s8, 0, v19
	v_sub_co_ci_u32_e64 v20, null, 0, 0, s8
	v_mov_b32_e32 v8, 0
	s_mov_b32 s8, 0
.LBB22_17:                              ; =>This Inner Loop Header: Depth=1
	global_load_dword v7, v[17:18], off
	s_clause 0x3
	global_load_dwordx4 v[25:28], v[13:14], off offset:48
	global_load_dwordx4 v[29:32], v[13:14], off offset:32
	global_load_dwordx4 v[33:36], v[13:14], off offset:16
	global_load_dwordx4 v[37:40], v[13:14], off
	s_waitcnt vmcnt(4)
	v_subrev_nc_u32_e32 v7, s18, v7
	v_lshlrev_b32_e32 v41, 2, v7
	v_ashrrev_i32_e32 v42, 31, v41
	v_lshlrev_b64 v[41:42], 2, v[41:42]
	v_add_co_u32 v41, vcc_lo, s6, v41
	v_add_co_ci_u32_e64 v42, null, s7, v42, vcc_lo
	v_add_co_u32 v13, vcc_lo, 0x400, v13
	v_add_co_ci_u32_e64 v14, null, 0, v14, vcc_lo
	global_load_dwordx4 v[41:44], v[41:42], off
	v_add_co_u32 v11, vcc_lo, v11, 16
	v_add_co_ci_u32_e64 v12, null, 0, v12, vcc_lo
	v_add_co_u32 v17, vcc_lo, v17, 64
	v_add_co_ci_u32_e64 v18, null, 0, v18, vcc_lo
	;; [unrolled: 2-line block ×3, first 2 shown]
	v_cmp_eq_u64_e32 vcc_lo, 0, v[19:20]
	s_or_b32 s8, vcc_lo, s8
	s_waitcnt vmcnt(0)
	v_fmac_f32_e32 v8, v37, v41
	v_fmac_f32_e32 v24, v33, v41
	;; [unrolled: 1-line block ×16, first 2 shown]
	s_andn2_b32 exec_lo, exec_lo, s8
	s_cbranch_execnz .LBB22_17
; %bb.18:
	s_or_b32 exec_lo, exec_lo, s8
.LBB22_19:
	s_or_b32 exec_lo, exec_lo, s1
	s_mov_b32 s8, exec_lo
	v_cmpx_lt_u64_e32 47, v[15:16]
	s_cbranch_execz .LBB22_23
; %bb.20:
	v_lshlrev_b64 v[15:16], 2, v[11:12]
	s_mov_b32 s9, 0
	v_add_co_u32 v7, vcc_lo, s12, v15
	v_add_co_ci_u32_e64 v16, null, s13, v16, vcc_lo
	v_add_co_u32 v15, vcc_lo, 0x80, v7
	v_add_co_ci_u32_e64 v16, null, 0, v16, vcc_lo
.LBB22_21:                              ; =>This Inner Loop Header: Depth=1
	s_clause 0x1
	global_load_dword v7, v[15:16], off offset:-128
	global_load_dword v53, v[15:16], off offset:-64
	s_clause 0x7
	global_load_dwordx4 v[17:20], v[13:14], off offset:48
	global_load_dwordx4 v[25:28], v[13:14], off offset:32
	;; [unrolled: 1-line block ×3, first 2 shown]
	global_load_dwordx4 v[33:36], v[13:14], off
	global_load_dwordx4 v[37:40], v[13:14], off offset:1072
	global_load_dwordx4 v[41:44], v[13:14], off offset:1056
	;; [unrolled: 1-line block ×4, first 2 shown]
	s_clause 0x1
	global_load_dword v65, v[15:16], off
	global_load_dword v66, v[15:16], off offset:64
	v_add_co_u32 v61, vcc_lo, 0x800, v13
	v_add_co_ci_u32_e64 v62, null, 0, v14, vcc_lo
	v_add_co_u32 v11, s1, v11, 64
	v_add_co_ci_u32_e64 v12, null, 0, v12, s1
	v_add_co_u32 v15, s1, 0x100, v15
	v_add_co_ci_u32_e64 v16, null, 0, v16, s1
	s_waitcnt vmcnt(11)
	v_subrev_nc_u32_e32 v7, s18, v7
	s_waitcnt vmcnt(10)
	v_subrev_nc_u32_e32 v54, s18, v53
	v_lshlrev_b32_e32 v53, 2, v7
	v_lshlrev_b32_e32 v55, 2, v54
	v_ashrrev_i32_e32 v54, 31, v53
	v_ashrrev_i32_e32 v56, 31, v55
	s_waitcnt vmcnt(1)
	v_subrev_nc_u32_e32 v7, s18, v65
	s_waitcnt vmcnt(0)
	v_subrev_nc_u32_e32 v66, s18, v66
	v_lshlrev_b64 v[53:54], 2, v[53:54]
	v_lshlrev_b64 v[55:56], 2, v[55:56]
	v_lshlrev_b32_e32 v65, 2, v7
	v_add_co_u32 v53, vcc_lo, s6, v53
	v_add_co_ci_u32_e64 v54, null, s7, v54, vcc_lo
	v_add_co_u32 v57, vcc_lo, s6, v55
	v_add_co_ci_u32_e64 v58, null, s7, v56, vcc_lo
	s_clause 0x1
	global_load_dwordx4 v[53:56], v[53:54], off
	global_load_dwordx4 v[57:60], v[57:58], off
	s_waitcnt vmcnt(1)
	v_fmac_f32_e32 v23, v25, v53
	v_fmac_f32_e32 v8, v33, v53
	;; [unrolled: 1-line block ×15, first 2 shown]
	s_clause 0x1
	global_load_dwordx4 v[33:36], v[61:62], off
	global_load_dwordx4 v[25:28], v[61:62], off offset:32
	s_waitcnt vmcnt(2)
	v_fmac_f32_e32 v23, v41, v57
	v_lshlrev_b32_e32 v41, 2, v66
	v_ashrrev_i32_e32 v66, 31, v65
	v_fmac_f32_e32 v8, v49, v57
	v_fmac_f32_e32 v24, v45, v57
	;; [unrolled: 1-line block ×3, first 2 shown]
	v_ashrrev_i32_e32 v42, 31, v41
	global_load_dwordx4 v[29:32], v[61:62], off offset:48
	v_fmac_f32_e32 v8, v50, v58
	v_fmac_f32_e32 v24, v46, v58
	;; [unrolled: 1-line block ×3, first 2 shown]
	v_lshlrev_b64 v[41:42], 2, v[41:42]
	v_fmac_f32_e32 v22, v20, v56
	v_fmac_f32_e32 v8, v51, v59
	;; [unrolled: 1-line block ×4, first 2 shown]
	v_lshlrev_b64 v[43:44], 2, v[65:66]
	s_clause 0x1
	global_load_dwordx4 v[17:20], v[61:62], off offset:16
	global_load_dwordx4 v[53:56], v[61:62], off offset:1072
	v_fmac_f32_e32 v8, v52, v60
	global_load_dwordx4 v[49:52], v[61:62], off offset:1056
	v_fmac_f32_e32 v24, v48, v60
	s_clause 0x1
	global_load_dwordx4 v[45:48], v[61:62], off offset:1040
	global_load_dwordx4 v[61:64], v[61:62], off offset:1024
	v_add_co_u32 v43, vcc_lo, s6, v43
	v_add_co_ci_u32_e64 v44, null, s7, v44, vcc_lo
	v_add_co_u32 v65, vcc_lo, s6, v41
	v_add_co_ci_u32_e64 v66, null, s7, v42, vcc_lo
	global_load_dwordx4 v[41:44], v[43:44], off
	v_fmac_f32_e32 v22, v37, v57
	v_add_co_u32 v13, vcc_lo, 0x1000, v13
	v_add_co_ci_u32_e64 v14, null, 0, v14, vcc_lo
	v_fmac_f32_e32 v22, v38, v58
	v_cmp_ge_i64_e32 vcc_lo, v[11:12], v[2:3]
	v_fmac_f32_e32 v22, v39, v59
	s_or_b32 s9, vcc_lo, s9
	v_fmac_f32_e32 v22, v40, v60
	global_load_dwordx4 v[37:40], v[65:66], off
	s_waitcnt vmcnt(1)
	v_fmac_f32_e32 v8, v33, v41
	v_fmac_f32_e32 v24, v17, v41
	;; [unrolled: 1-line block ×16, first 2 shown]
	s_waitcnt vmcnt(0)
	v_fmac_f32_e32 v8, v61, v37
	v_fmac_f32_e32 v24, v45, v37
	;; [unrolled: 1-line block ×16, first 2 shown]
	s_andn2_b32 exec_lo, exec_lo, s9
	s_cbranch_execnz .LBB22_21
; %bb.22:
	s_or_b32 exec_lo, exec_lo, s9
.LBB22_23:
	s_or_b32 exec_lo, exec_lo, s8
.LBB22_24:
	s_or_b32 exec_lo, exec_lo, s3
	s_cbranch_execz .LBB22_26
	s_branch .LBB22_37
.LBB22_25:
                                        ; implicit-def: $vgpr22
                                        ; implicit-def: $vgpr23
                                        ; implicit-def: $vgpr24
                                        ; implicit-def: $vgpr8
.LBB22_26:
	v_mov_b32_e32 v22, 0
	v_mov_b32_e32 v23, 0
	;; [unrolled: 1-line block ×4, first 2 shown]
	s_and_saveexec_b32 s1, s0
	s_cbranch_execz .LBB22_36
; %bb.27:
	v_or_b32_e32 v7, 16, v21
	v_sub_co_u32 v7, s0, v7, s18
	v_sub_co_ci_u32_e64 v8, null, 0, 0, s0
	v_sub_co_u32 v11, s0, s18, v21
	v_add_co_u32 v7, vcc_lo, v7, v9
	v_add_co_ci_u32_e64 v8, null, v8, v10, vcc_lo
	v_not_b32_e32 v9, v9
	v_not_b32_e32 v10, v10
	v_sub_co_ci_u32_e64 v12, null, 0, 0, s0
	v_cmp_gt_i64_e32 vcc_lo, v[7:8], v[2:3]
	s_mov_b32 s0, exec_lo
	v_cndmask_b32_e32 v13, v3, v8, vcc_lo
	v_cndmask_b32_e32 v7, v2, v7, vcc_lo
	v_add_co_u32 v8, vcc_lo, v11, v9
	v_add_co_ci_u32_e64 v10, null, v12, v10, vcc_lo
	v_add_co_u32 v9, vcc_lo, v8, v7
	v_mov_b32_e32 v8, 0
	v_add_co_ci_u32_e64 v10, null, v10, v13, vcc_lo
	v_and_b32_e32 v7, 48, v9
	v_mov_b32_e32 v24, v8
	v_mov_b32_e32 v23, v8
	;; [unrolled: 1-line block ×3, first 2 shown]
	v_cmpx_ne_u64_e32 48, v[7:8]
	s_cbranch_execz .LBB22_31
; %bb.28:
	v_lshrrev_b32_e32 v7, 4, v9
	v_mov_b32_e32 v22, 0
	v_mov_b32_e32 v23, 0
	;; [unrolled: 1-line block ×3, first 2 shown]
	v_add_nc_u32_e32 v11, 1, v7
	v_lshlrev_b64 v[7:8], 2, v[0:1]
	v_and_b32_e32 v13, 3, v11
	v_add_co_u32 v11, vcc_lo, s12, v7
	v_add_co_ci_u32_e64 v12, null, s13, v8, vcc_lo
	v_sub_co_u32 v13, s3, 0, v13
	v_sub_co_ci_u32_e64 v14, null, 0, 0, s3
	v_mov_b32_e32 v8, 0
	s_mov_b32 s3, 0
.LBB22_29:                              ; =>This Inner Loop Header: Depth=1
	global_load_dword v7, v[11:12], off
	s_clause 0x1
	global_load_dwordx4 v[15:18], v[5:6], off offset:16
	global_load_dwordx4 v[25:28], v[5:6], off
	s_waitcnt vmcnt(2)
	v_subrev_nc_u32_e32 v7, s18, v7
	v_lshlrev_b32_e32 v19, 2, v7
	v_ashrrev_i32_e32 v20, 31, v19
	v_lshlrev_b64 v[19:20], 2, v[19:20]
	v_add_co_u32 v19, vcc_lo, s6, v19
	v_add_co_ci_u32_e64 v20, null, s7, v20, vcc_lo
	global_load_dwordx4 v[29:32], v[19:20], off
	s_clause 0x1
	global_load_dwordx4 v[33:36], v[5:6], off offset:32
	global_load_dwordx4 v[37:40], v[5:6], off offset:48
	v_add_co_u32 v5, vcc_lo, 0x400, v5
	v_add_co_ci_u32_e64 v6, null, 0, v6, vcc_lo
	v_add_co_u32 v0, vcc_lo, v0, 16
	v_add_co_ci_u32_e64 v1, null, 0, v1, vcc_lo
	;; [unrolled: 2-line block ×4, first 2 shown]
	v_cmp_eq_u64_e32 vcc_lo, 0, v[13:14]
	s_or_b32 s3, vcc_lo, s3
	s_waitcnt vmcnt(2)
	v_fmac_f32_e32 v8, v25, v29
	v_fmac_f32_e32 v24, v26, v29
	;; [unrolled: 1-line block ×8, first 2 shown]
	s_waitcnt vmcnt(1)
	v_fmac_f32_e32 v8, v33, v31
	v_fmac_f32_e32 v24, v34, v31
	;; [unrolled: 1-line block ×4, first 2 shown]
	s_waitcnt vmcnt(0)
	v_fmac_f32_e32 v8, v37, v32
	v_fmac_f32_e32 v24, v38, v32
	;; [unrolled: 1-line block ×4, first 2 shown]
	s_andn2_b32 exec_lo, exec_lo, s3
	s_cbranch_execnz .LBB22_29
; %bb.30:
	s_or_b32 exec_lo, exec_lo, s3
.LBB22_31:
	s_or_b32 exec_lo, exec_lo, s0
	s_mov_b32 s0, exec_lo
	v_cmpx_lt_u64_e32 47, v[9:10]
	s_cbranch_execz .LBB22_35
; %bb.32:
	v_lshlrev_b64 v[9:10], 2, v[0:1]
	s_mov_b32 s3, 0
	v_add_co_u32 v7, vcc_lo, s12, v9
	v_add_co_ci_u32_e64 v10, null, s13, v10, vcc_lo
	v_add_co_u32 v9, vcc_lo, 0x80, v7
	v_add_co_ci_u32_e64 v10, null, 0, v10, vcc_lo
.LBB22_33:                              ; =>This Inner Loop Header: Depth=1
	s_clause 0x1
	global_load_dword v7, v[9:10], off offset:-128
	global_load_dword v49, v[9:10], off offset:-64
	s_clause 0x7
	global_load_dwordx4 v[11:14], v[5:6], off offset:48
	global_load_dwordx4 v[15:18], v[5:6], off offset:32
	;; [unrolled: 1-line block ×3, first 2 shown]
	global_load_dwordx4 v[29:32], v[5:6], off
	global_load_dwordx4 v[33:36], v[5:6], off offset:1072
	global_load_dwordx4 v[37:40], v[5:6], off offset:1056
	;; [unrolled: 1-line block ×4, first 2 shown]
	v_add_co_u32 v19, vcc_lo, 0x800, v5
	v_add_co_ci_u32_e64 v20, null, 0, v6, vcc_lo
	s_clause 0x1
	global_load_dword v57, v[9:10], off
	global_load_dword v58, v[9:10], off offset:64
	s_waitcnt vmcnt(11)
	v_subrev_nc_u32_e32 v7, s18, v7
	s_waitcnt vmcnt(10)
	v_subrev_nc_u32_e32 v50, s18, v49
	v_lshlrev_b32_e32 v49, 2, v7
	v_lshlrev_b32_e32 v51, 2, v50
	v_ashrrev_i32_e32 v50, 31, v49
	v_ashrrev_i32_e32 v52, 31, v51
	s_waitcnt vmcnt(1)
	v_subrev_nc_u32_e32 v7, s18, v57
	v_lshlrev_b64 v[49:50], 2, v[49:50]
	v_lshlrev_b64 v[51:52], 2, v[51:52]
	v_lshlrev_b32_e32 v57, 2, v7
	v_add_co_u32 v49, vcc_lo, s6, v49
	v_add_co_ci_u32_e64 v50, null, s7, v50, vcc_lo
	v_add_co_u32 v53, vcc_lo, s6, v51
	v_add_co_ci_u32_e64 v54, null, s7, v52, vcc_lo
	s_clause 0x1
	global_load_dwordx4 v[49:52], v[49:50], off
	global_load_dwordx4 v[53:56], v[53:54], off
	s_waitcnt vmcnt(1)
	v_fmac_f32_e32 v8, v29, v49
	v_fmac_f32_e32 v24, v30, v49
	;; [unrolled: 1-line block ×4, first 2 shown]
	global_load_dwordx4 v[29:32], v[19:20], off
	v_fmac_f32_e32 v8, v25, v50
	v_fmac_f32_e32 v24, v26, v50
	;; [unrolled: 1-line block ×4, first 2 shown]
	global_load_dwordx4 v[25:28], v[19:20], off offset:48
	v_fmac_f32_e32 v8, v15, v51
	v_fmac_f32_e32 v24, v16, v51
	;; [unrolled: 1-line block ×4, first 2 shown]
	global_load_dwordx4 v[15:18], v[19:20], off offset:32
	v_fmac_f32_e32 v8, v11, v52
	v_fmac_f32_e32 v24, v12, v52
	;; [unrolled: 1-line block ×4, first 2 shown]
	s_clause 0x1
	global_load_dwordx4 v[11:14], v[19:20], off offset:16
	global_load_dwordx4 v[49:52], v[19:20], off offset:1040
	s_waitcnt vmcnt(5)
	v_fmac_f32_e32 v8, v45, v53
	v_fmac_f32_e32 v24, v46, v53
	v_fmac_f32_e32 v23, v47, v53
	v_fmac_f32_e32 v22, v48, v53
	v_subrev_nc_u32_e32 v53, s18, v58
	v_ashrrev_i32_e32 v58, 31, v57
	v_fmac_f32_e32 v8, v41, v54
	v_fmac_f32_e32 v24, v42, v54
	;; [unrolled: 1-line block ×3, first 2 shown]
	v_lshlrev_b32_e32 v53, 2, v53
	v_lshlrev_b64 v[57:58], 2, v[57:58]
	v_fmac_f32_e32 v22, v44, v54
	global_load_dwordx4 v[45:48], v[19:20], off offset:1024
	v_fmac_f32_e32 v8, v37, v55
	v_ashrrev_i32_e32 v54, 31, v53
	v_fmac_f32_e32 v24, v38, v55
	v_add_co_u32 v57, vcc_lo, s6, v57
	v_add_co_ci_u32_e64 v58, null, s7, v58, vcc_lo
	v_lshlrev_b64 v[53:54], 2, v[53:54]
	v_fmac_f32_e32 v23, v39, v55
	v_fmac_f32_e32 v22, v40, v55
	global_load_dwordx4 v[41:44], v[57:58], off
	global_load_dwordx4 v[37:40], v[19:20], off offset:1056
	v_fmac_f32_e32 v8, v33, v56
	v_add_co_u32 v53, vcc_lo, s6, v53
	v_add_co_ci_u32_e64 v54, null, s7, v54, vcc_lo
	v_fmac_f32_e32 v24, v34, v56
	v_fmac_f32_e32 v23, v35, v56
	;; [unrolled: 1-line block ×3, first 2 shown]
	global_load_dwordx4 v[57:60], v[53:54], off
	global_load_dwordx4 v[33:36], v[19:20], off offset:1072
	v_add_co_u32 v0, vcc_lo, v0, 64
	v_add_co_ci_u32_e64 v1, null, 0, v1, vcc_lo
	v_add_co_u32 v9, vcc_lo, 0x100, v9
	v_add_co_ci_u32_e64 v10, null, 0, v10, vcc_lo
	;; [unrolled: 2-line block ×3, first 2 shown]
	v_cmp_ge_i64_e32 vcc_lo, v[0:1], v[2:3]
	s_or_b32 s3, vcc_lo, s3
	s_waitcnt vmcnt(3)
	v_fmac_f32_e32 v8, v29, v41
	v_fmac_f32_e32 v24, v30, v41
	;; [unrolled: 1-line block ×16, first 2 shown]
	s_waitcnt vmcnt(1)
	v_fmac_f32_e32 v8, v45, v57
	v_fmac_f32_e32 v24, v46, v57
	;; [unrolled: 1-line block ×12, first 2 shown]
	s_waitcnt vmcnt(0)
	v_fmac_f32_e32 v8, v33, v60
	v_fmac_f32_e32 v24, v34, v60
	;; [unrolled: 1-line block ×4, first 2 shown]
	s_andn2_b32 exec_lo, exec_lo, s3
	s_cbranch_execnz .LBB22_33
; %bb.34:
	s_or_b32 exec_lo, exec_lo, s3
.LBB22_35:
	s_or_b32 exec_lo, exec_lo, s0
.LBB22_36:
	s_or_b32 exec_lo, exec_lo, s1
.LBB22_37:
	v_mbcnt_lo_u32_b32 v0, -1, 0
	s_mov_b32 s3, -1
	v_xor_b32_e32 v1, 8, v0
	v_xor_b32_e32 v6, 4, v0
	;; [unrolled: 1-line block ×3, first 2 shown]
	v_cmp_gt_i32_e32 vcc_lo, 32, v1
	v_cndmask_b32_e32 v1, v0, v1, vcc_lo
	v_cmp_gt_i32_e32 vcc_lo, 32, v6
	v_lshlrev_b32_e32 v1, 2, v1
	v_cndmask_b32_e32 v6, v0, v6, vcc_lo
	v_cmp_gt_i32_e32 vcc_lo, 32, v10
	ds_bpermute_b32 v2, v1, v8
	ds_bpermute_b32 v3, v1, v24
	ds_bpermute_b32 v5, v1, v23
	ds_bpermute_b32 v1, v1, v22
	v_lshlrev_b32_e32 v6, 2, v6
	v_cndmask_b32_e32 v10, v0, v10, vcc_lo
	v_lshlrev_b32_e32 v10, 2, v10
	s_waitcnt lgkmcnt(3)
	v_add_f32_e32 v2, v8, v2
	s_waitcnt lgkmcnt(2)
	v_add_f32_e32 v3, v24, v3
	;; [unrolled: 2-line block ×4, first 2 shown]
	ds_bpermute_b32 v7, v6, v2
	ds_bpermute_b32 v8, v6, v3
	;; [unrolled: 1-line block ×4, first 2 shown]
	s_waitcnt lgkmcnt(3)
	v_add_f32_e32 v2, v2, v7
	s_waitcnt lgkmcnt(2)
	v_add_f32_e32 v3, v3, v8
	;; [unrolled: 2-line block ×4, first 2 shown]
	ds_bpermute_b32 v1, v10, v2
	ds_bpermute_b32 v7, v10, v3
	;; [unrolled: 1-line block ×4, first 2 shown]
	v_xor_b32_e32 v10, 1, v0
	v_cmp_gt_i32_e32 vcc_lo, 32, v10
	v_cndmask_b32_e32 v0, v0, v10, vcc_lo
	v_cmp_eq_u32_e32 vcc_lo, 15, v21
	v_lshlrev_b32_e32 v10, 2, v0
	s_waitcnt lgkmcnt(3)
	v_add_f32_e32 v0, v2, v1
	s_waitcnt lgkmcnt(2)
	v_add_f32_e32 v1, v3, v7
	;; [unrolled: 2-line block ×4, first 2 shown]
	ds_bpermute_b32 v5, v10, v0
	ds_bpermute_b32 v6, v10, v1
	;; [unrolled: 1-line block ×4, first 2 shown]
	s_and_b32 exec_lo, exec_lo, vcc_lo
	s_cbranch_execz .LBB22_10
; %bb.38:
	s_load_dwordx2 s[0:1], s[4:5], 0x50
	s_waitcnt lgkmcnt(0)
	v_add_f32_e32 v0, v0, v5
	v_add_f32_e32 v1, v1, v6
	;; [unrolled: 1-line block ×4, first 2 shown]
	v_cmp_eq_f32_e64 s4, s2, 0
	v_mul_f32_e32 v0, s16, v0
	v_mul_f32_e32 v1, s16, v1
	;; [unrolled: 1-line block ×4, first 2 shown]
	v_lshlrev_b32_e32 v4, 2, v4
	s_and_b32 vcc_lo, exec_lo, s4
	s_cbranch_vccz .LBB22_40
; %bb.39:
	v_ashrrev_i32_e32 v5, 31, v4
	s_mov_b32 s3, 0
	v_lshlrev_b64 v[5:6], 2, v[4:5]
	v_add_co_u32 v5, vcc_lo, s0, v5
	v_add_co_ci_u32_e64 v6, null, s1, v6, vcc_lo
	global_store_dwordx4 v[5:6], v[0:3], off
.LBB22_40:
	s_andn2_b32 vcc_lo, exec_lo, s3
	s_cbranch_vccnz .LBB22_10
; %bb.41:
	v_ashrrev_i32_e32 v5, 31, v4
	v_lshlrev_b64 v[4:5], 2, v[4:5]
	v_add_co_u32 v8, vcc_lo, s0, v4
	v_add_co_ci_u32_e64 v9, null, s1, v5, vcc_lo
	global_load_dwordx4 v[4:7], v[8:9], off
	s_waitcnt vmcnt(0)
	v_fmac_f32_e32 v0, s2, v4
	v_fmac_f32_e32 v1, s2, v5
	v_fmac_f32_e32 v2, s2, v6
	v_fmac_f32_e32 v3, s2, v7
	global_store_dwordx4 v[8:9], v[0:3], off
	s_endpgm
	.section	.rodata,"a",@progbits
	.p2align	6, 0x0
	.amdhsa_kernel _ZN9rocsparseL18bsrxmvn_4x4_kernelILj128ELj16EflifffEEvT3_20rocsparse_direction_NS_24const_host_device_scalarIT1_EES1_PKS1_PKT2_SA_S7_PKT4_PKT5_S5_PT6_21rocsparse_index_base_b
		.amdhsa_group_segment_fixed_size 0
		.amdhsa_private_segment_fixed_size 0
		.amdhsa_kernarg_size 96
		.amdhsa_user_sgpr_count 6
		.amdhsa_user_sgpr_private_segment_buffer 1
		.amdhsa_user_sgpr_dispatch_ptr 0
		.amdhsa_user_sgpr_queue_ptr 0
		.amdhsa_user_sgpr_kernarg_segment_ptr 1
		.amdhsa_user_sgpr_dispatch_id 0
		.amdhsa_user_sgpr_flat_scratch_init 0
		.amdhsa_user_sgpr_private_segment_size 0
		.amdhsa_wavefront_size32 1
		.amdhsa_uses_dynamic_stack 0
		.amdhsa_system_sgpr_private_segment_wavefront_offset 0
		.amdhsa_system_sgpr_workgroup_id_x 1
		.amdhsa_system_sgpr_workgroup_id_y 0
		.amdhsa_system_sgpr_workgroup_id_z 0
		.amdhsa_system_sgpr_workgroup_info 0
		.amdhsa_system_vgpr_workitem_id 0
		.amdhsa_next_free_vgpr 67
		.amdhsa_next_free_sgpr 20
		.amdhsa_reserve_vcc 1
		.amdhsa_reserve_flat_scratch 0
		.amdhsa_float_round_mode_32 0
		.amdhsa_float_round_mode_16_64 0
		.amdhsa_float_denorm_mode_32 3
		.amdhsa_float_denorm_mode_16_64 3
		.amdhsa_dx10_clamp 1
		.amdhsa_ieee_mode 1
		.amdhsa_fp16_overflow 0
		.amdhsa_workgroup_processor_mode 1
		.amdhsa_memory_ordered 1
		.amdhsa_forward_progress 1
		.amdhsa_shared_vgpr_count 0
		.amdhsa_exception_fp_ieee_invalid_op 0
		.amdhsa_exception_fp_denorm_src 0
		.amdhsa_exception_fp_ieee_div_zero 0
		.amdhsa_exception_fp_ieee_overflow 0
		.amdhsa_exception_fp_ieee_underflow 0
		.amdhsa_exception_fp_ieee_inexact 0
		.amdhsa_exception_int_div_zero 0
	.end_amdhsa_kernel
	.section	.text._ZN9rocsparseL18bsrxmvn_4x4_kernelILj128ELj16EflifffEEvT3_20rocsparse_direction_NS_24const_host_device_scalarIT1_EES1_PKS1_PKT2_SA_S7_PKT4_PKT5_S5_PT6_21rocsparse_index_base_b,"axG",@progbits,_ZN9rocsparseL18bsrxmvn_4x4_kernelILj128ELj16EflifffEEvT3_20rocsparse_direction_NS_24const_host_device_scalarIT1_EES1_PKS1_PKT2_SA_S7_PKT4_PKT5_S5_PT6_21rocsparse_index_base_b,comdat
.Lfunc_end22:
	.size	_ZN9rocsparseL18bsrxmvn_4x4_kernelILj128ELj16EflifffEEvT3_20rocsparse_direction_NS_24const_host_device_scalarIT1_EES1_PKS1_PKT2_SA_S7_PKT4_PKT5_S5_PT6_21rocsparse_index_base_b, .Lfunc_end22-_ZN9rocsparseL18bsrxmvn_4x4_kernelILj128ELj16EflifffEEvT3_20rocsparse_direction_NS_24const_host_device_scalarIT1_EES1_PKS1_PKT2_SA_S7_PKT4_PKT5_S5_PT6_21rocsparse_index_base_b
                                        ; -- End function
	.set _ZN9rocsparseL18bsrxmvn_4x4_kernelILj128ELj16EflifffEEvT3_20rocsparse_direction_NS_24const_host_device_scalarIT1_EES1_PKS1_PKT2_SA_S7_PKT4_PKT5_S5_PT6_21rocsparse_index_base_b.num_vgpr, 67
	.set _ZN9rocsparseL18bsrxmvn_4x4_kernelILj128ELj16EflifffEEvT3_20rocsparse_direction_NS_24const_host_device_scalarIT1_EES1_PKS1_PKT2_SA_S7_PKT4_PKT5_S5_PT6_21rocsparse_index_base_b.num_agpr, 0
	.set _ZN9rocsparseL18bsrxmvn_4x4_kernelILj128ELj16EflifffEEvT3_20rocsparse_direction_NS_24const_host_device_scalarIT1_EES1_PKS1_PKT2_SA_S7_PKT4_PKT5_S5_PT6_21rocsparse_index_base_b.numbered_sgpr, 20
	.set _ZN9rocsparseL18bsrxmvn_4x4_kernelILj128ELj16EflifffEEvT3_20rocsparse_direction_NS_24const_host_device_scalarIT1_EES1_PKS1_PKT2_SA_S7_PKT4_PKT5_S5_PT6_21rocsparse_index_base_b.num_named_barrier, 0
	.set _ZN9rocsparseL18bsrxmvn_4x4_kernelILj128ELj16EflifffEEvT3_20rocsparse_direction_NS_24const_host_device_scalarIT1_EES1_PKS1_PKT2_SA_S7_PKT4_PKT5_S5_PT6_21rocsparse_index_base_b.private_seg_size, 0
	.set _ZN9rocsparseL18bsrxmvn_4x4_kernelILj128ELj16EflifffEEvT3_20rocsparse_direction_NS_24const_host_device_scalarIT1_EES1_PKS1_PKT2_SA_S7_PKT4_PKT5_S5_PT6_21rocsparse_index_base_b.uses_vcc, 1
	.set _ZN9rocsparseL18bsrxmvn_4x4_kernelILj128ELj16EflifffEEvT3_20rocsparse_direction_NS_24const_host_device_scalarIT1_EES1_PKS1_PKT2_SA_S7_PKT4_PKT5_S5_PT6_21rocsparse_index_base_b.uses_flat_scratch, 0
	.set _ZN9rocsparseL18bsrxmvn_4x4_kernelILj128ELj16EflifffEEvT3_20rocsparse_direction_NS_24const_host_device_scalarIT1_EES1_PKS1_PKT2_SA_S7_PKT4_PKT5_S5_PT6_21rocsparse_index_base_b.has_dyn_sized_stack, 0
	.set _ZN9rocsparseL18bsrxmvn_4x4_kernelILj128ELj16EflifffEEvT3_20rocsparse_direction_NS_24const_host_device_scalarIT1_EES1_PKS1_PKT2_SA_S7_PKT4_PKT5_S5_PT6_21rocsparse_index_base_b.has_recursion, 0
	.set _ZN9rocsparseL18bsrxmvn_4x4_kernelILj128ELj16EflifffEEvT3_20rocsparse_direction_NS_24const_host_device_scalarIT1_EES1_PKS1_PKT2_SA_S7_PKT4_PKT5_S5_PT6_21rocsparse_index_base_b.has_indirect_call, 0
	.section	.AMDGPU.csdata,"",@progbits
; Kernel info:
; codeLenInByte = 3644
; TotalNumSgprs: 22
; NumVgprs: 67
; ScratchSize: 0
; MemoryBound: 0
; FloatMode: 240
; IeeeMode: 1
; LDSByteSize: 0 bytes/workgroup (compile time only)
; SGPRBlocks: 0
; VGPRBlocks: 8
; NumSGPRsForWavesPerEU: 22
; NumVGPRsForWavesPerEU: 67
; Occupancy: 12
; WaveLimiterHint : 1
; COMPUTE_PGM_RSRC2:SCRATCH_EN: 0
; COMPUTE_PGM_RSRC2:USER_SGPR: 6
; COMPUTE_PGM_RSRC2:TRAP_HANDLER: 0
; COMPUTE_PGM_RSRC2:TGID_X_EN: 1
; COMPUTE_PGM_RSRC2:TGID_Y_EN: 0
; COMPUTE_PGM_RSRC2:TGID_Z_EN: 0
; COMPUTE_PGM_RSRC2:TIDIG_COMP_CNT: 0
	.section	.text._ZN9rocsparseL18bsrxmvn_4x4_kernelILj128ELj32EflifffEEvT3_20rocsparse_direction_NS_24const_host_device_scalarIT1_EES1_PKS1_PKT2_SA_S7_PKT4_PKT5_S5_PT6_21rocsparse_index_base_b,"axG",@progbits,_ZN9rocsparseL18bsrxmvn_4x4_kernelILj128ELj32EflifffEEvT3_20rocsparse_direction_NS_24const_host_device_scalarIT1_EES1_PKS1_PKT2_SA_S7_PKT4_PKT5_S5_PT6_21rocsparse_index_base_b,comdat
	.globl	_ZN9rocsparseL18bsrxmvn_4x4_kernelILj128ELj32EflifffEEvT3_20rocsparse_direction_NS_24const_host_device_scalarIT1_EES1_PKS1_PKT2_SA_S7_PKT4_PKT5_S5_PT6_21rocsparse_index_base_b ; -- Begin function _ZN9rocsparseL18bsrxmvn_4x4_kernelILj128ELj32EflifffEEvT3_20rocsparse_direction_NS_24const_host_device_scalarIT1_EES1_PKS1_PKT2_SA_S7_PKT4_PKT5_S5_PT6_21rocsparse_index_base_b
	.p2align	8
	.type	_ZN9rocsparseL18bsrxmvn_4x4_kernelILj128ELj32EflifffEEvT3_20rocsparse_direction_NS_24const_host_device_scalarIT1_EES1_PKS1_PKT2_SA_S7_PKT4_PKT5_S5_PT6_21rocsparse_index_base_b,@function
_ZN9rocsparseL18bsrxmvn_4x4_kernelILj128ELj32EflifffEEvT3_20rocsparse_direction_NS_24const_host_device_scalarIT1_EES1_PKS1_PKT2_SA_S7_PKT4_PKT5_S5_PT6_21rocsparse_index_base_b: ; @_ZN9rocsparseL18bsrxmvn_4x4_kernelILj128ELj32EflifffEEvT3_20rocsparse_direction_NS_24const_host_device_scalarIT1_EES1_PKS1_PKT2_SA_S7_PKT4_PKT5_S5_PT6_21rocsparse_index_base_b
; %bb.0:
	s_clause 0x2
	s_load_dwordx2 s[18:19], s[4:5], 0x58
	s_load_dwordx2 s[16:17], s[4:5], 0x8
	;; [unrolled: 1-line block ×3, first 2 shown]
	s_waitcnt lgkmcnt(0)
	s_bitcmp1_b32 s19, 0
	s_cselect_b32 s0, -1, 0
	s_and_b32 vcc_lo, exec_lo, s0
	s_xor_b32 s0, s0, -1
	s_cbranch_vccnz .LBB23_2
; %bb.1:
	s_load_dword s16, s[16:17], 0x0
.LBB23_2:
	s_andn2_b32 vcc_lo, exec_lo, s0
	s_cbranch_vccnz .LBB23_4
; %bb.3:
	s_load_dword s2, s[2:3], 0x0
.LBB23_4:
	s_waitcnt lgkmcnt(0)
	v_cmp_neq_f32_e64 s0, s16, 0
	v_cmp_neq_f32_e64 s1, s2, 1.0
	s_mov_b32 s3, 0
	s_or_b32 s0, s0, s1
	s_andn2_b32 vcc_lo, exec_lo, s0
	s_cbranch_vccnz .LBB23_10
; %bb.5:
	s_clause 0x1
	s_load_dwordx2 s[8:9], s[4:5], 0x18
	s_load_dwordx2 s[0:1], s[4:5], 0x0
	v_lshrrev_b32_e32 v1, 5, v0
	v_lshl_or_b32 v4, s6, 2, v1
	s_waitcnt lgkmcnt(0)
	s_cmp_lg_u64 s[8:9], 0
	s_cbranch_scc0 .LBB23_11
; %bb.6:
	s_load_dword s3, s[4:5], 0x10
	s_mov_b32 s6, 0
                                        ; implicit-def: $vgpr1
	s_waitcnt lgkmcnt(0)
	v_cmp_gt_i32_e32 vcc_lo, s3, v4
	s_mov_b32 s3, 0
	s_and_saveexec_b32 s7, vcc_lo
	s_xor_b32 s7, exec_lo, s7
	s_cbranch_execz .LBB23_8
; %bb.7:
	v_ashrrev_i32_e32 v5, 31, v4
	s_mov_b32 s3, exec_lo
	v_lshlrev_b64 v[1:2], 2, v[4:5]
	v_add_co_u32 v1, vcc_lo, s8, v1
	v_add_co_ci_u32_e64 v2, null, s9, v2, vcc_lo
	global_load_dword v1, v[1:2], off
	s_waitcnt vmcnt(0)
	v_subrev_nc_u32_e32 v1, s18, v1
.LBB23_8:
	s_or_b32 exec_lo, exec_lo, s7
	s_and_b32 vcc_lo, exec_lo, s6
	s_cbranch_vccz .LBB23_12
.LBB23_9:
	v_cmp_gt_i32_e32 vcc_lo, s0, v4
	s_andn2_b32 s0, s3, exec_lo
	s_and_b32 s3, vcc_lo, exec_lo
	s_or_b32 s3, s0, s3
	s_and_saveexec_b32 s0, s3
	s_cbranch_execnz .LBB23_13
.LBB23_10:
	s_endpgm
.LBB23_11:
                                        ; implicit-def: $vgpr1
	s_cbranch_execnz .LBB23_9
.LBB23_12:
	v_mov_b32_e32 v4, v1
	s_and_saveexec_b32 s0, s3
	s_cbranch_execz .LBB23_10
.LBB23_13:
	s_load_dwordx8 s[8:15], s[4:5], 0x20
	v_ashrrev_i32_e32 v5, 31, v4
	v_and_b32_e32 v21, 31, v0
	s_load_dwordx2 s[6:7], s[4:5], 0x40
	v_mov_b32_e32 v22, 0
	v_lshlrev_b64 v[1:2], 3, v[4:5]
	s_waitcnt lgkmcnt(0)
	v_add_co_u32 v5, vcc_lo, s8, v1
	v_add_co_ci_u32_e64 v6, null, s9, v2, vcc_lo
	v_add_co_u32 v1, vcc_lo, s10, v1
	v_add_co_ci_u32_e64 v2, null, s11, v2, vcc_lo
	v_add_co_u32 v3, vcc_lo, v5, 8
	global_load_dwordx2 v[9:10], v[5:6], off
	v_add_co_ci_u32_e64 v7, null, 0, v6, vcc_lo
	s_cmp_eq_u64 s[10:11], 0
	s_cselect_b32 vcc_lo, -1, 0
	s_cmp_eq_u32 s1, 1
	v_cndmask_b32_e32 v2, v2, v7, vcc_lo
	v_cndmask_b32_e32 v1, v1, v3, vcc_lo
	global_load_dwordx2 v[2:3], v[1:2], off
	s_waitcnt vmcnt(1)
	v_sub_co_u32 v0, vcc_lo, v9, s18
	v_subrev_co_ci_u32_e64 v1, null, 0, v10, vcc_lo
	v_add_co_u32 v0, vcc_lo, v0, v21
	v_add_co_ci_u32_e64 v1, null, 0, v1, vcc_lo
	v_lshlrev_b64 v[5:6], 6, v[0:1]
	s_waitcnt vmcnt(0)
	v_sub_co_u32 v2, vcc_lo, v2, s18
	v_subrev_co_ci_u32_e64 v3, null, 0, v3, vcc_lo
	v_add_co_u32 v5, vcc_lo, s14, v5
	v_cmp_lt_i64_e64 s0, v[0:1], v[2:3]
	v_add_co_ci_u32_e64 v6, null, s15, v6, vcc_lo
	s_cbranch_scc1 .LBB23_25
; %bb.14:
	v_mov_b32_e32 v23, 0
	v_mov_b32_e32 v24, 0
	;; [unrolled: 1-line block ×3, first 2 shown]
	s_and_saveexec_b32 s3, s0
	s_cbranch_execz .LBB23_24
; %bb.15:
	v_or_b32_e32 v7, 32, v21
	v_not_b32_e32 v12, v9
	v_not_b32_e32 v11, v10
	v_sub_co_u32 v7, s1, v7, s18
	v_sub_co_ci_u32_e64 v8, null, 0, 0, s1
	v_sub_co_u32 v13, s1, s18, v21
	v_add_co_u32 v7, vcc_lo, v7, v9
	v_add_co_ci_u32_e64 v8, null, v8, v10, vcc_lo
	v_sub_co_ci_u32_e64 v14, null, 0, 0, s1
	s_mov_b32 s1, exec_lo
	v_cmp_gt_i64_e32 vcc_lo, v[7:8], v[2:3]
	v_cndmask_b32_e32 v16, v3, v8, vcc_lo
	v_cndmask_b32_e32 v7, v2, v7, vcc_lo
	v_add_co_u32 v8, vcc_lo, v13, v12
	v_add_co_ci_u32_e64 v11, null, v14, v11, vcc_lo
	v_mov_b32_e32 v14, v6
	v_add_co_u32 v15, vcc_lo, v8, v7
	v_mov_b32_e32 v8, 0
	v_add_co_ci_u32_e64 v16, null, v11, v16, vcc_lo
	v_mov_b32_e32 v12, v1
	v_and_b32_e32 v7, 0x60, v15
	v_mov_b32_e32 v24, v8
	v_mov_b32_e32 v23, v8
	;; [unrolled: 1-line block ×5, first 2 shown]
	v_cmpx_ne_u64_e32 0x60, v[7:8]
	s_cbranch_execz .LBB23_19
; %bb.16:
	v_lshrrev_b32_e32 v7, 5, v15
	v_mov_b32_e32 v14, v6
	v_mov_b32_e32 v12, v1
	;; [unrolled: 1-line block ×4, first 2 shown]
	v_add_nc_u32_e32 v17, 1, v7
	v_lshlrev_b64 v[7:8], 2, v[0:1]
	v_mov_b32_e32 v11, v0
	v_mov_b32_e32 v23, 0
	;; [unrolled: 1-line block ×3, first 2 shown]
	v_and_b32_e32 v19, 3, v17
	v_add_co_u32 v17, vcc_lo, s12, v7
	v_add_co_ci_u32_e64 v18, null, s13, v8, vcc_lo
	v_sub_co_u32 v19, s8, 0, v19
	v_sub_co_ci_u32_e64 v20, null, 0, 0, s8
	v_mov_b32_e32 v8, 0
	s_mov_b32 s8, 0
.LBB23_17:                              ; =>This Inner Loop Header: Depth=1
	global_load_dword v7, v[17:18], off
	s_clause 0x3
	global_load_dwordx4 v[25:28], v[13:14], off offset:48
	global_load_dwordx4 v[29:32], v[13:14], off offset:32
	;; [unrolled: 1-line block ×3, first 2 shown]
	global_load_dwordx4 v[37:40], v[13:14], off
	s_waitcnt vmcnt(4)
	v_subrev_nc_u32_e32 v7, s18, v7
	v_lshlrev_b32_e32 v41, 2, v7
	v_ashrrev_i32_e32 v42, 31, v41
	v_lshlrev_b64 v[41:42], 2, v[41:42]
	v_add_co_u32 v41, vcc_lo, s6, v41
	v_add_co_ci_u32_e64 v42, null, s7, v42, vcc_lo
	v_add_co_u32 v13, vcc_lo, 0x800, v13
	v_add_co_ci_u32_e64 v14, null, 0, v14, vcc_lo
	global_load_dwordx4 v[41:44], v[41:42], off
	v_add_co_u32 v11, vcc_lo, v11, 32
	v_add_co_ci_u32_e64 v12, null, 0, v12, vcc_lo
	v_add_co_u32 v17, vcc_lo, 0x80, v17
	v_add_co_ci_u32_e64 v18, null, 0, v18, vcc_lo
	;; [unrolled: 2-line block ×3, first 2 shown]
	v_cmp_eq_u64_e32 vcc_lo, 0, v[19:20]
	s_or_b32 s8, vcc_lo, s8
	s_waitcnt vmcnt(0)
	v_fmac_f32_e32 v8, v37, v41
	v_fmac_f32_e32 v24, v33, v41
	;; [unrolled: 1-line block ×16, first 2 shown]
	s_andn2_b32 exec_lo, exec_lo, s8
	s_cbranch_execnz .LBB23_17
; %bb.18:
	s_or_b32 exec_lo, exec_lo, s8
.LBB23_19:
	s_or_b32 exec_lo, exec_lo, s1
	s_mov_b32 s8, exec_lo
	v_cmpx_lt_u64_e32 0x5f, v[15:16]
	s_cbranch_execz .LBB23_23
; %bb.20:
	v_lshlrev_b64 v[15:16], 2, v[11:12]
	s_mov_b32 s9, 0
	v_add_co_u32 v7, vcc_lo, s12, v15
	v_add_co_ci_u32_e64 v16, null, s13, v16, vcc_lo
	v_add_co_u32 v15, vcc_lo, 0x100, v7
	v_add_co_ci_u32_e64 v16, null, 0, v16, vcc_lo
.LBB23_21:                              ; =>This Inner Loop Header: Depth=1
	global_load_dword v7, v[15:16], off offset:-256
	s_clause 0x3
	global_load_dwordx4 v[17:20], v[13:14], off offset:48
	global_load_dwordx4 v[25:28], v[13:14], off offset:32
	;; [unrolled: 1-line block ×3, first 2 shown]
	global_load_dwordx4 v[33:36], v[13:14], off
	s_clause 0x2
	global_load_dword v65, v[15:16], off offset:-128
	global_load_dword v66, v[15:16], off
	global_load_dword v67, v[15:16], off offset:128
	v_add_co_u32 v45, vcc_lo, 0x800, v13
	v_add_co_ci_u32_e64 v46, null, 0, v14, vcc_lo
	v_add_co_u32 v53, vcc_lo, v13, 0x1000
	v_add_co_ci_u32_e64 v54, null, 0, v14, vcc_lo
	v_add_co_u32 v61, vcc_lo, 0x1000, v13
	v_add_co_ci_u32_e64 v62, null, 0, v14, vcc_lo
	v_add_co_u32 v63, vcc_lo, 0x1800, v13
	v_add_co_ci_u32_e64 v64, null, 0, v14, vcc_lo
	s_clause 0x4
	global_load_dwordx4 v[37:40], v[45:46], off offset:48
	global_load_dwordx4 v[41:44], v[45:46], off offset:32
	;; [unrolled: 1-line block ×3, first 2 shown]
	global_load_dwordx4 v[49:52], v[53:54], off offset:-2048
	global_load_dwordx4 v[53:56], v[53:54], off
	v_add_co_u32 v11, s1, 0x80, v11
	v_add_co_ci_u32_e64 v12, null, 0, v12, s1
	v_add_co_u32 v15, s1, 0x200, v15
	v_add_co_ci_u32_e64 v16, null, 0, v16, s1
	s_waitcnt vmcnt(12)
	v_subrev_nc_u32_e32 v7, s18, v7
	v_lshlrev_b32_e32 v57, 2, v7
	s_waitcnt vmcnt(7)
	v_subrev_nc_u32_e32 v7, s18, v65
	v_ashrrev_i32_e32 v58, 31, v57
	v_lshlrev_b64 v[57:58], 2, v[57:58]
	v_add_co_u32 v57, vcc_lo, s6, v57
	v_add_co_ci_u32_e64 v58, null, s7, v58, vcc_lo
	global_load_dwordx4 v[57:60], v[57:58], off
	s_waitcnt vmcnt(0)
	v_fmac_f32_e32 v8, v33, v57
	v_fmac_f32_e32 v24, v29, v57
	;; [unrolled: 1-line block ×4, first 2 shown]
	v_lshlrev_b32_e32 v57, 2, v7
	v_fmac_f32_e32 v8, v34, v58
	v_fmac_f32_e32 v24, v30, v58
	;; [unrolled: 1-line block ×4, first 2 shown]
	v_ashrrev_i32_e32 v58, 31, v57
	v_fmac_f32_e32 v8, v35, v59
	v_fmac_f32_e32 v24, v31, v59
	;; [unrolled: 1-line block ×4, first 2 shown]
	v_lshlrev_b64 v[57:58], 2, v[57:58]
	v_fmac_f32_e32 v8, v36, v60
	v_fmac_f32_e32 v24, v32, v60
	;; [unrolled: 1-line block ×4, first 2 shown]
	v_subrev_nc_u32_e32 v7, s18, v66
	v_add_co_u32 v57, vcc_lo, s6, v57
	v_add_co_ci_u32_e64 v58, null, s7, v58, vcc_lo
	v_subrev_nc_u32_e32 v66, s18, v67
	v_lshlrev_b32_e32 v65, 2, v7
	global_load_dwordx4 v[33:36], v[61:62], off offset:48
	global_load_dwordx4 v[57:60], v[57:58], off
	s_clause 0x2
	global_load_dwordx4 v[29:32], v[61:62], off offset:32
	global_load_dwordx4 v[25:28], v[61:62], off offset:16
	;; [unrolled: 1-line block ×3, first 2 shown]
	s_waitcnt vmcnt(3)
	v_fmac_f32_e32 v23, v41, v57
	v_lshlrev_b32_e32 v41, 2, v66
	v_ashrrev_i32_e32 v66, 31, v65
	v_fmac_f32_e32 v8, v49, v57
	v_fmac_f32_e32 v24, v45, v57
	;; [unrolled: 1-line block ×3, first 2 shown]
	v_ashrrev_i32_e32 v42, 31, v41
	v_fmac_f32_e32 v22, v37, v57
	v_fmac_f32_e32 v8, v50, v58
	;; [unrolled: 1-line block ×4, first 2 shown]
	v_lshlrev_b64 v[41:42], 2, v[41:42]
	v_fmac_f32_e32 v22, v38, v58
	v_fmac_f32_e32 v8, v51, v59
	;; [unrolled: 1-line block ×4, first 2 shown]
	v_lshlrev_b64 v[43:44], 2, v[65:66]
	v_fmac_f32_e32 v22, v39, v59
	v_fmac_f32_e32 v8, v52, v60
	global_load_dwordx4 v[49:52], v[63:64], off offset:32
	v_fmac_f32_e32 v24, v48, v60
	s_clause 0x1
	global_load_dwordx4 v[45:48], v[63:64], off
	global_load_dwordx4 v[61:64], v[63:64], off offset:16
	v_add_co_u32 v43, vcc_lo, s6, v43
	v_add_co_ci_u32_e64 v44, null, s7, v44, vcc_lo
	v_add_co_u32 v65, vcc_lo, s6, v41
	v_add_co_ci_u32_e64 v66, null, s7, v42, vcc_lo
	global_load_dwordx4 v[41:44], v[43:44], off
	v_fmac_f32_e32 v22, v40, v60
	v_add_co_u32 v13, vcc_lo, 0x2000, v13
	global_load_dwordx4 v[37:40], v[65:66], off
	v_add_co_ci_u32_e64 v14, null, 0, v14, vcc_lo
	v_cmp_ge_i64_e32 vcc_lo, v[11:12], v[2:3]
	s_or_b32 s9, vcc_lo, s9
	s_waitcnt vmcnt(1)
	v_fmac_f32_e32 v8, v53, v41
	v_fmac_f32_e32 v24, v25, v41
	;; [unrolled: 1-line block ×16, first 2 shown]
	s_waitcnt vmcnt(0)
	v_fmac_f32_e32 v8, v45, v37
	v_fmac_f32_e32 v24, v61, v37
	v_fmac_f32_e32 v23, v49, v37
	v_fmac_f32_e32 v22, v17, v37
	v_fmac_f32_e32 v8, v46, v38
	v_fmac_f32_e32 v24, v62, v38
	v_fmac_f32_e32 v23, v50, v38
	v_fmac_f32_e32 v22, v18, v38
	v_fmac_f32_e32 v8, v47, v39
	v_fmac_f32_e32 v24, v63, v39
	v_fmac_f32_e32 v23, v51, v39
	v_fmac_f32_e32 v22, v19, v39
	v_fmac_f32_e32 v8, v48, v40
	v_fmac_f32_e32 v24, v64, v40
	v_fmac_f32_e32 v23, v52, v40
	v_fmac_f32_e32 v22, v20, v40
	s_andn2_b32 exec_lo, exec_lo, s9
	s_cbranch_execnz .LBB23_21
; %bb.22:
	s_or_b32 exec_lo, exec_lo, s9
.LBB23_23:
	s_or_b32 exec_lo, exec_lo, s8
.LBB23_24:
	s_or_b32 exec_lo, exec_lo, s3
	s_cbranch_execz .LBB23_26
	s_branch .LBB23_37
.LBB23_25:
                                        ; implicit-def: $vgpr22
                                        ; implicit-def: $vgpr23
                                        ; implicit-def: $vgpr24
                                        ; implicit-def: $vgpr8
.LBB23_26:
	v_mov_b32_e32 v22, 0
	v_mov_b32_e32 v23, 0
	;; [unrolled: 1-line block ×4, first 2 shown]
	s_and_saveexec_b32 s1, s0
	s_cbranch_execz .LBB23_36
; %bb.27:
	v_or_b32_e32 v7, 32, v21
	v_sub_co_u32 v7, s0, v7, s18
	v_sub_co_ci_u32_e64 v8, null, 0, 0, s0
	v_sub_co_u32 v11, s0, s18, v21
	v_add_co_u32 v7, vcc_lo, v7, v9
	v_add_co_ci_u32_e64 v8, null, v8, v10, vcc_lo
	v_not_b32_e32 v9, v9
	v_not_b32_e32 v10, v10
	v_sub_co_ci_u32_e64 v12, null, 0, 0, s0
	v_cmp_gt_i64_e32 vcc_lo, v[7:8], v[2:3]
	s_mov_b32 s0, exec_lo
	v_cndmask_b32_e32 v13, v3, v8, vcc_lo
	v_cndmask_b32_e32 v7, v2, v7, vcc_lo
	v_add_co_u32 v8, vcc_lo, v11, v9
	v_add_co_ci_u32_e64 v10, null, v12, v10, vcc_lo
	v_add_co_u32 v9, vcc_lo, v8, v7
	v_mov_b32_e32 v8, 0
	v_add_co_ci_u32_e64 v10, null, v10, v13, vcc_lo
	v_and_b32_e32 v7, 0x60, v9
	v_mov_b32_e32 v24, v8
	v_mov_b32_e32 v23, v8
	;; [unrolled: 1-line block ×3, first 2 shown]
	v_cmpx_ne_u64_e32 0x60, v[7:8]
	s_cbranch_execz .LBB23_31
; %bb.28:
	v_lshrrev_b32_e32 v7, 5, v9
	v_mov_b32_e32 v22, 0
	v_mov_b32_e32 v23, 0
	;; [unrolled: 1-line block ×3, first 2 shown]
	v_add_nc_u32_e32 v11, 1, v7
	v_lshlrev_b64 v[7:8], 2, v[0:1]
	v_and_b32_e32 v13, 3, v11
	v_add_co_u32 v11, vcc_lo, s12, v7
	v_add_co_ci_u32_e64 v12, null, s13, v8, vcc_lo
	v_sub_co_u32 v13, s3, 0, v13
	v_sub_co_ci_u32_e64 v14, null, 0, 0, s3
	v_mov_b32_e32 v8, 0
	s_mov_b32 s3, 0
.LBB23_29:                              ; =>This Inner Loop Header: Depth=1
	global_load_dword v7, v[11:12], off
	s_clause 0x1
	global_load_dwordx4 v[15:18], v[5:6], off offset:16
	global_load_dwordx4 v[25:28], v[5:6], off
	s_waitcnt vmcnt(2)
	v_subrev_nc_u32_e32 v7, s18, v7
	v_lshlrev_b32_e32 v19, 2, v7
	v_ashrrev_i32_e32 v20, 31, v19
	v_lshlrev_b64 v[19:20], 2, v[19:20]
	v_add_co_u32 v19, vcc_lo, s6, v19
	v_add_co_ci_u32_e64 v20, null, s7, v20, vcc_lo
	global_load_dwordx4 v[29:32], v[19:20], off
	s_clause 0x1
	global_load_dwordx4 v[33:36], v[5:6], off offset:32
	global_load_dwordx4 v[37:40], v[5:6], off offset:48
	v_add_co_u32 v5, vcc_lo, 0x800, v5
	v_add_co_ci_u32_e64 v6, null, 0, v6, vcc_lo
	v_add_co_u32 v0, vcc_lo, v0, 32
	v_add_co_ci_u32_e64 v1, null, 0, v1, vcc_lo
	;; [unrolled: 2-line block ×4, first 2 shown]
	v_cmp_eq_u64_e32 vcc_lo, 0, v[13:14]
	s_or_b32 s3, vcc_lo, s3
	s_waitcnt vmcnt(2)
	v_fmac_f32_e32 v8, v25, v29
	v_fmac_f32_e32 v24, v26, v29
	;; [unrolled: 1-line block ×8, first 2 shown]
	s_waitcnt vmcnt(1)
	v_fmac_f32_e32 v8, v33, v31
	v_fmac_f32_e32 v24, v34, v31
	;; [unrolled: 1-line block ×4, first 2 shown]
	s_waitcnt vmcnt(0)
	v_fmac_f32_e32 v8, v37, v32
	v_fmac_f32_e32 v24, v38, v32
	;; [unrolled: 1-line block ×4, first 2 shown]
	s_andn2_b32 exec_lo, exec_lo, s3
	s_cbranch_execnz .LBB23_29
; %bb.30:
	s_or_b32 exec_lo, exec_lo, s3
.LBB23_31:
	s_or_b32 exec_lo, exec_lo, s0
	s_mov_b32 s0, exec_lo
	v_cmpx_lt_u64_e32 0x5f, v[9:10]
	s_cbranch_execz .LBB23_35
; %bb.32:
	v_lshlrev_b64 v[9:10], 2, v[0:1]
	s_mov_b32 s3, 0
	v_add_co_u32 v7, vcc_lo, s12, v9
	v_add_co_ci_u32_e64 v10, null, s13, v10, vcc_lo
	v_add_co_u32 v9, vcc_lo, 0x100, v7
	v_add_co_ci_u32_e64 v10, null, 0, v10, vcc_lo
.LBB23_33:                              ; =>This Inner Loop Header: Depth=1
	global_load_dword v7, v[9:10], off offset:-256
	s_clause 0x3
	global_load_dwordx4 v[11:14], v[5:6], off offset:48
	global_load_dwordx4 v[15:18], v[5:6], off offset:32
	;; [unrolled: 1-line block ×3, first 2 shown]
	global_load_dwordx4 v[29:32], v[5:6], off
	v_add_co_u32 v19, vcc_lo, 0x800, v5
	v_add_co_ci_u32_e64 v20, null, 0, v6, vcc_lo
	v_add_co_u32 v49, vcc_lo, v5, 0x1000
	v_add_co_ci_u32_e64 v50, null, 0, v6, vcc_lo
	s_clause 0x2
	global_load_dword v59, v[9:10], off offset:-128
	global_load_dword v60, v[9:10], off
	global_load_dword v63, v[9:10], off offset:128
	s_clause 0x4
	global_load_dwordx4 v[33:36], v[19:20], off offset:48
	global_load_dwordx4 v[37:40], v[19:20], off offset:32
	;; [unrolled: 1-line block ×3, first 2 shown]
	global_load_dwordx4 v[45:48], v[49:50], off offset:-2048
	global_load_dwordx4 v[49:52], v[49:50], off
	v_add_co_u32 v57, vcc_lo, 0x1000, v5
	v_add_co_ci_u32_e64 v58, null, 0, v6, vcc_lo
	v_add_co_u32 v61, vcc_lo, 0x1800, v5
	v_add_co_ci_u32_e64 v62, null, 0, v6, vcc_lo
	s_waitcnt vmcnt(12)
	v_subrev_nc_u32_e32 v7, s18, v7
	v_lshlrev_b32_e32 v19, 2, v7
	v_ashrrev_i32_e32 v20, 31, v19
	s_waitcnt vmcnt(7)
	v_subrev_nc_u32_e32 v7, s18, v59
	s_waitcnt vmcnt(5)
	v_subrev_nc_u32_e32 v59, s18, v63
	v_lshlrev_b64 v[19:20], 2, v[19:20]
	v_add_co_u32 v19, vcc_lo, s6, v19
	v_add_co_ci_u32_e64 v20, null, s7, v20, vcc_lo
	global_load_dwordx4 v[53:56], v[19:20], off
	v_subrev_nc_u32_e32 v20, s18, v60
	v_lshlrev_b32_e32 v19, 2, v7
	s_waitcnt vmcnt(0)
	v_fmac_f32_e32 v8, v29, v53
	v_fmac_f32_e32 v24, v30, v53
	v_fmac_f32_e32 v23, v31, v53
	v_fmac_f32_e32 v22, v32, v53
	global_load_dwordx4 v[29:32], v[57:58], off offset:48
	v_fmac_f32_e32 v8, v25, v54
	v_fmac_f32_e32 v24, v26, v54
	v_fmac_f32_e32 v23, v27, v54
	v_fmac_f32_e32 v22, v28, v54
	global_load_dwordx4 v[25:28], v[57:58], off offset:32
	;; [unrolled: 5-line block ×3, first 2 shown]
	v_fmac_f32_e32 v8, v11, v56
	v_fmac_f32_e32 v24, v12, v56
	;; [unrolled: 1-line block ×4, first 2 shown]
	global_load_dwordx4 v[11:14], v[61:62], off
	v_lshlrev_b32_e32 v57, 2, v20
	v_ashrrev_i32_e32 v20, 31, v19
	v_ashrrev_i32_e32 v58, 31, v57
	v_lshlrev_b64 v[19:20], 2, v[19:20]
	v_add_co_u32 v19, vcc_lo, s6, v19
	v_add_co_ci_u32_e64 v20, null, s7, v20, vcc_lo
	global_load_dwordx4 v[53:56], v[19:20], off
	v_lshlrev_b64 v[19:20], 2, v[57:58]
	v_lshlrev_b32_e32 v57, 2, v59
	v_add_co_u32 v19, vcc_lo, s6, v19
	v_add_co_ci_u32_e64 v20, null, s7, v20, vcc_lo
	v_ashrrev_i32_e32 v58, 31, v57
	s_waitcnt vmcnt(0)
	v_fmac_f32_e32 v8, v45, v53
	v_fmac_f32_e32 v24, v46, v53
	;; [unrolled: 1-line block ×4, first 2 shown]
	global_load_dwordx4 v[45:48], v[19:20], off
	v_lshlrev_b64 v[19:20], 2, v[57:58]
	v_fmac_f32_e32 v8, v41, v54
	v_fmac_f32_e32 v24, v42, v54
	;; [unrolled: 1-line block ×4, first 2 shown]
	global_load_dwordx4 v[41:44], v[61:62], off offset:16
	v_add_co_u32 v19, vcc_lo, s6, v19
	v_add_co_ci_u32_e64 v20, null, s7, v20, vcc_lo
	v_fmac_f32_e32 v8, v37, v55
	v_fmac_f32_e32 v24, v38, v55
	;; [unrolled: 1-line block ×3, first 2 shown]
	global_load_dwordx4 v[57:60], v[19:20], off
	v_fmac_f32_e32 v22, v40, v55
	global_load_dwordx4 v[37:40], v[61:62], off offset:32
	v_fmac_f32_e32 v8, v33, v56
	v_fmac_f32_e32 v24, v34, v56
	;; [unrolled: 1-line block ×4, first 2 shown]
	global_load_dwordx4 v[33:36], v[61:62], off offset:48
	v_add_co_u32 v0, vcc_lo, 0x80, v0
	v_add_co_ci_u32_e64 v1, null, 0, v1, vcc_lo
	v_add_co_u32 v9, vcc_lo, 0x200, v9
	v_add_co_ci_u32_e64 v10, null, 0, v10, vcc_lo
	;; [unrolled: 2-line block ×3, first 2 shown]
	v_cmp_ge_i64_e32 vcc_lo, v[0:1], v[2:3]
	s_or_b32 s3, vcc_lo, s3
	s_waitcnt vmcnt(4)
	v_fmac_f32_e32 v8, v49, v45
	v_fmac_f32_e32 v24, v50, v45
	;; [unrolled: 1-line block ×16, first 2 shown]
	s_waitcnt vmcnt(2)
	v_fmac_f32_e32 v8, v11, v57
	v_fmac_f32_e32 v24, v12, v57
	;; [unrolled: 1-line block ×8, first 2 shown]
	s_waitcnt vmcnt(1)
	v_fmac_f32_e32 v8, v37, v59
	v_fmac_f32_e32 v24, v38, v59
	;; [unrolled: 1-line block ×4, first 2 shown]
	s_waitcnt vmcnt(0)
	v_fmac_f32_e32 v8, v33, v60
	v_fmac_f32_e32 v24, v34, v60
	;; [unrolled: 1-line block ×4, first 2 shown]
	s_andn2_b32 exec_lo, exec_lo, s3
	s_cbranch_execnz .LBB23_33
; %bb.34:
	s_or_b32 exec_lo, exec_lo, s3
.LBB23_35:
	s_or_b32 exec_lo, exec_lo, s0
.LBB23_36:
	s_or_b32 exec_lo, exec_lo, s1
.LBB23_37:
	v_mbcnt_lo_u32_b32 v0, -1, 0
	s_mov_b32 s3, -1
	v_xor_b32_e32 v1, 16, v0
	v_xor_b32_e32 v6, 8, v0
	v_xor_b32_e32 v10, 4, v0
	v_cmp_gt_i32_e32 vcc_lo, 32, v1
	v_cndmask_b32_e32 v1, v0, v1, vcc_lo
	v_cmp_gt_i32_e32 vcc_lo, 32, v6
	v_lshlrev_b32_e32 v1, 2, v1
	v_cndmask_b32_e32 v6, v0, v6, vcc_lo
	v_cmp_gt_i32_e32 vcc_lo, 32, v10
	ds_bpermute_b32 v2, v1, v8
	ds_bpermute_b32 v3, v1, v24
	;; [unrolled: 1-line block ×4, first 2 shown]
	v_lshlrev_b32_e32 v6, 2, v6
	v_cndmask_b32_e32 v10, v0, v10, vcc_lo
	v_lshlrev_b32_e32 v10, 2, v10
	s_waitcnt lgkmcnt(3)
	v_add_f32_e32 v2, v8, v2
	s_waitcnt lgkmcnt(2)
	v_add_f32_e32 v3, v24, v3
	;; [unrolled: 2-line block ×4, first 2 shown]
	ds_bpermute_b32 v7, v6, v2
	ds_bpermute_b32 v8, v6, v3
	;; [unrolled: 1-line block ×4, first 2 shown]
	s_waitcnt lgkmcnt(3)
	v_add_f32_e32 v2, v2, v7
	s_waitcnt lgkmcnt(2)
	v_add_f32_e32 v3, v3, v8
	;; [unrolled: 2-line block ×4, first 2 shown]
	ds_bpermute_b32 v6, v10, v2
	ds_bpermute_b32 v7, v10, v3
	;; [unrolled: 1-line block ×4, first 2 shown]
	v_xor_b32_e32 v10, 2, v0
	v_cmp_gt_i32_e32 vcc_lo, 32, v10
	v_cndmask_b32_e32 v10, v0, v10, vcc_lo
	v_lshlrev_b32_e32 v10, 2, v10
	s_waitcnt lgkmcnt(3)
	v_add_f32_e32 v2, v2, v6
	s_waitcnt lgkmcnt(2)
	v_add_f32_e32 v3, v3, v7
	;; [unrolled: 2-line block ×4, first 2 shown]
	ds_bpermute_b32 v1, v10, v2
	ds_bpermute_b32 v7, v10, v3
	;; [unrolled: 1-line block ×4, first 2 shown]
	v_xor_b32_e32 v10, 1, v0
	v_cmp_gt_i32_e32 vcc_lo, 32, v10
	v_cndmask_b32_e32 v0, v0, v10, vcc_lo
	v_cmp_eq_u32_e32 vcc_lo, 31, v21
	v_lshlrev_b32_e32 v10, 2, v0
	s_waitcnt lgkmcnt(3)
	v_add_f32_e32 v0, v2, v1
	s_waitcnt lgkmcnt(2)
	v_add_f32_e32 v1, v3, v7
	;; [unrolled: 2-line block ×4, first 2 shown]
	ds_bpermute_b32 v5, v10, v0
	ds_bpermute_b32 v6, v10, v1
	;; [unrolled: 1-line block ×4, first 2 shown]
	s_and_b32 exec_lo, exec_lo, vcc_lo
	s_cbranch_execz .LBB23_10
; %bb.38:
	s_load_dwordx2 s[0:1], s[4:5], 0x50
	s_waitcnt lgkmcnt(0)
	v_add_f32_e32 v0, v0, v5
	v_add_f32_e32 v1, v1, v6
	;; [unrolled: 1-line block ×4, first 2 shown]
	v_cmp_eq_f32_e64 s4, s2, 0
	v_mul_f32_e32 v0, s16, v0
	v_mul_f32_e32 v1, s16, v1
	;; [unrolled: 1-line block ×4, first 2 shown]
	v_lshlrev_b32_e32 v4, 2, v4
	s_and_b32 vcc_lo, exec_lo, s4
	s_cbranch_vccz .LBB23_40
; %bb.39:
	v_ashrrev_i32_e32 v5, 31, v4
	s_mov_b32 s3, 0
	v_lshlrev_b64 v[5:6], 2, v[4:5]
	v_add_co_u32 v5, vcc_lo, s0, v5
	v_add_co_ci_u32_e64 v6, null, s1, v6, vcc_lo
	global_store_dwordx4 v[5:6], v[0:3], off
.LBB23_40:
	s_andn2_b32 vcc_lo, exec_lo, s3
	s_cbranch_vccnz .LBB23_10
; %bb.41:
	v_ashrrev_i32_e32 v5, 31, v4
	v_lshlrev_b64 v[4:5], 2, v[4:5]
	v_add_co_u32 v8, vcc_lo, s0, v4
	v_add_co_ci_u32_e64 v9, null, s1, v5, vcc_lo
	global_load_dwordx4 v[4:7], v[8:9], off
	s_waitcnt vmcnt(0)
	v_fmac_f32_e32 v0, s2, v4
	v_fmac_f32_e32 v1, s2, v5
	v_fmac_f32_e32 v2, s2, v6
	v_fmac_f32_e32 v3, s2, v7
	global_store_dwordx4 v[8:9], v[0:3], off
	s_endpgm
	.section	.rodata,"a",@progbits
	.p2align	6, 0x0
	.amdhsa_kernel _ZN9rocsparseL18bsrxmvn_4x4_kernelILj128ELj32EflifffEEvT3_20rocsparse_direction_NS_24const_host_device_scalarIT1_EES1_PKS1_PKT2_SA_S7_PKT4_PKT5_S5_PT6_21rocsparse_index_base_b
		.amdhsa_group_segment_fixed_size 0
		.amdhsa_private_segment_fixed_size 0
		.amdhsa_kernarg_size 96
		.amdhsa_user_sgpr_count 6
		.amdhsa_user_sgpr_private_segment_buffer 1
		.amdhsa_user_sgpr_dispatch_ptr 0
		.amdhsa_user_sgpr_queue_ptr 0
		.amdhsa_user_sgpr_kernarg_segment_ptr 1
		.amdhsa_user_sgpr_dispatch_id 0
		.amdhsa_user_sgpr_flat_scratch_init 0
		.amdhsa_user_sgpr_private_segment_size 0
		.amdhsa_wavefront_size32 1
		.amdhsa_uses_dynamic_stack 0
		.amdhsa_system_sgpr_private_segment_wavefront_offset 0
		.amdhsa_system_sgpr_workgroup_id_x 1
		.amdhsa_system_sgpr_workgroup_id_y 0
		.amdhsa_system_sgpr_workgroup_id_z 0
		.amdhsa_system_sgpr_workgroup_info 0
		.amdhsa_system_vgpr_workitem_id 0
		.amdhsa_next_free_vgpr 68
		.amdhsa_next_free_sgpr 20
		.amdhsa_reserve_vcc 1
		.amdhsa_reserve_flat_scratch 0
		.amdhsa_float_round_mode_32 0
		.amdhsa_float_round_mode_16_64 0
		.amdhsa_float_denorm_mode_32 3
		.amdhsa_float_denorm_mode_16_64 3
		.amdhsa_dx10_clamp 1
		.amdhsa_ieee_mode 1
		.amdhsa_fp16_overflow 0
		.amdhsa_workgroup_processor_mode 1
		.amdhsa_memory_ordered 1
		.amdhsa_forward_progress 1
		.amdhsa_shared_vgpr_count 0
		.amdhsa_exception_fp_ieee_invalid_op 0
		.amdhsa_exception_fp_denorm_src 0
		.amdhsa_exception_fp_ieee_div_zero 0
		.amdhsa_exception_fp_ieee_overflow 0
		.amdhsa_exception_fp_ieee_underflow 0
		.amdhsa_exception_fp_ieee_inexact 0
		.amdhsa_exception_int_div_zero 0
	.end_amdhsa_kernel
	.section	.text._ZN9rocsparseL18bsrxmvn_4x4_kernelILj128ELj32EflifffEEvT3_20rocsparse_direction_NS_24const_host_device_scalarIT1_EES1_PKS1_PKT2_SA_S7_PKT4_PKT5_S5_PT6_21rocsparse_index_base_b,"axG",@progbits,_ZN9rocsparseL18bsrxmvn_4x4_kernelILj128ELj32EflifffEEvT3_20rocsparse_direction_NS_24const_host_device_scalarIT1_EES1_PKS1_PKT2_SA_S7_PKT4_PKT5_S5_PT6_21rocsparse_index_base_b,comdat
.Lfunc_end23:
	.size	_ZN9rocsparseL18bsrxmvn_4x4_kernelILj128ELj32EflifffEEvT3_20rocsparse_direction_NS_24const_host_device_scalarIT1_EES1_PKS1_PKT2_SA_S7_PKT4_PKT5_S5_PT6_21rocsparse_index_base_b, .Lfunc_end23-_ZN9rocsparseL18bsrxmvn_4x4_kernelILj128ELj32EflifffEEvT3_20rocsparse_direction_NS_24const_host_device_scalarIT1_EES1_PKS1_PKT2_SA_S7_PKT4_PKT5_S5_PT6_21rocsparse_index_base_b
                                        ; -- End function
	.set _ZN9rocsparseL18bsrxmvn_4x4_kernelILj128ELj32EflifffEEvT3_20rocsparse_direction_NS_24const_host_device_scalarIT1_EES1_PKS1_PKT2_SA_S7_PKT4_PKT5_S5_PT6_21rocsparse_index_base_b.num_vgpr, 68
	.set _ZN9rocsparseL18bsrxmvn_4x4_kernelILj128ELj32EflifffEEvT3_20rocsparse_direction_NS_24const_host_device_scalarIT1_EES1_PKS1_PKT2_SA_S7_PKT4_PKT5_S5_PT6_21rocsparse_index_base_b.num_agpr, 0
	.set _ZN9rocsparseL18bsrxmvn_4x4_kernelILj128ELj32EflifffEEvT3_20rocsparse_direction_NS_24const_host_device_scalarIT1_EES1_PKS1_PKT2_SA_S7_PKT4_PKT5_S5_PT6_21rocsparse_index_base_b.numbered_sgpr, 20
	.set _ZN9rocsparseL18bsrxmvn_4x4_kernelILj128ELj32EflifffEEvT3_20rocsparse_direction_NS_24const_host_device_scalarIT1_EES1_PKS1_PKT2_SA_S7_PKT4_PKT5_S5_PT6_21rocsparse_index_base_b.num_named_barrier, 0
	.set _ZN9rocsparseL18bsrxmvn_4x4_kernelILj128ELj32EflifffEEvT3_20rocsparse_direction_NS_24const_host_device_scalarIT1_EES1_PKS1_PKT2_SA_S7_PKT4_PKT5_S5_PT6_21rocsparse_index_base_b.private_seg_size, 0
	.set _ZN9rocsparseL18bsrxmvn_4x4_kernelILj128ELj32EflifffEEvT3_20rocsparse_direction_NS_24const_host_device_scalarIT1_EES1_PKS1_PKT2_SA_S7_PKT4_PKT5_S5_PT6_21rocsparse_index_base_b.uses_vcc, 1
	.set _ZN9rocsparseL18bsrxmvn_4x4_kernelILj128ELj32EflifffEEvT3_20rocsparse_direction_NS_24const_host_device_scalarIT1_EES1_PKS1_PKT2_SA_S7_PKT4_PKT5_S5_PT6_21rocsparse_index_base_b.uses_flat_scratch, 0
	.set _ZN9rocsparseL18bsrxmvn_4x4_kernelILj128ELj32EflifffEEvT3_20rocsparse_direction_NS_24const_host_device_scalarIT1_EES1_PKS1_PKT2_SA_S7_PKT4_PKT5_S5_PT6_21rocsparse_index_base_b.has_dyn_sized_stack, 0
	.set _ZN9rocsparseL18bsrxmvn_4x4_kernelILj128ELj32EflifffEEvT3_20rocsparse_direction_NS_24const_host_device_scalarIT1_EES1_PKS1_PKT2_SA_S7_PKT4_PKT5_S5_PT6_21rocsparse_index_base_b.has_recursion, 0
	.set _ZN9rocsparseL18bsrxmvn_4x4_kernelILj128ELj32EflifffEEvT3_20rocsparse_direction_NS_24const_host_device_scalarIT1_EES1_PKS1_PKT2_SA_S7_PKT4_PKT5_S5_PT6_21rocsparse_index_base_b.has_indirect_call, 0
	.section	.AMDGPU.csdata,"",@progbits
; Kernel info:
; codeLenInByte = 3864
; TotalNumSgprs: 22
; NumVgprs: 68
; ScratchSize: 0
; MemoryBound: 0
; FloatMode: 240
; IeeeMode: 1
; LDSByteSize: 0 bytes/workgroup (compile time only)
; SGPRBlocks: 0
; VGPRBlocks: 8
; NumSGPRsForWavesPerEU: 22
; NumVGPRsForWavesPerEU: 68
; Occupancy: 12
; WaveLimiterHint : 1
; COMPUTE_PGM_RSRC2:SCRATCH_EN: 0
; COMPUTE_PGM_RSRC2:USER_SGPR: 6
; COMPUTE_PGM_RSRC2:TRAP_HANDLER: 0
; COMPUTE_PGM_RSRC2:TGID_X_EN: 1
; COMPUTE_PGM_RSRC2:TGID_Y_EN: 0
; COMPUTE_PGM_RSRC2:TGID_Z_EN: 0
; COMPUTE_PGM_RSRC2:TIDIG_COMP_CNT: 0
	.section	.text._ZN9rocsparseL18bsrxmvn_4x4_kernelILj128ELj64EflifffEEvT3_20rocsparse_direction_NS_24const_host_device_scalarIT1_EES1_PKS1_PKT2_SA_S7_PKT4_PKT5_S5_PT6_21rocsparse_index_base_b,"axG",@progbits,_ZN9rocsparseL18bsrxmvn_4x4_kernelILj128ELj64EflifffEEvT3_20rocsparse_direction_NS_24const_host_device_scalarIT1_EES1_PKS1_PKT2_SA_S7_PKT4_PKT5_S5_PT6_21rocsparse_index_base_b,comdat
	.globl	_ZN9rocsparseL18bsrxmvn_4x4_kernelILj128ELj64EflifffEEvT3_20rocsparse_direction_NS_24const_host_device_scalarIT1_EES1_PKS1_PKT2_SA_S7_PKT4_PKT5_S5_PT6_21rocsparse_index_base_b ; -- Begin function _ZN9rocsparseL18bsrxmvn_4x4_kernelILj128ELj64EflifffEEvT3_20rocsparse_direction_NS_24const_host_device_scalarIT1_EES1_PKS1_PKT2_SA_S7_PKT4_PKT5_S5_PT6_21rocsparse_index_base_b
	.p2align	8
	.type	_ZN9rocsparseL18bsrxmvn_4x4_kernelILj128ELj64EflifffEEvT3_20rocsparse_direction_NS_24const_host_device_scalarIT1_EES1_PKS1_PKT2_SA_S7_PKT4_PKT5_S5_PT6_21rocsparse_index_base_b,@function
_ZN9rocsparseL18bsrxmvn_4x4_kernelILj128ELj64EflifffEEvT3_20rocsparse_direction_NS_24const_host_device_scalarIT1_EES1_PKS1_PKT2_SA_S7_PKT4_PKT5_S5_PT6_21rocsparse_index_base_b: ; @_ZN9rocsparseL18bsrxmvn_4x4_kernelILj128ELj64EflifffEEvT3_20rocsparse_direction_NS_24const_host_device_scalarIT1_EES1_PKS1_PKT2_SA_S7_PKT4_PKT5_S5_PT6_21rocsparse_index_base_b
; %bb.0:
	s_clause 0x2
	s_load_dwordx2 s[18:19], s[4:5], 0x58
	s_load_dwordx2 s[16:17], s[4:5], 0x8
	;; [unrolled: 1-line block ×3, first 2 shown]
	s_waitcnt lgkmcnt(0)
	s_bitcmp1_b32 s19, 0
	s_cselect_b32 s0, -1, 0
	s_and_b32 vcc_lo, exec_lo, s0
	s_xor_b32 s0, s0, -1
	s_cbranch_vccnz .LBB24_2
; %bb.1:
	s_load_dword s16, s[16:17], 0x0
.LBB24_2:
	s_andn2_b32 vcc_lo, exec_lo, s0
	s_cbranch_vccnz .LBB24_4
; %bb.3:
	s_load_dword s2, s[2:3], 0x0
.LBB24_4:
	s_waitcnt lgkmcnt(0)
	v_cmp_neq_f32_e64 s0, s16, 0
	v_cmp_neq_f32_e64 s1, s2, 1.0
	s_mov_b32 s3, 0
	s_or_b32 s0, s0, s1
	s_andn2_b32 vcc_lo, exec_lo, s0
	s_cbranch_vccnz .LBB24_10
; %bb.5:
	s_clause 0x1
	s_load_dwordx2 s[8:9], s[4:5], 0x18
	s_load_dwordx2 s[0:1], s[4:5], 0x0
	v_lshrrev_b32_e32 v1, 6, v0
	v_lshl_or_b32 v4, s6, 1, v1
	s_waitcnt lgkmcnt(0)
	s_cmp_lg_u64 s[8:9], 0
	s_cbranch_scc0 .LBB24_11
; %bb.6:
	s_load_dword s3, s[4:5], 0x10
	s_mov_b32 s6, 0
                                        ; implicit-def: $vgpr1
	s_waitcnt lgkmcnt(0)
	v_cmp_gt_i32_e32 vcc_lo, s3, v4
	s_mov_b32 s3, 0
	s_and_saveexec_b32 s7, vcc_lo
	s_xor_b32 s7, exec_lo, s7
	s_cbranch_execz .LBB24_8
; %bb.7:
	v_ashrrev_i32_e32 v5, 31, v4
	s_mov_b32 s3, exec_lo
	v_lshlrev_b64 v[1:2], 2, v[4:5]
	v_add_co_u32 v1, vcc_lo, s8, v1
	v_add_co_ci_u32_e64 v2, null, s9, v2, vcc_lo
	global_load_dword v1, v[1:2], off
	s_waitcnt vmcnt(0)
	v_subrev_nc_u32_e32 v1, s18, v1
.LBB24_8:
	s_or_b32 exec_lo, exec_lo, s7
	s_and_b32 vcc_lo, exec_lo, s6
	s_cbranch_vccz .LBB24_12
.LBB24_9:
	v_cmp_gt_i32_e32 vcc_lo, s0, v4
	s_andn2_b32 s0, s3, exec_lo
	s_and_b32 s3, vcc_lo, exec_lo
	s_or_b32 s3, s0, s3
	s_and_saveexec_b32 s0, s3
	s_cbranch_execnz .LBB24_13
.LBB24_10:
	s_endpgm
.LBB24_11:
                                        ; implicit-def: $vgpr1
	s_cbranch_execnz .LBB24_9
.LBB24_12:
	v_mov_b32_e32 v4, v1
	s_and_saveexec_b32 s0, s3
	s_cbranch_execz .LBB24_10
.LBB24_13:
	s_load_dwordx8 s[8:15], s[4:5], 0x20
	v_ashrrev_i32_e32 v5, 31, v4
	v_and_b32_e32 v21, 63, v0
	s_load_dwordx2 s[6:7], s[4:5], 0x40
	v_mov_b32_e32 v22, 0
	v_lshlrev_b64 v[1:2], 3, v[4:5]
	s_waitcnt lgkmcnt(0)
	v_add_co_u32 v5, vcc_lo, s8, v1
	v_add_co_ci_u32_e64 v6, null, s9, v2, vcc_lo
	v_add_co_u32 v1, vcc_lo, s10, v1
	v_add_co_ci_u32_e64 v2, null, s11, v2, vcc_lo
	v_add_co_u32 v3, vcc_lo, v5, 8
	global_load_dwordx2 v[9:10], v[5:6], off
	v_add_co_ci_u32_e64 v7, null, 0, v6, vcc_lo
	s_cmp_eq_u64 s[10:11], 0
	s_cselect_b32 vcc_lo, -1, 0
	s_cmp_eq_u32 s1, 1
	v_cndmask_b32_e32 v2, v2, v7, vcc_lo
	v_cndmask_b32_e32 v1, v1, v3, vcc_lo
	global_load_dwordx2 v[2:3], v[1:2], off
	s_waitcnt vmcnt(1)
	v_sub_co_u32 v0, vcc_lo, v9, s18
	v_subrev_co_ci_u32_e64 v1, null, 0, v10, vcc_lo
	v_add_co_u32 v0, vcc_lo, v0, v21
	v_add_co_ci_u32_e64 v1, null, 0, v1, vcc_lo
	v_lshlrev_b64 v[5:6], 6, v[0:1]
	s_waitcnt vmcnt(0)
	v_sub_co_u32 v2, vcc_lo, v2, s18
	v_subrev_co_ci_u32_e64 v3, null, 0, v3, vcc_lo
	v_add_co_u32 v5, vcc_lo, s14, v5
	v_cmp_lt_i64_e64 s0, v[0:1], v[2:3]
	v_add_co_ci_u32_e64 v6, null, s15, v6, vcc_lo
	s_cbranch_scc1 .LBB24_25
; %bb.14:
	v_mov_b32_e32 v23, 0
	v_mov_b32_e32 v24, 0
	;; [unrolled: 1-line block ×3, first 2 shown]
	s_and_saveexec_b32 s3, s0
	s_cbranch_execz .LBB24_24
; %bb.15:
	v_or_b32_e32 v7, 64, v21
	v_not_b32_e32 v12, v9
	v_not_b32_e32 v11, v10
	v_sub_co_u32 v7, s1, v7, s18
	v_sub_co_ci_u32_e64 v8, null, 0, 0, s1
	v_sub_co_u32 v13, s1, s18, v21
	v_add_co_u32 v7, vcc_lo, v7, v9
	v_add_co_ci_u32_e64 v8, null, v8, v10, vcc_lo
	v_sub_co_ci_u32_e64 v14, null, 0, 0, s1
	s_mov_b32 s1, exec_lo
	v_cmp_gt_i64_e32 vcc_lo, v[7:8], v[2:3]
	v_cndmask_b32_e32 v16, v3, v8, vcc_lo
	v_cndmask_b32_e32 v7, v2, v7, vcc_lo
	v_add_co_u32 v8, vcc_lo, v13, v12
	v_add_co_ci_u32_e64 v11, null, v14, v11, vcc_lo
	v_mov_b32_e32 v14, v6
	v_add_co_u32 v15, vcc_lo, v8, v7
	v_mov_b32_e32 v8, 0
	v_add_co_ci_u32_e64 v16, null, v11, v16, vcc_lo
	v_mov_b32_e32 v12, v1
	v_and_b32_e32 v7, 0xc0, v15
	v_mov_b32_e32 v24, v8
	v_mov_b32_e32 v23, v8
	v_mov_b32_e32 v22, v8
	v_mov_b32_e32 v11, v0
	v_mov_b32_e32 v13, v5
	v_cmpx_ne_u64_e32 0xc0, v[7:8]
	s_cbranch_execz .LBB24_19
; %bb.16:
	v_lshrrev_b32_e32 v7, 6, v15
	v_mov_b32_e32 v14, v6
	v_mov_b32_e32 v12, v1
	;; [unrolled: 1-line block ×4, first 2 shown]
	v_add_nc_u32_e32 v17, 1, v7
	v_lshlrev_b64 v[7:8], 2, v[0:1]
	v_mov_b32_e32 v11, v0
	v_mov_b32_e32 v23, 0
	;; [unrolled: 1-line block ×3, first 2 shown]
	v_and_b32_e32 v19, 3, v17
	v_add_co_u32 v17, vcc_lo, s12, v7
	v_add_co_ci_u32_e64 v18, null, s13, v8, vcc_lo
	v_sub_co_u32 v19, s8, 0, v19
	v_sub_co_ci_u32_e64 v20, null, 0, 0, s8
	v_mov_b32_e32 v8, 0
	s_mov_b32 s8, 0
.LBB24_17:                              ; =>This Inner Loop Header: Depth=1
	global_load_dword v7, v[17:18], off
	s_clause 0x3
	global_load_dwordx4 v[25:28], v[13:14], off offset:48
	global_load_dwordx4 v[29:32], v[13:14], off offset:32
	;; [unrolled: 1-line block ×3, first 2 shown]
	global_load_dwordx4 v[37:40], v[13:14], off
	s_waitcnt vmcnt(4)
	v_subrev_nc_u32_e32 v7, s18, v7
	v_lshlrev_b32_e32 v41, 2, v7
	v_ashrrev_i32_e32 v42, 31, v41
	v_lshlrev_b64 v[41:42], 2, v[41:42]
	v_add_co_u32 v41, vcc_lo, s6, v41
	v_add_co_ci_u32_e64 v42, null, s7, v42, vcc_lo
	v_add_co_u32 v13, vcc_lo, 0x1000, v13
	v_add_co_ci_u32_e64 v14, null, 0, v14, vcc_lo
	global_load_dwordx4 v[41:44], v[41:42], off
	v_add_co_u32 v11, vcc_lo, v11, 64
	v_add_co_ci_u32_e64 v12, null, 0, v12, vcc_lo
	v_add_co_u32 v17, vcc_lo, 0x100, v17
	v_add_co_ci_u32_e64 v18, null, 0, v18, vcc_lo
	;; [unrolled: 2-line block ×3, first 2 shown]
	v_cmp_eq_u64_e32 vcc_lo, 0, v[19:20]
	s_or_b32 s8, vcc_lo, s8
	s_waitcnt vmcnt(0)
	v_fmac_f32_e32 v8, v37, v41
	v_fmac_f32_e32 v24, v33, v41
	;; [unrolled: 1-line block ×16, first 2 shown]
	s_andn2_b32 exec_lo, exec_lo, s8
	s_cbranch_execnz .LBB24_17
; %bb.18:
	s_or_b32 exec_lo, exec_lo, s8
.LBB24_19:
	s_or_b32 exec_lo, exec_lo, s1
	s_mov_b32 s8, exec_lo
	v_cmpx_lt_u64_e32 0xbf, v[15:16]
	s_cbranch_execz .LBB24_23
; %bb.20:
	v_lshlrev_b64 v[15:16], 2, v[11:12]
	s_mov_b32 s9, 0
	v_add_co_u32 v7, vcc_lo, s12, v15
	v_add_co_ci_u32_e64 v16, null, s13, v16, vcc_lo
	v_add_co_u32 v15, vcc_lo, 0x200, v7
	v_add_co_ci_u32_e64 v16, null, 0, v16, vcc_lo
.LBB24_21:                              ; =>This Inner Loop Header: Depth=1
	global_load_dword v7, v[15:16], off offset:-512
	s_clause 0x3
	global_load_dwordx4 v[17:20], v[13:14], off offset:48
	global_load_dwordx4 v[25:28], v[13:14], off offset:32
	;; [unrolled: 1-line block ×3, first 2 shown]
	global_load_dwordx4 v[33:36], v[13:14], off
	s_clause 0x2
	global_load_dword v65, v[15:16], off offset:-256
	global_load_dword v66, v[15:16], off
	global_load_dword v67, v[15:16], off offset:256
	v_add_co_u32 v49, vcc_lo, 0x1000, v13
	v_add_co_ci_u32_e64 v50, null, 0, v14, vcc_lo
	v_add_co_u32 v61, vcc_lo, 0x2000, v13
	v_add_co_ci_u32_e64 v62, null, 0, v14, vcc_lo
	;; [unrolled: 2-line block ×3, first 2 shown]
	s_clause 0x4
	global_load_dwordx4 v[37:40], v[49:50], off offset:48
	global_load_dwordx4 v[41:44], v[49:50], off offset:32
	global_load_dwordx4 v[45:48], v[49:50], off
	global_load_dwordx4 v[49:52], v[49:50], off offset:16
	global_load_dwordx4 v[53:56], v[61:62], off
	v_add_co_u32 v11, s1, 0x100, v11
	v_add_co_ci_u32_e64 v12, null, 0, v12, s1
	v_add_co_u32 v15, s1, 0x400, v15
	v_add_co_ci_u32_e64 v16, null, 0, v16, s1
	s_waitcnt vmcnt(12)
	v_subrev_nc_u32_e32 v7, s18, v7
	v_lshlrev_b32_e32 v57, 2, v7
	s_waitcnt vmcnt(7)
	v_subrev_nc_u32_e32 v7, s18, v65
	v_ashrrev_i32_e32 v58, 31, v57
	v_lshlrev_b64 v[57:58], 2, v[57:58]
	v_add_co_u32 v57, vcc_lo, s6, v57
	v_add_co_ci_u32_e64 v58, null, s7, v58, vcc_lo
	global_load_dwordx4 v[57:60], v[57:58], off
	s_waitcnt vmcnt(0)
	v_fmac_f32_e32 v8, v33, v57
	v_fmac_f32_e32 v24, v29, v57
	;; [unrolled: 1-line block ×4, first 2 shown]
	v_lshlrev_b32_e32 v57, 2, v7
	v_fmac_f32_e32 v8, v34, v58
	v_fmac_f32_e32 v24, v30, v58
	;; [unrolled: 1-line block ×4, first 2 shown]
	v_ashrrev_i32_e32 v58, 31, v57
	v_fmac_f32_e32 v8, v35, v59
	v_fmac_f32_e32 v24, v31, v59
	;; [unrolled: 1-line block ×4, first 2 shown]
	v_lshlrev_b64 v[57:58], 2, v[57:58]
	v_fmac_f32_e32 v8, v36, v60
	v_fmac_f32_e32 v24, v32, v60
	;; [unrolled: 1-line block ×4, first 2 shown]
	v_subrev_nc_u32_e32 v7, s18, v66
	v_add_co_u32 v57, vcc_lo, s6, v57
	v_add_co_ci_u32_e64 v58, null, s7, v58, vcc_lo
	v_subrev_nc_u32_e32 v66, s18, v67
	v_lshlrev_b32_e32 v65, 2, v7
	global_load_dwordx4 v[33:36], v[61:62], off offset:48
	global_load_dwordx4 v[57:60], v[57:58], off
	s_clause 0x2
	global_load_dwordx4 v[29:32], v[61:62], off offset:32
	global_load_dwordx4 v[25:28], v[61:62], off offset:16
	;; [unrolled: 1-line block ×3, first 2 shown]
	s_waitcnt vmcnt(3)
	v_fmac_f32_e32 v23, v41, v57
	v_lshlrev_b32_e32 v41, 2, v66
	v_ashrrev_i32_e32 v66, 31, v65
	v_fmac_f32_e32 v8, v45, v57
	v_fmac_f32_e32 v24, v49, v57
	;; [unrolled: 1-line block ×3, first 2 shown]
	v_ashrrev_i32_e32 v42, 31, v41
	v_fmac_f32_e32 v22, v37, v57
	v_fmac_f32_e32 v8, v46, v58
	v_fmac_f32_e32 v24, v50, v58
	v_fmac_f32_e32 v23, v43, v59
	v_lshlrev_b64 v[41:42], 2, v[41:42]
	v_fmac_f32_e32 v22, v38, v58
	v_fmac_f32_e32 v8, v47, v59
	;; [unrolled: 1-line block ×4, first 2 shown]
	v_lshlrev_b64 v[43:44], 2, v[65:66]
	v_fmac_f32_e32 v22, v39, v59
	v_fmac_f32_e32 v8, v48, v60
	global_load_dwordx4 v[45:48], v[63:64], off offset:32
	v_fmac_f32_e32 v24, v52, v60
	s_clause 0x1
	global_load_dwordx4 v[49:52], v[63:64], off
	global_load_dwordx4 v[61:64], v[63:64], off offset:16
	v_add_co_u32 v43, vcc_lo, s6, v43
	v_add_co_ci_u32_e64 v44, null, s7, v44, vcc_lo
	v_add_co_u32 v65, vcc_lo, s6, v41
	v_add_co_ci_u32_e64 v66, null, s7, v42, vcc_lo
	global_load_dwordx4 v[41:44], v[43:44], off
	v_fmac_f32_e32 v22, v40, v60
	v_add_co_u32 v13, vcc_lo, 0x4000, v13
	global_load_dwordx4 v[37:40], v[65:66], off
	v_add_co_ci_u32_e64 v14, null, 0, v14, vcc_lo
	v_cmp_ge_i64_e32 vcc_lo, v[11:12], v[2:3]
	s_or_b32 s9, vcc_lo, s9
	s_waitcnt vmcnt(1)
	v_fmac_f32_e32 v8, v53, v41
	v_fmac_f32_e32 v24, v25, v41
	;; [unrolled: 1-line block ×16, first 2 shown]
	s_waitcnt vmcnt(0)
	v_fmac_f32_e32 v8, v49, v37
	v_fmac_f32_e32 v24, v61, v37
	;; [unrolled: 1-line block ×16, first 2 shown]
	s_andn2_b32 exec_lo, exec_lo, s9
	s_cbranch_execnz .LBB24_21
; %bb.22:
	s_or_b32 exec_lo, exec_lo, s9
.LBB24_23:
	s_or_b32 exec_lo, exec_lo, s8
.LBB24_24:
	s_or_b32 exec_lo, exec_lo, s3
	s_cbranch_execz .LBB24_26
	s_branch .LBB24_37
.LBB24_25:
                                        ; implicit-def: $vgpr22
                                        ; implicit-def: $vgpr23
                                        ; implicit-def: $vgpr24
                                        ; implicit-def: $vgpr8
.LBB24_26:
	v_mov_b32_e32 v22, 0
	v_mov_b32_e32 v23, 0
	;; [unrolled: 1-line block ×4, first 2 shown]
	s_and_saveexec_b32 s1, s0
	s_cbranch_execz .LBB24_36
; %bb.27:
	v_or_b32_e32 v7, 64, v21
	v_sub_co_u32 v7, s0, v7, s18
	v_sub_co_ci_u32_e64 v8, null, 0, 0, s0
	v_sub_co_u32 v11, s0, s18, v21
	v_add_co_u32 v7, vcc_lo, v7, v9
	v_add_co_ci_u32_e64 v8, null, v8, v10, vcc_lo
	v_not_b32_e32 v9, v9
	v_not_b32_e32 v10, v10
	v_sub_co_ci_u32_e64 v12, null, 0, 0, s0
	v_cmp_gt_i64_e32 vcc_lo, v[7:8], v[2:3]
	s_mov_b32 s0, exec_lo
	v_cndmask_b32_e32 v13, v3, v8, vcc_lo
	v_cndmask_b32_e32 v7, v2, v7, vcc_lo
	v_add_co_u32 v8, vcc_lo, v11, v9
	v_add_co_ci_u32_e64 v10, null, v12, v10, vcc_lo
	v_add_co_u32 v9, vcc_lo, v8, v7
	v_mov_b32_e32 v8, 0
	v_add_co_ci_u32_e64 v10, null, v10, v13, vcc_lo
	v_and_b32_e32 v7, 0xc0, v9
	v_mov_b32_e32 v24, v8
	v_mov_b32_e32 v23, v8
	;; [unrolled: 1-line block ×3, first 2 shown]
	v_cmpx_ne_u64_e32 0xc0, v[7:8]
	s_cbranch_execz .LBB24_31
; %bb.28:
	v_lshrrev_b32_e32 v7, 6, v9
	v_mov_b32_e32 v22, 0
	v_mov_b32_e32 v23, 0
	;; [unrolled: 1-line block ×3, first 2 shown]
	v_add_nc_u32_e32 v11, 1, v7
	v_lshlrev_b64 v[7:8], 2, v[0:1]
	v_and_b32_e32 v13, 3, v11
	v_add_co_u32 v11, vcc_lo, s12, v7
	v_add_co_ci_u32_e64 v12, null, s13, v8, vcc_lo
	v_sub_co_u32 v13, s3, 0, v13
	v_sub_co_ci_u32_e64 v14, null, 0, 0, s3
	v_mov_b32_e32 v8, 0
	s_mov_b32 s3, 0
.LBB24_29:                              ; =>This Inner Loop Header: Depth=1
	global_load_dword v7, v[11:12], off
	s_clause 0x1
	global_load_dwordx4 v[15:18], v[5:6], off offset:16
	global_load_dwordx4 v[25:28], v[5:6], off
	s_waitcnt vmcnt(2)
	v_subrev_nc_u32_e32 v7, s18, v7
	v_lshlrev_b32_e32 v19, 2, v7
	v_ashrrev_i32_e32 v20, 31, v19
	v_lshlrev_b64 v[19:20], 2, v[19:20]
	v_add_co_u32 v19, vcc_lo, s6, v19
	v_add_co_ci_u32_e64 v20, null, s7, v20, vcc_lo
	global_load_dwordx4 v[29:32], v[19:20], off
	s_clause 0x1
	global_load_dwordx4 v[33:36], v[5:6], off offset:32
	global_load_dwordx4 v[37:40], v[5:6], off offset:48
	v_add_co_u32 v5, vcc_lo, 0x1000, v5
	v_add_co_ci_u32_e64 v6, null, 0, v6, vcc_lo
	v_add_co_u32 v0, vcc_lo, v0, 64
	v_add_co_ci_u32_e64 v1, null, 0, v1, vcc_lo
	;; [unrolled: 2-line block ×4, first 2 shown]
	v_cmp_eq_u64_e32 vcc_lo, 0, v[13:14]
	s_or_b32 s3, vcc_lo, s3
	s_waitcnt vmcnt(2)
	v_fmac_f32_e32 v8, v25, v29
	v_fmac_f32_e32 v24, v26, v29
	v_fmac_f32_e32 v23, v27, v29
	v_fmac_f32_e32 v22, v28, v29
	v_fmac_f32_e32 v8, v15, v30
	v_fmac_f32_e32 v24, v16, v30
	v_fmac_f32_e32 v23, v17, v30
	v_fmac_f32_e32 v22, v18, v30
	s_waitcnt vmcnt(1)
	v_fmac_f32_e32 v8, v33, v31
	v_fmac_f32_e32 v24, v34, v31
	;; [unrolled: 1-line block ×4, first 2 shown]
	s_waitcnt vmcnt(0)
	v_fmac_f32_e32 v8, v37, v32
	v_fmac_f32_e32 v24, v38, v32
	;; [unrolled: 1-line block ×4, first 2 shown]
	s_andn2_b32 exec_lo, exec_lo, s3
	s_cbranch_execnz .LBB24_29
; %bb.30:
	s_or_b32 exec_lo, exec_lo, s3
.LBB24_31:
	s_or_b32 exec_lo, exec_lo, s0
	s_mov_b32 s0, exec_lo
	v_cmpx_lt_u64_e32 0xbf, v[9:10]
	s_cbranch_execz .LBB24_35
; %bb.32:
	v_lshlrev_b64 v[9:10], 2, v[0:1]
	s_mov_b32 s3, 0
	v_add_co_u32 v7, vcc_lo, s12, v9
	v_add_co_ci_u32_e64 v10, null, s13, v10, vcc_lo
	v_add_co_u32 v9, vcc_lo, 0x200, v7
	v_add_co_ci_u32_e64 v10, null, 0, v10, vcc_lo
.LBB24_33:                              ; =>This Inner Loop Header: Depth=1
	global_load_dword v7, v[9:10], off offset:-512
	s_clause 0x3
	global_load_dwordx4 v[11:14], v[5:6], off offset:48
	global_load_dwordx4 v[15:18], v[5:6], off offset:32
	;; [unrolled: 1-line block ×3, first 2 shown]
	global_load_dwordx4 v[29:32], v[5:6], off
	v_add_co_u32 v19, vcc_lo, 0x1000, v5
	v_add_co_ci_u32_e64 v20, null, 0, v6, vcc_lo
	v_add_co_u32 v57, vcc_lo, 0x2000, v5
	v_add_co_ci_u32_e64 v58, null, 0, v6, vcc_lo
	s_clause 0x2
	global_load_dword v59, v[9:10], off offset:-256
	global_load_dword v60, v[9:10], off
	global_load_dword v63, v[9:10], off offset:256
	s_clause 0x4
	global_load_dwordx4 v[33:36], v[19:20], off offset:48
	global_load_dwordx4 v[37:40], v[19:20], off offset:32
	global_load_dwordx4 v[41:44], v[19:20], off
	global_load_dwordx4 v[45:48], v[19:20], off offset:16
	global_load_dwordx4 v[49:52], v[57:58], off
	v_add_co_u32 v61, vcc_lo, 0x3000, v5
	v_add_co_ci_u32_e64 v62, null, 0, v6, vcc_lo
	s_waitcnt vmcnt(12)
	v_subrev_nc_u32_e32 v7, s18, v7
	v_lshlrev_b32_e32 v19, 2, v7
	v_ashrrev_i32_e32 v20, 31, v19
	s_waitcnt vmcnt(7)
	v_subrev_nc_u32_e32 v7, s18, v59
	s_waitcnt vmcnt(5)
	v_subrev_nc_u32_e32 v59, s18, v63
	v_lshlrev_b64 v[19:20], 2, v[19:20]
	v_add_co_u32 v19, vcc_lo, s6, v19
	v_add_co_ci_u32_e64 v20, null, s7, v20, vcc_lo
	global_load_dwordx4 v[53:56], v[19:20], off
	v_subrev_nc_u32_e32 v20, s18, v60
	v_lshlrev_b32_e32 v19, 2, v7
	s_waitcnt vmcnt(0)
	v_fmac_f32_e32 v8, v29, v53
	v_fmac_f32_e32 v24, v30, v53
	v_fmac_f32_e32 v23, v31, v53
	v_fmac_f32_e32 v22, v32, v53
	global_load_dwordx4 v[29:32], v[57:58], off offset:48
	v_fmac_f32_e32 v8, v25, v54
	v_fmac_f32_e32 v24, v26, v54
	v_fmac_f32_e32 v23, v27, v54
	v_fmac_f32_e32 v22, v28, v54
	global_load_dwordx4 v[25:28], v[57:58], off offset:32
	;; [unrolled: 5-line block ×3, first 2 shown]
	v_fmac_f32_e32 v8, v11, v56
	v_fmac_f32_e32 v24, v12, v56
	;; [unrolled: 1-line block ×4, first 2 shown]
	global_load_dwordx4 v[11:14], v[61:62], off
	v_lshlrev_b32_e32 v57, 2, v20
	v_ashrrev_i32_e32 v20, 31, v19
	v_ashrrev_i32_e32 v58, 31, v57
	v_lshlrev_b64 v[19:20], 2, v[19:20]
	v_add_co_u32 v19, vcc_lo, s6, v19
	v_add_co_ci_u32_e64 v20, null, s7, v20, vcc_lo
	global_load_dwordx4 v[53:56], v[19:20], off
	v_lshlrev_b64 v[19:20], 2, v[57:58]
	v_lshlrev_b32_e32 v57, 2, v59
	v_add_co_u32 v19, vcc_lo, s6, v19
	v_add_co_ci_u32_e64 v20, null, s7, v20, vcc_lo
	v_ashrrev_i32_e32 v58, 31, v57
	s_waitcnt vmcnt(0)
	v_fmac_f32_e32 v8, v41, v53
	v_fmac_f32_e32 v24, v42, v53
	;; [unrolled: 1-line block ×4, first 2 shown]
	global_load_dwordx4 v[41:44], v[19:20], off
	v_lshlrev_b64 v[19:20], 2, v[57:58]
	v_fmac_f32_e32 v8, v45, v54
	v_fmac_f32_e32 v24, v46, v54
	;; [unrolled: 1-line block ×4, first 2 shown]
	global_load_dwordx4 v[45:48], v[61:62], off offset:16
	v_add_co_u32 v19, vcc_lo, s6, v19
	v_add_co_ci_u32_e64 v20, null, s7, v20, vcc_lo
	v_fmac_f32_e32 v8, v37, v55
	v_fmac_f32_e32 v24, v38, v55
	;; [unrolled: 1-line block ×3, first 2 shown]
	global_load_dwordx4 v[57:60], v[19:20], off
	v_fmac_f32_e32 v22, v40, v55
	global_load_dwordx4 v[37:40], v[61:62], off offset:32
	v_fmac_f32_e32 v8, v33, v56
	v_fmac_f32_e32 v24, v34, v56
	;; [unrolled: 1-line block ×4, first 2 shown]
	global_load_dwordx4 v[33:36], v[61:62], off offset:48
	v_add_co_u32 v0, vcc_lo, 0x100, v0
	v_add_co_ci_u32_e64 v1, null, 0, v1, vcc_lo
	v_add_co_u32 v9, vcc_lo, 0x400, v9
	v_add_co_ci_u32_e64 v10, null, 0, v10, vcc_lo
	;; [unrolled: 2-line block ×3, first 2 shown]
	v_cmp_ge_i64_e32 vcc_lo, v[0:1], v[2:3]
	s_or_b32 s3, vcc_lo, s3
	s_waitcnt vmcnt(4)
	v_fmac_f32_e32 v8, v49, v41
	v_fmac_f32_e32 v24, v50, v41
	;; [unrolled: 1-line block ×16, first 2 shown]
	s_waitcnt vmcnt(2)
	v_fmac_f32_e32 v8, v11, v57
	v_fmac_f32_e32 v24, v12, v57
	v_fmac_f32_e32 v23, v13, v57
	v_fmac_f32_e32 v22, v14, v57
	v_fmac_f32_e32 v8, v45, v58
	v_fmac_f32_e32 v24, v46, v58
	v_fmac_f32_e32 v23, v47, v58
	v_fmac_f32_e32 v22, v48, v58
	s_waitcnt vmcnt(1)
	v_fmac_f32_e32 v8, v37, v59
	v_fmac_f32_e32 v24, v38, v59
	;; [unrolled: 1-line block ×4, first 2 shown]
	s_waitcnt vmcnt(0)
	v_fmac_f32_e32 v8, v33, v60
	v_fmac_f32_e32 v24, v34, v60
	;; [unrolled: 1-line block ×4, first 2 shown]
	s_andn2_b32 exec_lo, exec_lo, s3
	s_cbranch_execnz .LBB24_33
; %bb.34:
	s_or_b32 exec_lo, exec_lo, s3
.LBB24_35:
	s_or_b32 exec_lo, exec_lo, s0
.LBB24_36:
	s_or_b32 exec_lo, exec_lo, s1
.LBB24_37:
	v_mbcnt_lo_u32_b32 v0, -1, 0
	s_mov_b32 s3, -1
	v_or_b32_e32 v1, 32, v0
	v_xor_b32_e32 v6, 16, v0
	v_xor_b32_e32 v10, 8, v0
	v_cmp_gt_i32_e32 vcc_lo, 32, v1
	v_cndmask_b32_e32 v1, v0, v1, vcc_lo
	v_cmp_gt_i32_e32 vcc_lo, 32, v6
	v_lshlrev_b32_e32 v1, 2, v1
	v_cndmask_b32_e32 v6, v0, v6, vcc_lo
	v_cmp_gt_i32_e32 vcc_lo, 32, v10
	ds_bpermute_b32 v2, v1, v8
	ds_bpermute_b32 v3, v1, v24
	;; [unrolled: 1-line block ×4, first 2 shown]
	v_lshlrev_b32_e32 v6, 2, v6
	v_cndmask_b32_e32 v10, v0, v10, vcc_lo
	v_lshlrev_b32_e32 v10, 2, v10
	s_waitcnt lgkmcnt(3)
	v_add_f32_e32 v2, v8, v2
	s_waitcnt lgkmcnt(2)
	v_add_f32_e32 v3, v24, v3
	s_waitcnt lgkmcnt(1)
	v_add_f32_e32 v5, v23, v5
	s_waitcnt lgkmcnt(0)
	v_add_f32_e32 v1, v22, v1
	ds_bpermute_b32 v7, v6, v2
	ds_bpermute_b32 v8, v6, v3
	;; [unrolled: 1-line block ×4, first 2 shown]
	s_waitcnt lgkmcnt(3)
	v_add_f32_e32 v2, v2, v7
	s_waitcnt lgkmcnt(2)
	v_add_f32_e32 v3, v3, v8
	;; [unrolled: 2-line block ×4, first 2 shown]
	ds_bpermute_b32 v6, v10, v2
	ds_bpermute_b32 v7, v10, v3
	;; [unrolled: 1-line block ×4, first 2 shown]
	v_xor_b32_e32 v10, 4, v0
	v_cmp_gt_i32_e32 vcc_lo, 32, v10
	v_cndmask_b32_e32 v10, v0, v10, vcc_lo
	v_lshlrev_b32_e32 v10, 2, v10
	s_waitcnt lgkmcnt(3)
	v_add_f32_e32 v2, v2, v6
	s_waitcnt lgkmcnt(2)
	v_add_f32_e32 v3, v3, v7
	;; [unrolled: 2-line block ×4, first 2 shown]
	ds_bpermute_b32 v6, v10, v2
	ds_bpermute_b32 v7, v10, v3
	;; [unrolled: 1-line block ×4, first 2 shown]
	v_xor_b32_e32 v10, 2, v0
	v_cmp_gt_i32_e32 vcc_lo, 32, v10
	v_cndmask_b32_e32 v10, v0, v10, vcc_lo
	v_lshlrev_b32_e32 v10, 2, v10
	s_waitcnt lgkmcnt(3)
	v_add_f32_e32 v2, v2, v6
	s_waitcnt lgkmcnt(2)
	v_add_f32_e32 v3, v3, v7
	;; [unrolled: 2-line block ×4, first 2 shown]
	ds_bpermute_b32 v1, v10, v2
	ds_bpermute_b32 v7, v10, v3
	;; [unrolled: 1-line block ×4, first 2 shown]
	v_xor_b32_e32 v10, 1, v0
	v_cmp_gt_i32_e32 vcc_lo, 32, v10
	v_cndmask_b32_e32 v0, v0, v10, vcc_lo
	v_cmp_eq_u32_e32 vcc_lo, 63, v21
	v_lshlrev_b32_e32 v10, 2, v0
	s_waitcnt lgkmcnt(3)
	v_add_f32_e32 v0, v2, v1
	s_waitcnt lgkmcnt(2)
	v_add_f32_e32 v1, v3, v7
	;; [unrolled: 2-line block ×4, first 2 shown]
	ds_bpermute_b32 v5, v10, v0
	ds_bpermute_b32 v6, v10, v1
	;; [unrolled: 1-line block ×4, first 2 shown]
	s_and_b32 exec_lo, exec_lo, vcc_lo
	s_cbranch_execz .LBB24_10
; %bb.38:
	s_load_dwordx2 s[0:1], s[4:5], 0x50
	s_waitcnt lgkmcnt(0)
	v_add_f32_e32 v0, v0, v5
	v_add_f32_e32 v1, v1, v6
	;; [unrolled: 1-line block ×4, first 2 shown]
	v_cmp_eq_f32_e64 s4, s2, 0
	v_mul_f32_e32 v0, s16, v0
	v_mul_f32_e32 v1, s16, v1
	;; [unrolled: 1-line block ×4, first 2 shown]
	v_lshlrev_b32_e32 v4, 2, v4
	s_and_b32 vcc_lo, exec_lo, s4
	s_cbranch_vccz .LBB24_40
; %bb.39:
	v_ashrrev_i32_e32 v5, 31, v4
	s_mov_b32 s3, 0
	v_lshlrev_b64 v[5:6], 2, v[4:5]
	v_add_co_u32 v5, vcc_lo, s0, v5
	v_add_co_ci_u32_e64 v6, null, s1, v6, vcc_lo
	global_store_dwordx4 v[5:6], v[0:3], off
.LBB24_40:
	s_andn2_b32 vcc_lo, exec_lo, s3
	s_cbranch_vccnz .LBB24_10
; %bb.41:
	v_ashrrev_i32_e32 v5, 31, v4
	v_lshlrev_b64 v[4:5], 2, v[4:5]
	v_add_co_u32 v8, vcc_lo, s0, v4
	v_add_co_ci_u32_e64 v9, null, s1, v5, vcc_lo
	global_load_dwordx4 v[4:7], v[8:9], off
	s_waitcnt vmcnt(0)
	v_fmac_f32_e32 v0, s2, v4
	v_fmac_f32_e32 v1, s2, v5
	;; [unrolled: 1-line block ×4, first 2 shown]
	global_store_dwordx4 v[8:9], v[0:3], off
	s_endpgm
	.section	.rodata,"a",@progbits
	.p2align	6, 0x0
	.amdhsa_kernel _ZN9rocsparseL18bsrxmvn_4x4_kernelILj128ELj64EflifffEEvT3_20rocsparse_direction_NS_24const_host_device_scalarIT1_EES1_PKS1_PKT2_SA_S7_PKT4_PKT5_S5_PT6_21rocsparse_index_base_b
		.amdhsa_group_segment_fixed_size 0
		.amdhsa_private_segment_fixed_size 0
		.amdhsa_kernarg_size 96
		.amdhsa_user_sgpr_count 6
		.amdhsa_user_sgpr_private_segment_buffer 1
		.amdhsa_user_sgpr_dispatch_ptr 0
		.amdhsa_user_sgpr_queue_ptr 0
		.amdhsa_user_sgpr_kernarg_segment_ptr 1
		.amdhsa_user_sgpr_dispatch_id 0
		.amdhsa_user_sgpr_flat_scratch_init 0
		.amdhsa_user_sgpr_private_segment_size 0
		.amdhsa_wavefront_size32 1
		.amdhsa_uses_dynamic_stack 0
		.amdhsa_system_sgpr_private_segment_wavefront_offset 0
		.amdhsa_system_sgpr_workgroup_id_x 1
		.amdhsa_system_sgpr_workgroup_id_y 0
		.amdhsa_system_sgpr_workgroup_id_z 0
		.amdhsa_system_sgpr_workgroup_info 0
		.amdhsa_system_vgpr_workitem_id 0
		.amdhsa_next_free_vgpr 68
		.amdhsa_next_free_sgpr 20
		.amdhsa_reserve_vcc 1
		.amdhsa_reserve_flat_scratch 0
		.amdhsa_float_round_mode_32 0
		.amdhsa_float_round_mode_16_64 0
		.amdhsa_float_denorm_mode_32 3
		.amdhsa_float_denorm_mode_16_64 3
		.amdhsa_dx10_clamp 1
		.amdhsa_ieee_mode 1
		.amdhsa_fp16_overflow 0
		.amdhsa_workgroup_processor_mode 1
		.amdhsa_memory_ordered 1
		.amdhsa_forward_progress 1
		.amdhsa_shared_vgpr_count 0
		.amdhsa_exception_fp_ieee_invalid_op 0
		.amdhsa_exception_fp_denorm_src 0
		.amdhsa_exception_fp_ieee_div_zero 0
		.amdhsa_exception_fp_ieee_overflow 0
		.amdhsa_exception_fp_ieee_underflow 0
		.amdhsa_exception_fp_ieee_inexact 0
		.amdhsa_exception_int_div_zero 0
	.end_amdhsa_kernel
	.section	.text._ZN9rocsparseL18bsrxmvn_4x4_kernelILj128ELj64EflifffEEvT3_20rocsparse_direction_NS_24const_host_device_scalarIT1_EES1_PKS1_PKT2_SA_S7_PKT4_PKT5_S5_PT6_21rocsparse_index_base_b,"axG",@progbits,_ZN9rocsparseL18bsrxmvn_4x4_kernelILj128ELj64EflifffEEvT3_20rocsparse_direction_NS_24const_host_device_scalarIT1_EES1_PKS1_PKT2_SA_S7_PKT4_PKT5_S5_PT6_21rocsparse_index_base_b,comdat
.Lfunc_end24:
	.size	_ZN9rocsparseL18bsrxmvn_4x4_kernelILj128ELj64EflifffEEvT3_20rocsparse_direction_NS_24const_host_device_scalarIT1_EES1_PKS1_PKT2_SA_S7_PKT4_PKT5_S5_PT6_21rocsparse_index_base_b, .Lfunc_end24-_ZN9rocsparseL18bsrxmvn_4x4_kernelILj128ELj64EflifffEEvT3_20rocsparse_direction_NS_24const_host_device_scalarIT1_EES1_PKS1_PKT2_SA_S7_PKT4_PKT5_S5_PT6_21rocsparse_index_base_b
                                        ; -- End function
	.set _ZN9rocsparseL18bsrxmvn_4x4_kernelILj128ELj64EflifffEEvT3_20rocsparse_direction_NS_24const_host_device_scalarIT1_EES1_PKS1_PKT2_SA_S7_PKT4_PKT5_S5_PT6_21rocsparse_index_base_b.num_vgpr, 68
	.set _ZN9rocsparseL18bsrxmvn_4x4_kernelILj128ELj64EflifffEEvT3_20rocsparse_direction_NS_24const_host_device_scalarIT1_EES1_PKS1_PKT2_SA_S7_PKT4_PKT5_S5_PT6_21rocsparse_index_base_b.num_agpr, 0
	.set _ZN9rocsparseL18bsrxmvn_4x4_kernelILj128ELj64EflifffEEvT3_20rocsparse_direction_NS_24const_host_device_scalarIT1_EES1_PKS1_PKT2_SA_S7_PKT4_PKT5_S5_PT6_21rocsparse_index_base_b.numbered_sgpr, 20
	.set _ZN9rocsparseL18bsrxmvn_4x4_kernelILj128ELj64EflifffEEvT3_20rocsparse_direction_NS_24const_host_device_scalarIT1_EES1_PKS1_PKT2_SA_S7_PKT4_PKT5_S5_PT6_21rocsparse_index_base_b.num_named_barrier, 0
	.set _ZN9rocsparseL18bsrxmvn_4x4_kernelILj128ELj64EflifffEEvT3_20rocsparse_direction_NS_24const_host_device_scalarIT1_EES1_PKS1_PKT2_SA_S7_PKT4_PKT5_S5_PT6_21rocsparse_index_base_b.private_seg_size, 0
	.set _ZN9rocsparseL18bsrxmvn_4x4_kernelILj128ELj64EflifffEEvT3_20rocsparse_direction_NS_24const_host_device_scalarIT1_EES1_PKS1_PKT2_SA_S7_PKT4_PKT5_S5_PT6_21rocsparse_index_base_b.uses_vcc, 1
	.set _ZN9rocsparseL18bsrxmvn_4x4_kernelILj128ELj64EflifffEEvT3_20rocsparse_direction_NS_24const_host_device_scalarIT1_EES1_PKS1_PKT2_SA_S7_PKT4_PKT5_S5_PT6_21rocsparse_index_base_b.uses_flat_scratch, 0
	.set _ZN9rocsparseL18bsrxmvn_4x4_kernelILj128ELj64EflifffEEvT3_20rocsparse_direction_NS_24const_host_device_scalarIT1_EES1_PKS1_PKT2_SA_S7_PKT4_PKT5_S5_PT6_21rocsparse_index_base_b.has_dyn_sized_stack, 0
	.set _ZN9rocsparseL18bsrxmvn_4x4_kernelILj128ELj64EflifffEEvT3_20rocsparse_direction_NS_24const_host_device_scalarIT1_EES1_PKS1_PKT2_SA_S7_PKT4_PKT5_S5_PT6_21rocsparse_index_base_b.has_recursion, 0
	.set _ZN9rocsparseL18bsrxmvn_4x4_kernelILj128ELj64EflifffEEvT3_20rocsparse_direction_NS_24const_host_device_scalarIT1_EES1_PKS1_PKT2_SA_S7_PKT4_PKT5_S5_PT6_21rocsparse_index_base_b.has_indirect_call, 0
	.section	.AMDGPU.csdata,"",@progbits
; Kernel info:
; codeLenInByte = 3904
; TotalNumSgprs: 22
; NumVgprs: 68
; ScratchSize: 0
; MemoryBound: 0
; FloatMode: 240
; IeeeMode: 1
; LDSByteSize: 0 bytes/workgroup (compile time only)
; SGPRBlocks: 0
; VGPRBlocks: 8
; NumSGPRsForWavesPerEU: 22
; NumVGPRsForWavesPerEU: 68
; Occupancy: 12
; WaveLimiterHint : 1
; COMPUTE_PGM_RSRC2:SCRATCH_EN: 0
; COMPUTE_PGM_RSRC2:USER_SGPR: 6
; COMPUTE_PGM_RSRC2:TRAP_HANDLER: 0
; COMPUTE_PGM_RSRC2:TGID_X_EN: 1
; COMPUTE_PGM_RSRC2:TGID_Y_EN: 0
; COMPUTE_PGM_RSRC2:TGID_Z_EN: 0
; COMPUTE_PGM_RSRC2:TIDIG_COMP_CNT: 0
	.section	.text._ZN9rocsparseL18bsrxmvn_4x4_kernelILj128ELj4EdlidddEEvT3_20rocsparse_direction_NS_24const_host_device_scalarIT1_EES1_PKS1_PKT2_SA_S7_PKT4_PKT5_S5_PT6_21rocsparse_index_base_b,"axG",@progbits,_ZN9rocsparseL18bsrxmvn_4x4_kernelILj128ELj4EdlidddEEvT3_20rocsparse_direction_NS_24const_host_device_scalarIT1_EES1_PKS1_PKT2_SA_S7_PKT4_PKT5_S5_PT6_21rocsparse_index_base_b,comdat
	.globl	_ZN9rocsparseL18bsrxmvn_4x4_kernelILj128ELj4EdlidddEEvT3_20rocsparse_direction_NS_24const_host_device_scalarIT1_EES1_PKS1_PKT2_SA_S7_PKT4_PKT5_S5_PT6_21rocsparse_index_base_b ; -- Begin function _ZN9rocsparseL18bsrxmvn_4x4_kernelILj128ELj4EdlidddEEvT3_20rocsparse_direction_NS_24const_host_device_scalarIT1_EES1_PKS1_PKT2_SA_S7_PKT4_PKT5_S5_PT6_21rocsparse_index_base_b
	.p2align	8
	.type	_ZN9rocsparseL18bsrxmvn_4x4_kernelILj128ELj4EdlidddEEvT3_20rocsparse_direction_NS_24const_host_device_scalarIT1_EES1_PKS1_PKT2_SA_S7_PKT4_PKT5_S5_PT6_21rocsparse_index_base_b,@function
_ZN9rocsparseL18bsrxmvn_4x4_kernelILj128ELj4EdlidddEEvT3_20rocsparse_direction_NS_24const_host_device_scalarIT1_EES1_PKS1_PKT2_SA_S7_PKT4_PKT5_S5_PT6_21rocsparse_index_base_b: ; @_ZN9rocsparseL18bsrxmvn_4x4_kernelILj128ELj4EdlidddEEvT3_20rocsparse_direction_NS_24const_host_device_scalarIT1_EES1_PKS1_PKT2_SA_S7_PKT4_PKT5_S5_PT6_21rocsparse_index_base_b
; %bb.0:
	s_clause 0x2
	s_load_dwordx2 s[2:3], s[4:5], 0x58
	s_load_dwordx2 s[8:9], s[4:5], 0x8
	;; [unrolled: 1-line block ×3, first 2 shown]
	s_waitcnt lgkmcnt(0)
	s_bitcmp1_b32 s3, 0
	v_mov_b32_e32 v2, s8
	v_mov_b32_e32 v3, s9
	s_cselect_b32 s3, -1, 0
	s_and_b32 vcc_lo, exec_lo, s3
	s_xor_b32 s3, s3, -1
	s_cbranch_vccnz .LBB25_2
; %bb.1:
	v_mov_b32_e32 v1, s8
	v_mov_b32_e32 v2, s9
	flat_load_dwordx2 v[2:3], v[1:2]
.LBB25_2:
	v_mov_b32_e32 v9, s1
	v_mov_b32_e32 v8, s0
	s_andn2_b32 vcc_lo, exec_lo, s3
	s_cbranch_vccnz .LBB25_4
; %bb.3:
	v_mov_b32_e32 v5, s1
	v_mov_b32_e32 v4, s0
	flat_load_dwordx2 v[8:9], v[4:5]
.LBB25_4:
	s_waitcnt vmcnt(0) lgkmcnt(0)
	v_cmp_neq_f64_e32 vcc_lo, 0, v[2:3]
	v_cmp_neq_f64_e64 s0, 1.0, v[8:9]
	s_or_b32 s0, vcc_lo, s0
	s_and_saveexec_b32 s1, s0
	s_cbranch_execz .LBB25_10
; %bb.5:
	s_clause 0x1
	s_load_dwordx2 s[8:9], s[4:5], 0x18
	s_load_dwordx2 s[0:1], s[4:5], 0x0
	v_lshrrev_b32_e32 v1, 2, v0
	v_lshl_or_b32 v10, s6, 5, v1
	s_waitcnt lgkmcnt(0)
	s_cmp_lg_u64 s[8:9], 0
	s_cbranch_scc0 .LBB25_11
; %bb.6:
	s_load_dword s3, s[4:5], 0x10
	s_mov_b32 s6, 0
                                        ; implicit-def: $vgpr1
	s_waitcnt lgkmcnt(0)
	v_cmp_gt_i32_e32 vcc_lo, s3, v10
	s_mov_b32 s3, 0
	s_and_saveexec_b32 s7, vcc_lo
	s_xor_b32 s7, exec_lo, s7
	s_cbranch_execz .LBB25_8
; %bb.7:
	v_ashrrev_i32_e32 v11, 31, v10
	s_mov_b32 s3, exec_lo
	v_lshlrev_b64 v[4:5], 2, v[10:11]
	v_add_co_u32 v4, vcc_lo, s8, v4
	v_add_co_ci_u32_e64 v5, null, s9, v5, vcc_lo
	global_load_dword v1, v[4:5], off
	s_waitcnt vmcnt(0)
	v_subrev_nc_u32_e32 v1, s2, v1
.LBB25_8:
	s_or_b32 exec_lo, exec_lo, s7
	s_and_b32 vcc_lo, exec_lo, s6
	s_cbranch_vccz .LBB25_12
.LBB25_9:
	v_cmp_gt_i32_e32 vcc_lo, s0, v10
	s_andn2_b32 s0, s3, exec_lo
	s_and_b32 s3, vcc_lo, exec_lo
	s_or_b32 s3, s0, s3
	s_and_b32 exec_lo, exec_lo, s3
	s_cbranch_execnz .LBB25_13
.LBB25_10:
	s_endpgm
.LBB25_11:
	s_mov_b32 s3, 0
                                        ; implicit-def: $vgpr1
	s_cbranch_execnz .LBB25_9
.LBB25_12:
	v_mov_b32_e32 v10, v1
	s_and_b32 exec_lo, exec_lo, s3
	s_cbranch_execz .LBB25_10
.LBB25_13:
	s_load_dwordx8 s[8:15], s[4:5], 0x20
	v_ashrrev_i32_e32 v11, 31, v10
	v_and_b32_e32 v31, 3, v0
	s_load_dwordx2 s[6:7], s[4:5], 0x40
	v_lshlrev_b64 v[4:5], 3, v[10:11]
	s_waitcnt lgkmcnt(0)
	v_add_co_u32 v6, vcc_lo, s8, v4
	v_add_co_ci_u32_e64 v7, null, s9, v5, vcc_lo
	v_add_co_u32 v1, vcc_lo, s10, v4
	v_add_co_ci_u32_e64 v4, null, s11, v5, vcc_lo
	v_add_co_u32 v11, vcc_lo, v6, 8
	global_load_dwordx2 v[19:20], v[6:7], off
	v_add_co_ci_u32_e64 v5, null, 0, v7, vcc_lo
	s_cmp_eq_u64 s[10:11], 0
	s_cselect_b32 vcc_lo, -1, 0
	s_cmp_eq_u32 s1, 1
	v_cndmask_b32_e32 v5, v4, v5, vcc_lo
	v_cndmask_b32_e32 v4, v1, v11, vcc_lo
	global_load_dwordx2 v[4:5], v[4:5], off
	s_waitcnt vmcnt(1)
	v_sub_co_u32 v0, vcc_lo, v19, s2
	v_subrev_co_ci_u32_e64 v1, null, 0, v20, vcc_lo
	v_add_co_u32 v0, vcc_lo, v0, v31
	v_add_co_ci_u32_e64 v1, null, 0, v1, vcc_lo
	v_lshlrev_b64 v[6:7], 7, v[0:1]
	s_waitcnt vmcnt(0)
	v_sub_co_u32 v4, vcc_lo, v4, s2
	v_subrev_co_ci_u32_e64 v5, null, 0, v5, vcc_lo
	v_add_co_u32 v6, vcc_lo, s14, v6
	v_cmp_lt_i64_e64 s0, v[0:1], v[4:5]
	v_add_co_ci_u32_e64 v7, null, s15, v7, vcc_lo
	s_cbranch_scc1 .LBB25_25
; %bb.14:
	v_mov_b32_e32 v11, 0
	v_mov_b32_e32 v13, 0
	;; [unrolled: 1-line block ×8, first 2 shown]
	s_and_saveexec_b32 s3, s0
	s_cbranch_execz .LBB25_24
; %bb.15:
	v_or_b32_e32 v11, 4, v31
	v_not_b32_e32 v14, v19
	v_not_b32_e32 v13, v20
	v_mov_b32_e32 v22, 0
	v_mov_b32_e32 v17, 0
	v_sub_co_u32 v11, s1, v11, s2
	v_sub_co_ci_u32_e64 v12, null, 0, 0, s1
	v_sub_co_u32 v15, s1, s2, v31
	v_add_co_u32 v11, vcc_lo, v11, v19
	v_add_co_ci_u32_e64 v12, null, v12, v20, vcc_lo
	v_sub_co_ci_u32_e64 v16, null, 0, 0, s1
	v_mov_b32_e32 v24, v1
	v_cmp_gt_i64_e32 vcc_lo, v[11:12], v[4:5]
	v_mov_b32_e32 v18, 0
	v_mov_b32_e32 v23, v0
	v_cndmask_b32_e32 v12, v5, v12, vcc_lo
	v_cndmask_b32_e32 v11, v4, v11, vcc_lo
	v_add_co_u32 v14, vcc_lo, v15, v14
	v_add_co_ci_u32_e64 v13, null, v16, v13, vcc_lo
	v_mov_b32_e32 v15, 0
	v_add_co_u32 v25, vcc_lo, v14, v11
	v_add_co_ci_u32_e64 v26, null, v13, v12, vcc_lo
	v_mov_b32_e32 v13, 0
	v_and_b32_e32 v21, 12, v25
	v_mov_b32_e32 v11, 0
	v_mov_b32_e32 v16, 0
	;; [unrolled: 1-line block ×4, first 2 shown]
	v_cmp_ne_u64_e32 vcc_lo, 12, v[21:22]
	v_mov_b32_e32 v22, v7
	v_mov_b32_e32 v21, v6
	s_and_saveexec_b32 s8, vcc_lo
	s_cbranch_execz .LBB25_19
; %bb.16:
	v_lshrrev_b32_e32 v11, 2, v25
	v_lshlrev_b64 v[17:18], 2, v[0:1]
	v_mov_b32_e32 v22, v7
	v_mov_b32_e32 v13, 0
	;; [unrolled: 1-line block ×3, first 2 shown]
	v_add_nc_u32_e32 v23, 1, v11
	v_mov_b32_e32 v11, 0
	v_add_co_u32 v27, vcc_lo, s12, v17
	v_add_co_ci_u32_e64 v28, null, s13, v18, vcc_lo
	v_and_b32_e32 v23, 3, v23
	v_mov_b32_e32 v17, 0
	v_mov_b32_e32 v12, 0
	;; [unrolled: 1-line block ×4, first 2 shown]
	v_sub_co_u32 v29, s1, 0, v23
	v_mov_b32_e32 v24, v1
	v_mov_b32_e32 v16, 0
	v_sub_co_ci_u32_e64 v30, null, 0, 0, s1
	v_mov_b32_e32 v18, 0
	v_mov_b32_e32 v23, v0
	s_mov_b32 s9, 0
.LBB25_17:                              ; =>This Inner Loop Header: Depth=1
	global_load_dword v60, v[27:28], off
	s_clause 0x6
	global_load_dwordx4 v[32:35], v[21:22], off offset:48
	global_load_dwordx4 v[36:39], v[21:22], off offset:32
	;; [unrolled: 1-line block ×3, first 2 shown]
	global_load_dwordx4 v[44:47], v[21:22], off
	global_load_dwordx4 v[48:51], v[21:22], off offset:112
	global_load_dwordx4 v[52:55], v[21:22], off offset:96
	;; [unrolled: 1-line block ×3, first 2 shown]
	v_add_co_u32 v27, s1, v27, 16
	v_add_co_ci_u32_e64 v28, null, 0, v28, s1
	s_waitcnt vmcnt(7)
	v_subrev_nc_u32_e32 v60, s2, v60
	v_lshlrev_b32_e32 v60, 2, v60
	v_ashrrev_i32_e32 v61, 31, v60
	v_lshlrev_b64 v[60:61], 3, v[60:61]
	v_add_co_u32 v68, vcc_lo, s6, v60
	v_add_co_ci_u32_e64 v69, null, s7, v61, vcc_lo
	global_load_dwordx4 v[60:63], v[21:22], off offset:64
	s_clause 0x1
	global_load_dwordx4 v[64:67], v[68:69], off
	global_load_dwordx4 v[68:71], v[68:69], off offset:16
	v_add_co_u32 v21, vcc_lo, 0x200, v21
	v_add_co_ci_u32_e64 v22, null, 0, v22, vcc_lo
	v_add_co_u32 v29, vcc_lo, v29, 1
	v_add_co_ci_u32_e64 v30, null, 0, v30, vcc_lo
	;; [unrolled: 2-line block ×3, first 2 shown]
	v_cmp_eq_u64_e32 vcc_lo, 0, v[29:30]
	s_or_b32 s9, vcc_lo, s9
	s_waitcnt vmcnt(1)
	v_fma_f64 v[17:18], v[44:45], v[64:65], v[17:18]
	v_fma_f64 v[15:16], v[36:37], v[64:65], v[15:16]
	;; [unrolled: 1-line block ×8, first 2 shown]
	s_waitcnt vmcnt(0)
	v_fma_f64 v[17:18], v[40:41], v[68:69], v[17:18]
	v_fma_f64 v[15:16], v[32:33], v[68:69], v[15:16]
	;; [unrolled: 1-line block ×8, first 2 shown]
	s_andn2_b32 exec_lo, exec_lo, s9
	s_cbranch_execnz .LBB25_17
; %bb.18:
	s_or_b32 exec_lo, exec_lo, s9
.LBB25_19:
	s_or_b32 exec_lo, exec_lo, s8
	s_mov_b32 s8, exec_lo
	v_cmpx_lt_u64_e32 11, v[25:26]
	s_cbranch_execz .LBB25_23
; %bb.20:
	v_lshlrev_b64 v[25:26], 2, v[23:24]
	s_mov_b32 s9, 0
	v_add_co_u32 v25, vcc_lo, s12, v25
	v_add_co_ci_u32_e64 v26, null, s13, v26, vcc_lo
	v_add_co_u32 v25, vcc_lo, v25, 32
	v_add_co_ci_u32_e64 v26, null, 0, v26, vcc_lo
.LBB25_21:                              ; =>This Inner Loop Header: Depth=1
	s_clause 0x1
	global_load_dword v124, v[25:26], off offset:-32
	global_load_dword v125, v[25:26], off offset:-16
	s_clause 0xf
	global_load_dwordx4 v[27:30], v[21:22], off offset:48
	global_load_dwordx4 v[32:35], v[21:22], off offset:32
	;; [unrolled: 1-line block ×3, first 2 shown]
	global_load_dwordx4 v[40:43], v[21:22], off
	global_load_dwordx4 v[44:47], v[21:22], off offset:112
	global_load_dwordx4 v[48:51], v[21:22], off offset:96
	;; [unrolled: 1-line block ×12, first 2 shown]
	s_clause 0x1
	global_load_dword v138, v[25:26], off
	global_load_dword v139, v[25:26], off offset:16
	s_clause 0x7
	global_load_dwordx4 v[92:95], v[21:22], off offset:1072
	global_load_dwordx4 v[96:99], v[21:22], off offset:1056
	;; [unrolled: 1-line block ×8, first 2 shown]
	v_add_co_u32 v25, s1, v25, 64
	v_add_co_ci_u32_e64 v26, null, 0, v26, s1
	s_waitcnt vmcnt(27)
	v_subrev_nc_u32_e32 v124, s2, v124
	s_waitcnt vmcnt(26)
	v_subrev_nc_u32_e32 v125, s2, v125
	v_lshlrev_b32_e32 v124, 2, v124
	v_lshlrev_b32_e32 v126, 2, v125
	v_ashrrev_i32_e32 v125, 31, v124
	v_ashrrev_i32_e32 v127, 31, v126
	v_lshlrev_b64 v[124:125], 3, v[124:125]
	v_lshlrev_b64 v[126:127], 3, v[126:127]
	v_add_co_u32 v128, vcc_lo, s6, v124
	v_add_co_ci_u32_e64 v129, null, s7, v125, vcc_lo
	v_add_co_u32 v132, vcc_lo, s6, v126
	v_add_co_ci_u32_e64 v133, null, s7, v127, vcc_lo
	s_clause 0x1
	global_load_dwordx4 v[124:127], v[128:129], off
	global_load_dwordx4 v[128:131], v[128:129], off offset:16
	s_waitcnt vmcnt(1)
	v_fma_f64 v[13:14], v[56:57], v[124:125], v[13:14]
	v_fma_f64 v[11:12], v[48:49], v[124:125], v[11:12]
	v_subrev_nc_u32_e32 v48, s2, v138
	v_fma_f64 v[15:16], v[32:33], v[124:125], v[15:16]
	v_fma_f64 v[17:18], v[40:41], v[124:125], v[17:18]
	v_lshlrev_b32_e32 v48, 2, v48
	v_ashrrev_i32_e32 v49, 31, v48
	v_lshlrev_b64 v[48:49], 3, v[48:49]
	v_fma_f64 v[56:57], v[58:59], v[126:127], v[13:14]
	v_fma_f64 v[58:59], v[50:51], v[126:127], v[11:12]
	global_load_dwordx4 v[11:14], v[132:133], off
	v_add_co_u32 v124, vcc_lo, s6, v48
	v_fma_f64 v[136:137], v[34:35], v[126:127], v[15:16]
	v_add_co_ci_u32_e64 v125, null, s7, v49, vcc_lo
	global_load_dwordx4 v[48:51], v[132:133], off offset:16
	v_fma_f64 v[134:135], v[42:43], v[126:127], v[17:18]
	s_clause 0x2
	global_load_dwordx4 v[40:43], v[21:22], off offset:1584
	global_load_dwordx4 v[15:18], v[21:22], off offset:1568
	;; [unrolled: 1-line block ×3, first 2 shown]
	s_waitcnt vmcnt(5)
	v_fma_f64 v[52:53], v[52:53], v[128:129], v[56:57]
	v_fma_f64 v[44:45], v[44:45], v[128:129], v[58:59]
	v_subrev_nc_u32_e32 v56, s2, v139
	v_fma_f64 v[27:28], v[27:28], v[128:129], v[136:137]
	v_fma_f64 v[36:37], v[36:37], v[128:129], v[134:135]
	;; [unrolled: 1-line block ×4, first 2 shown]
	s_clause 0x1
	global_load_dwordx4 v[52:55], v[21:22], off offset:1632
	global_load_dwordx4 v[44:47], v[21:22], off offset:1600
	v_fma_f64 v[132:133], v[29:30], v[130:131], v[27:28]
	global_load_dwordx4 v[27:30], v[124:125], off
	v_fma_f64 v[126:127], v[38:39], v[130:131], v[36:37]
	v_lshlrev_b32_e32 v130, 2, v56
	global_load_dwordx4 v[56:59], v[124:125], off offset:16
	global_load_dwordx4 v[36:39], v[21:22], off offset:1536
	v_ashrrev_i32_e32 v131, 31, v130
	v_lshlrev_b64 v[124:125], 3, v[130:131]
	v_add_co_u32 v124, vcc_lo, s6, v124
	v_add_co_ci_u32_e64 v125, null, s7, v125, vcc_lo
	v_add_co_u32 v23, vcc_lo, v23, 16
	v_add_co_ci_u32_e64 v24, null, 0, v24, vcc_lo
	s_waitcnt vmcnt(9)
	v_fma_f64 v[72:73], v[72:73], v[11:12], v[126:127]
	v_fma_f64 v[64:65], v[64:65], v[11:12], v[132:133]
	;; [unrolled: 1-line block ×5, first 2 shown]
	global_load_dwordx4 v[72:75], v[124:125], off
	v_fma_f64 v[132:133], v[66:67], v[13:14], v[64:65]
	global_load_dwordx4 v[64:67], v[21:22], off offset:1648
	v_fma_f64 v[134:135], v[90:91], v[13:14], v[88:89]
	global_load_dwordx4 v[88:91], v[21:22], off offset:1616
	global_load_dwordx4 v[124:127], v[124:125], off offset:16
	v_fma_f64 v[11:12], v[82:83], v[13:14], v[11:12]
	v_add_co_u32 v21, vcc_lo, 0x800, v21
	v_add_co_ci_u32_e64 v22, null, 0, v22, vcc_lo
	v_cmp_ge_i64_e32 vcc_lo, v[23:24], v[4:5]
	s_or_b32 s9, vcc_lo, s9
	s_waitcnt vmcnt(12)
	v_fma_f64 v[13:14], v[68:69], v[48:49], v[130:131]
	v_fma_f64 v[60:61], v[60:61], v[48:49], v[132:133]
	v_fma_f64 v[68:69], v[84:85], v[48:49], v[134:135]
	v_fma_f64 v[11:12], v[76:77], v[48:49], v[11:12]
	v_fma_f64 v[13:14], v[70:71], v[50:51], v[13:14]
	v_fma_f64 v[48:49], v[62:63], v[50:51], v[60:61]
	v_fma_f64 v[60:61], v[86:87], v[50:51], v[68:69]
	v_fma_f64 v[11:12], v[78:79], v[50:51], v[11:12]
	s_waitcnt vmcnt(6)
	v_fma_f64 v[13:14], v[104:105], v[27:28], v[13:14]
	v_fma_f64 v[48:49], v[96:97], v[27:28], v[48:49]
	v_fma_f64 v[50:51], v[120:121], v[27:28], v[60:61]
	v_fma_f64 v[11:12], v[112:113], v[27:28], v[11:12]
	v_fma_f64 v[13:14], v[106:107], v[29:30], v[13:14]
	v_fma_f64 v[27:28], v[98:99], v[29:30], v[48:49]
	v_fma_f64 v[48:49], v[122:123], v[29:30], v[50:51]
	v_fma_f64 v[11:12], v[114:115], v[29:30], v[11:12]
	;; [unrolled: 9-line block ×5, first 2 shown]
	s_andn2_b32 exec_lo, exec_lo, s9
	s_cbranch_execnz .LBB25_21
; %bb.22:
	s_or_b32 exec_lo, exec_lo, s9
.LBB25_23:
	s_or_b32 exec_lo, exec_lo, s8
.LBB25_24:
	s_or_b32 exec_lo, exec_lo, s3
	s_cbranch_execz .LBB25_26
	s_branch .LBB25_37
.LBB25_25:
                                        ; implicit-def: $vgpr11_vgpr12
                                        ; implicit-def: $vgpr13_vgpr14
                                        ; implicit-def: $vgpr15_vgpr16
                                        ; implicit-def: $vgpr17_vgpr18
.LBB25_26:
	v_mov_b32_e32 v11, 0
	v_mov_b32_e32 v13, 0
	;; [unrolled: 1-line block ×8, first 2 shown]
	s_and_saveexec_b32 s1, s0
	s_cbranch_execz .LBB25_36
; %bb.27:
	v_or_b32_e32 v11, 4, v31
	v_not_b32_e32 v14, v19
	v_not_b32_e32 v13, v20
	v_sub_co_u32 v11, s0, v11, s2
	v_sub_co_ci_u32_e64 v12, null, 0, 0, s0
	v_sub_co_u32 v15, s0, s2, v31
	v_add_co_u32 v11, vcc_lo, v11, v19
	v_add_co_ci_u32_e64 v12, null, v12, v20, vcc_lo
	v_sub_co_ci_u32_e64 v16, null, 0, 0, s0
	v_cmp_gt_i64_e32 vcc_lo, v[11:12], v[4:5]
	v_cndmask_b32_e32 v17, v5, v12, vcc_lo
	v_cndmask_b32_e32 v11, v4, v11, vcc_lo
	v_add_co_u32 v12, vcc_lo, v15, v14
	v_add_co_ci_u32_e64 v13, null, v16, v13, vcc_lo
	v_mov_b32_e32 v15, 0
	v_add_co_u32 v19, vcc_lo, v12, v11
	v_mov_b32_e32 v12, 0
	v_add_co_ci_u32_e64 v20, null, v13, v17, vcc_lo
	v_and_b32_e32 v11, 12, v19
	v_mov_b32_e32 v17, 0
	v_mov_b32_e32 v13, 0
	;; [unrolled: 1-line block ×4, first 2 shown]
	v_cmp_ne_u64_e32 vcc_lo, 12, v[11:12]
	v_mov_b32_e32 v11, 0
	v_mov_b32_e32 v14, 0
	;; [unrolled: 1-line block ×3, first 2 shown]
	s_and_saveexec_b32 s3, vcc_lo
	s_cbranch_execz .LBB25_31
; %bb.28:
	v_lshrrev_b32_e32 v11, 2, v19
	v_lshlrev_b64 v[21:22], 2, v[0:1]
	v_mov_b32_e32 v13, 0
	v_mov_b32_e32 v15, 0
	;; [unrolled: 1-line block ×3, first 2 shown]
	v_add_nc_u32_e32 v23, 1, v11
	v_mov_b32_e32 v11, 0
	v_add_co_u32 v21, vcc_lo, s12, v21
	v_mov_b32_e32 v12, 0
	v_and_b32_e32 v23, 3, v23
	v_mov_b32_e32 v14, 0
	v_mov_b32_e32 v16, 0
	;; [unrolled: 1-line block ×3, first 2 shown]
	v_add_co_ci_u32_e64 v22, null, s13, v22, vcc_lo
	v_sub_co_u32 v23, s0, 0, v23
	v_sub_co_ci_u32_e64 v24, null, 0, 0, s0
	s_mov_b32 s8, 0
.LBB25_29:                              ; =>This Inner Loop Header: Depth=1
	global_load_dword v29, v[21:22], off
	global_load_dwordx4 v[25:28], v[6:7], off offset:16
	v_add_co_u32 v21, s0, v21, 16
	v_add_co_ci_u32_e64 v22, null, 0, v22, s0
	s_waitcnt vmcnt(1)
	v_subrev_nc_u32_e32 v29, s2, v29
	v_lshlrev_b32_e32 v29, 2, v29
	v_ashrrev_i32_e32 v30, 31, v29
	v_lshlrev_b64 v[29:30], 3, v[29:30]
	v_add_co_u32 v29, vcc_lo, s6, v29
	v_add_co_ci_u32_e64 v30, null, s7, v30, vcc_lo
	global_load_dwordx4 v[32:35], v[6:7], off
	s_clause 0x1
	global_load_dwordx4 v[36:39], v[29:30], off
	global_load_dwordx4 v[40:43], v[29:30], off offset:16
	s_clause 0x5
	global_load_dwordx4 v[44:47], v[6:7], off offset:32
	global_load_dwordx4 v[48:51], v[6:7], off offset:48
	global_load_dwordx4 v[52:55], v[6:7], off offset:64
	global_load_dwordx4 v[56:59], v[6:7], off offset:80
	global_load_dwordx4 v[60:63], v[6:7], off offset:96
	global_load_dwordx4 v[64:67], v[6:7], off offset:112
	v_add_co_u32 v6, vcc_lo, 0x200, v6
	v_add_co_ci_u32_e64 v7, null, 0, v7, vcc_lo
	v_add_co_u32 v23, vcc_lo, v23, 1
	v_add_co_ci_u32_e64 v24, null, 0, v24, vcc_lo
	;; [unrolled: 2-line block ×3, first 2 shown]
	v_cmp_eq_u64_e32 vcc_lo, 0, v[23:24]
	s_or_b32 s8, vcc_lo, s8
	s_waitcnt vmcnt(7)
	v_fma_f64 v[17:18], v[32:33], v[36:37], v[17:18]
	v_fma_f64 v[15:16], v[34:35], v[36:37], v[15:16]
	;; [unrolled: 1-line block ×4, first 2 shown]
	s_waitcnt vmcnt(5)
	v_fma_f64 v[17:18], v[44:45], v[38:39], v[17:18]
	v_fma_f64 v[15:16], v[46:47], v[38:39], v[15:16]
	s_waitcnt vmcnt(4)
	v_fma_f64 v[13:14], v[48:49], v[38:39], v[13:14]
	v_fma_f64 v[11:12], v[50:51], v[38:39], v[11:12]
	s_waitcnt vmcnt(3)
	v_fma_f64 v[17:18], v[52:53], v[40:41], v[17:18]
	v_fma_f64 v[15:16], v[54:55], v[40:41], v[15:16]
	s_waitcnt vmcnt(2)
	v_fma_f64 v[13:14], v[56:57], v[40:41], v[13:14]
	v_fma_f64 v[11:12], v[58:59], v[40:41], v[11:12]
	s_waitcnt vmcnt(1)
	v_fma_f64 v[17:18], v[60:61], v[42:43], v[17:18]
	v_fma_f64 v[15:16], v[62:63], v[42:43], v[15:16]
	s_waitcnt vmcnt(0)
	v_fma_f64 v[13:14], v[64:65], v[42:43], v[13:14]
	v_fma_f64 v[11:12], v[66:67], v[42:43], v[11:12]
	s_andn2_b32 exec_lo, exec_lo, s8
	s_cbranch_execnz .LBB25_29
; %bb.30:
	s_or_b32 exec_lo, exec_lo, s8
.LBB25_31:
	s_or_b32 exec_lo, exec_lo, s3
	s_mov_b32 s3, exec_lo
	v_cmpx_lt_u64_e32 11, v[19:20]
	s_cbranch_execz .LBB25_35
; %bb.32:
	v_lshlrev_b64 v[19:20], 2, v[0:1]
	s_mov_b32 s8, 0
	v_add_co_u32 v19, vcc_lo, s12, v19
	v_add_co_ci_u32_e64 v20, null, s13, v20, vcc_lo
	v_add_co_u32 v19, vcc_lo, v19, 32
	v_add_co_ci_u32_e64 v20, null, 0, v20, vcc_lo
.LBB25_33:                              ; =>This Inner Loop Header: Depth=1
	s_clause 0x1
	global_load_dword v29, v[19:20], off offset:-32
	global_load_dword v30, v[19:20], off offset:-16
	s_clause 0xb
	global_load_dwordx4 v[21:24], v[6:7], off offset:48
	global_load_dwordx4 v[25:28], v[6:7], off offset:32
	;; [unrolled: 1-line block ×3, first 2 shown]
	global_load_dwordx4 v[36:39], v[6:7], off
	global_load_dwordx4 v[40:43], v[6:7], off offset:112
	global_load_dwordx4 v[44:47], v[6:7], off offset:96
	;; [unrolled: 1-line block ×8, first 2 shown]
	s_clause 0x1
	global_load_dword v108, v[19:20], off
	global_load_dword v112, v[19:20], off offset:16
	s_clause 0x3
	global_load_dwordx4 v[72:75], v[6:7], off offset:624
	global_load_dwordx4 v[76:79], v[6:7], off offset:608
	;; [unrolled: 1-line block ×4, first 2 shown]
	v_add_co_u32 v19, s0, v19, 64
	v_add_co_ci_u32_e64 v20, null, 0, v20, s0
	s_waitcnt vmcnt(19)
	v_subrev_nc_u32_e32 v29, s2, v29
	s_waitcnt vmcnt(18)
	v_subrev_nc_u32_e32 v30, s2, v30
	v_lshlrev_b32_e32 v29, 2, v29
	v_lshlrev_b32_e32 v88, 2, v30
	v_ashrrev_i32_e32 v30, 31, v29
	v_ashrrev_i32_e32 v89, 31, v88
	v_lshlrev_b64 v[29:30], 3, v[29:30]
	v_lshlrev_b64 v[88:89], 3, v[88:89]
	v_add_co_u32 v29, vcc_lo, s6, v29
	v_add_co_ci_u32_e64 v30, null, s7, v30, vcc_lo
	v_add_co_u32 v100, vcc_lo, s6, v88
	v_add_co_ci_u32_e64 v101, null, s7, v89, vcc_lo
	s_clause 0x3
	global_load_dwordx4 v[88:91], v[29:30], off
	global_load_dwordx4 v[92:95], v[29:30], off offset:16
	global_load_dwordx4 v[96:99], v[100:101], off
	global_load_dwordx4 v[100:103], v[100:101], off offset:16
	global_load_dwordx4 v[104:107], v[6:7], off offset:1040
	s_waitcnt vmcnt(10)
	v_subrev_nc_u32_e32 v29, s2, v108
	global_load_dwordx4 v[108:111], v[6:7], off offset:1024
	v_lshlrev_b32_e32 v29, 2, v29
	v_ashrrev_i32_e32 v30, 31, v29
	v_lshlrev_b64 v[29:30], 3, v[29:30]
	v_add_co_u32 v29, vcc_lo, s6, v29
	v_add_co_ci_u32_e64 v30, null, s7, v30, vcc_lo
	s_waitcnt vmcnt(5)
	v_fma_f64 v[36:37], v[36:37], v[88:89], v[17:18]
	v_fma_f64 v[38:39], v[38:39], v[88:89], v[15:16]
	;; [unrolled: 1-line block ×4, first 2 shown]
	global_load_dwordx4 v[15:18], v[29:30], off
	global_load_dwordx4 v[11:14], v[6:7], off offset:1056
	v_fma_f64 v[36:37], v[25:26], v[90:91], v[36:37]
	v_fma_f64 v[38:39], v[27:28], v[90:91], v[38:39]
	;; [unrolled: 1-line block ×4, first 2 shown]
	s_clause 0x2
	global_load_dwordx4 v[25:28], v[6:7], off offset:1072
	global_load_dwordx4 v[21:24], v[6:7], off offset:1104
	;; [unrolled: 1-line block ×3, first 2 shown]
	s_waitcnt vmcnt(9)
	v_fma_f64 v[52:53], v[52:53], v[92:93], v[36:37]
	v_fma_f64 v[54:55], v[54:55], v[92:93], v[38:39]
	global_load_dwordx4 v[36:39], v[29:30], off offset:16
	v_fma_f64 v[29:30], v[48:49], v[92:93], v[88:89]
	v_fma_f64 v[88:89], v[50:51], v[92:93], v[90:91]
	global_load_dwordx4 v[48:51], v[6:7], off offset:1136
	;; [unrolled: 3-line block ×3, first 2 shown]
	v_fma_f64 v[29:30], v[40:41], v[94:95], v[29:30]
	v_fma_f64 v[88:89], v[42:43], v[94:95], v[88:89]
	v_subrev_nc_u32_e32 v94, s2, v112
	s_clause 0x1
	global_load_dwordx4 v[40:43], v[6:7], off offset:1552
	global_load_dwordx4 v[52:55], v[6:7], off offset:1536
	v_lshlrev_b32_e32 v94, 2, v94
	v_ashrrev_i32_e32 v95, 31, v94
	v_lshlrev_b64 v[94:95], 3, v[94:95]
	s_waitcnt vmcnt(13)
	v_fma_f64 v[90:91], v[68:69], v[96:97], v[90:91]
	v_fma_f64 v[92:93], v[70:71], v[96:97], v[92:93]
	;; [unrolled: 1-line block ×3, first 2 shown]
	v_add_co_u32 v94, vcc_lo, s6, v94
	v_add_co_ci_u32_e64 v95, null, s7, v95, vcc_lo
	v_fma_f64 v[88:89], v[66:67], v[96:97], v[88:89]
	global_load_dwordx4 v[64:67], v[6:7], off offset:1568
	v_add_co_u32 v0, vcc_lo, v0, 16
	global_load_dwordx4 v[68:71], v[94:95], off
	v_add_co_ci_u32_e64 v1, null, 0, v1, vcc_lo
	v_fma_f64 v[96:97], v[60:61], v[98:99], v[90:91]
	v_fma_f64 v[112:113], v[62:63], v[98:99], v[92:93]
	global_load_dwordx4 v[60:63], v[6:7], off offset:1584
	v_fma_f64 v[29:30], v[56:57], v[98:99], v[29:30]
	v_fma_f64 v[98:99], v[58:59], v[98:99], v[88:89]
	s_clause 0x1
	global_load_dwordx4 v[56:59], v[6:7], off offset:1600
	global_load_dwordx4 v[88:91], v[6:7], off offset:1616
	global_load_dwordx4 v[92:95], v[94:95], off offset:16
	s_waitcnt vmcnt(18)
	v_fma_f64 v[96:97], v[84:85], v[100:101], v[96:97]
	v_fma_f64 v[112:113], v[86:87], v[100:101], v[112:113]
	global_load_dwordx4 v[84:87], v[6:7], off offset:1632
	v_fma_f64 v[29:30], v[80:81], v[100:101], v[29:30]
	v_fma_f64 v[98:99], v[82:83], v[100:101], v[98:99]
	global_load_dwordx4 v[80:83], v[6:7], off offset:1648
	v_add_co_u32 v6, vcc_lo, 0x800, v6
	v_add_co_ci_u32_e64 v7, null, 0, v7, vcc_lo
	v_cmp_ge_i64_e32 vcc_lo, v[0:1], v[4:5]
	s_or_b32 s8, vcc_lo, s8
	v_fma_f64 v[76:77], v[76:77], v[102:103], v[96:97]
	v_fma_f64 v[78:79], v[78:79], v[102:103], v[112:113]
	;; [unrolled: 1-line block ×4, first 2 shown]
	s_waitcnt vmcnt(17)
	v_fma_f64 v[74:75], v[108:109], v[15:16], v[76:77]
	v_fma_f64 v[76:77], v[110:111], v[15:16], v[78:79]
	;; [unrolled: 1-line block ×4, first 2 shown]
	s_waitcnt vmcnt(16)
	v_fma_f64 v[11:12], v[11:12], v[17:18], v[74:75]
	v_fma_f64 v[13:14], v[13:14], v[17:18], v[76:77]
	s_waitcnt vmcnt(15)
	v_fma_f64 v[25:26], v[25:26], v[17:18], v[29:30]
	v_fma_f64 v[15:16], v[27:28], v[17:18], v[15:16]
	;; [unrolled: 3-line block ×3, first 2 shown]
	v_fma_f64 v[17:18], v[21:22], v[36:37], v[25:26]
	v_fma_f64 v[15:16], v[23:24], v[36:37], v[15:16]
	s_waitcnt vmcnt(10)
	v_fma_f64 v[11:12], v[44:45], v[38:39], v[11:12]
	v_fma_f64 v[13:14], v[46:47], v[38:39], v[13:14]
	;; [unrolled: 1-line block ×4, first 2 shown]
	s_waitcnt vmcnt(6)
	v_fma_f64 v[11:12], v[52:53], v[68:69], v[11:12]
	v_fma_f64 v[13:14], v[54:55], v[68:69], v[13:14]
	v_fma_f64 v[17:18], v[40:41], v[68:69], v[17:18]
	v_fma_f64 v[15:16], v[42:43], v[68:69], v[15:16]
	v_fma_f64 v[11:12], v[64:65], v[70:71], v[11:12]
	v_fma_f64 v[13:14], v[66:67], v[70:71], v[13:14]
	s_waitcnt vmcnt(5)
	v_fma_f64 v[17:18], v[60:61], v[70:71], v[17:18]
	v_fma_f64 v[15:16], v[62:63], v[70:71], v[15:16]
	s_waitcnt vmcnt(2)
	v_fma_f64 v[11:12], v[56:57], v[92:93], v[11:12]
	v_fma_f64 v[13:14], v[58:59], v[92:93], v[13:14]
	;; [unrolled: 1-line block ×4, first 2 shown]
	s_waitcnt vmcnt(1)
	v_fma_f64 v[17:18], v[84:85], v[94:95], v[11:12]
	v_fma_f64 v[15:16], v[86:87], v[94:95], v[13:14]
	s_waitcnt vmcnt(0)
	v_fma_f64 v[13:14], v[80:81], v[94:95], v[21:22]
	v_fma_f64 v[11:12], v[82:83], v[94:95], v[23:24]
	s_andn2_b32 exec_lo, exec_lo, s8
	s_cbranch_execnz .LBB25_33
; %bb.34:
	s_or_b32 exec_lo, exec_lo, s8
.LBB25_35:
	s_or_b32 exec_lo, exec_lo, s3
.LBB25_36:
	s_or_b32 exec_lo, exec_lo, s1
.LBB25_37:
	v_mbcnt_lo_u32_b32 v23, -1, 0
	v_xor_b32_e32 v0, 2, v23
	v_cmp_gt_i32_e32 vcc_lo, 32, v0
	v_cndmask_b32_e32 v0, v23, v0, vcc_lo
	v_lshlrev_b32_e32 v6, 2, v0
	ds_bpermute_b32 v0, v6, v17
	ds_bpermute_b32 v1, v6, v18
	;; [unrolled: 1-line block ×8, first 2 shown]
	s_waitcnt lgkmcnt(6)
	v_add_f64 v[17:18], v[17:18], v[0:1]
	s_waitcnt lgkmcnt(4)
	v_add_f64 v[6:7], v[15:16], v[4:5]
	;; [unrolled: 2-line block ×4, first 2 shown]
	v_xor_b32_e32 v11, 1, v23
	v_cmp_gt_i32_e32 vcc_lo, 32, v11
	v_cndmask_b32_e32 v11, v23, v11, vcc_lo
	v_cmp_eq_u32_e32 vcc_lo, 3, v31
	v_lshlrev_b32_e32 v12, 2, v11
	ds_bpermute_b32 v19, v12, v17
	ds_bpermute_b32 v20, v12, v18
	ds_bpermute_b32 v15, v12, v6
	ds_bpermute_b32 v16, v12, v7
	ds_bpermute_b32 v13, v12, v0
	ds_bpermute_b32 v14, v12, v1
	ds_bpermute_b32 v11, v12, v4
	ds_bpermute_b32 v12, v12, v5
	s_and_b32 exec_lo, exec_lo, vcc_lo
	s_cbranch_execz .LBB25_10
; %bb.38:
	s_waitcnt lgkmcnt(6)
	v_add_f64 v[17:18], v[17:18], v[19:20]
	s_waitcnt lgkmcnt(4)
	v_add_f64 v[6:7], v[6:7], v[15:16]
	s_waitcnt lgkmcnt(2)
	v_add_f64 v[0:1], v[0:1], v[13:14]
	s_waitcnt lgkmcnt(0)
	v_add_f64 v[11:12], v[4:5], v[11:12]
	s_load_dwordx2 s[0:1], s[4:5], 0x50
	v_lshlrev_b32_e32 v10, 2, v10
	s_mov_b32 s2, exec_lo
	v_mul_f64 v[4:5], v[2:3], v[17:18]
	v_mul_f64 v[6:7], v[2:3], v[6:7]
	v_mul_f64 v[0:1], v[2:3], v[0:1]
	v_mul_f64 v[2:3], v[2:3], v[11:12]
	v_cmpx_eq_f64_e32 0, v[8:9]
	s_xor_b32 s2, exec_lo, s2
	s_cbranch_execz .LBB25_40
; %bb.39:
	v_ashrrev_i32_e32 v11, 31, v10
	v_lshlrev_b64 v[8:9], 3, v[10:11]
                                        ; implicit-def: $vgpr10
	s_waitcnt lgkmcnt(0)
	v_add_co_u32 v8, vcc_lo, s0, v8
	v_add_co_ci_u32_e64 v9, null, s1, v9, vcc_lo
	global_store_dwordx4 v[8:9], v[4:7], off
	global_store_dwordx4 v[8:9], v[0:3], off offset:16
                                        ; implicit-def: $vgpr8_vgpr9
                                        ; implicit-def: $vgpr4_vgpr5
                                        ; implicit-def: $vgpr0_vgpr1
.LBB25_40:
	s_andn2_saveexec_b32 s2, s2
	s_cbranch_execz .LBB25_10
; %bb.41:
	v_ashrrev_i32_e32 v11, 31, v10
	v_lshlrev_b64 v[10:11], 3, v[10:11]
	s_waitcnt lgkmcnt(0)
	v_add_co_u32 v18, vcc_lo, s0, v10
	v_add_co_ci_u32_e64 v19, null, s1, v11, vcc_lo
	s_clause 0x1
	global_load_dwordx4 v[10:13], v[18:19], off
	global_load_dwordx4 v[14:17], v[18:19], off offset:16
	s_waitcnt vmcnt(1)
	v_fma_f64 v[4:5], v[8:9], v[10:11], v[4:5]
	v_fma_f64 v[6:7], v[8:9], v[12:13], v[6:7]
	s_waitcnt vmcnt(0)
	v_fma_f64 v[0:1], v[8:9], v[14:15], v[0:1]
	v_fma_f64 v[2:3], v[8:9], v[16:17], v[2:3]
	global_store_dwordx4 v[18:19], v[4:7], off
	global_store_dwordx4 v[18:19], v[0:3], off offset:16
	s_endpgm
	.section	.rodata,"a",@progbits
	.p2align	6, 0x0
	.amdhsa_kernel _ZN9rocsparseL18bsrxmvn_4x4_kernelILj128ELj4EdlidddEEvT3_20rocsparse_direction_NS_24const_host_device_scalarIT1_EES1_PKS1_PKT2_SA_S7_PKT4_PKT5_S5_PT6_21rocsparse_index_base_b
		.amdhsa_group_segment_fixed_size 0
		.amdhsa_private_segment_fixed_size 0
		.amdhsa_kernarg_size 96
		.amdhsa_user_sgpr_count 6
		.amdhsa_user_sgpr_private_segment_buffer 1
		.amdhsa_user_sgpr_dispatch_ptr 0
		.amdhsa_user_sgpr_queue_ptr 0
		.amdhsa_user_sgpr_kernarg_segment_ptr 1
		.amdhsa_user_sgpr_dispatch_id 0
		.amdhsa_user_sgpr_flat_scratch_init 0
		.amdhsa_user_sgpr_private_segment_size 0
		.amdhsa_wavefront_size32 1
		.amdhsa_uses_dynamic_stack 0
		.amdhsa_system_sgpr_private_segment_wavefront_offset 0
		.amdhsa_system_sgpr_workgroup_id_x 1
		.amdhsa_system_sgpr_workgroup_id_y 0
		.amdhsa_system_sgpr_workgroup_id_z 0
		.amdhsa_system_sgpr_workgroup_info 0
		.amdhsa_system_vgpr_workitem_id 0
		.amdhsa_next_free_vgpr 140
		.amdhsa_next_free_sgpr 16
		.amdhsa_reserve_vcc 1
		.amdhsa_reserve_flat_scratch 0
		.amdhsa_float_round_mode_32 0
		.amdhsa_float_round_mode_16_64 0
		.amdhsa_float_denorm_mode_32 3
		.amdhsa_float_denorm_mode_16_64 3
		.amdhsa_dx10_clamp 1
		.amdhsa_ieee_mode 1
		.amdhsa_fp16_overflow 0
		.amdhsa_workgroup_processor_mode 1
		.amdhsa_memory_ordered 1
		.amdhsa_forward_progress 1
		.amdhsa_shared_vgpr_count 0
		.amdhsa_exception_fp_ieee_invalid_op 0
		.amdhsa_exception_fp_denorm_src 0
		.amdhsa_exception_fp_ieee_div_zero 0
		.amdhsa_exception_fp_ieee_overflow 0
		.amdhsa_exception_fp_ieee_underflow 0
		.amdhsa_exception_fp_ieee_inexact 0
		.amdhsa_exception_int_div_zero 0
	.end_amdhsa_kernel
	.section	.text._ZN9rocsparseL18bsrxmvn_4x4_kernelILj128ELj4EdlidddEEvT3_20rocsparse_direction_NS_24const_host_device_scalarIT1_EES1_PKS1_PKT2_SA_S7_PKT4_PKT5_S5_PT6_21rocsparse_index_base_b,"axG",@progbits,_ZN9rocsparseL18bsrxmvn_4x4_kernelILj128ELj4EdlidddEEvT3_20rocsparse_direction_NS_24const_host_device_scalarIT1_EES1_PKS1_PKT2_SA_S7_PKT4_PKT5_S5_PT6_21rocsparse_index_base_b,comdat
.Lfunc_end25:
	.size	_ZN9rocsparseL18bsrxmvn_4x4_kernelILj128ELj4EdlidddEEvT3_20rocsparse_direction_NS_24const_host_device_scalarIT1_EES1_PKS1_PKT2_SA_S7_PKT4_PKT5_S5_PT6_21rocsparse_index_base_b, .Lfunc_end25-_ZN9rocsparseL18bsrxmvn_4x4_kernelILj128ELj4EdlidddEEvT3_20rocsparse_direction_NS_24const_host_device_scalarIT1_EES1_PKS1_PKT2_SA_S7_PKT4_PKT5_S5_PT6_21rocsparse_index_base_b
                                        ; -- End function
	.set _ZN9rocsparseL18bsrxmvn_4x4_kernelILj128ELj4EdlidddEEvT3_20rocsparse_direction_NS_24const_host_device_scalarIT1_EES1_PKS1_PKT2_SA_S7_PKT4_PKT5_S5_PT6_21rocsparse_index_base_b.num_vgpr, 140
	.set _ZN9rocsparseL18bsrxmvn_4x4_kernelILj128ELj4EdlidddEEvT3_20rocsparse_direction_NS_24const_host_device_scalarIT1_EES1_PKS1_PKT2_SA_S7_PKT4_PKT5_S5_PT6_21rocsparse_index_base_b.num_agpr, 0
	.set _ZN9rocsparseL18bsrxmvn_4x4_kernelILj128ELj4EdlidddEEvT3_20rocsparse_direction_NS_24const_host_device_scalarIT1_EES1_PKS1_PKT2_SA_S7_PKT4_PKT5_S5_PT6_21rocsparse_index_base_b.numbered_sgpr, 16
	.set _ZN9rocsparseL18bsrxmvn_4x4_kernelILj128ELj4EdlidddEEvT3_20rocsparse_direction_NS_24const_host_device_scalarIT1_EES1_PKS1_PKT2_SA_S7_PKT4_PKT5_S5_PT6_21rocsparse_index_base_b.num_named_barrier, 0
	.set _ZN9rocsparseL18bsrxmvn_4x4_kernelILj128ELj4EdlidddEEvT3_20rocsparse_direction_NS_24const_host_device_scalarIT1_EES1_PKS1_PKT2_SA_S7_PKT4_PKT5_S5_PT6_21rocsparse_index_base_b.private_seg_size, 0
	.set _ZN9rocsparseL18bsrxmvn_4x4_kernelILj128ELj4EdlidddEEvT3_20rocsparse_direction_NS_24const_host_device_scalarIT1_EES1_PKS1_PKT2_SA_S7_PKT4_PKT5_S5_PT6_21rocsparse_index_base_b.uses_vcc, 1
	.set _ZN9rocsparseL18bsrxmvn_4x4_kernelILj128ELj4EdlidddEEvT3_20rocsparse_direction_NS_24const_host_device_scalarIT1_EES1_PKS1_PKT2_SA_S7_PKT4_PKT5_S5_PT6_21rocsparse_index_base_b.uses_flat_scratch, 0
	.set _ZN9rocsparseL18bsrxmvn_4x4_kernelILj128ELj4EdlidddEEvT3_20rocsparse_direction_NS_24const_host_device_scalarIT1_EES1_PKS1_PKT2_SA_S7_PKT4_PKT5_S5_PT6_21rocsparse_index_base_b.has_dyn_sized_stack, 0
	.set _ZN9rocsparseL18bsrxmvn_4x4_kernelILj128ELj4EdlidddEEvT3_20rocsparse_direction_NS_24const_host_device_scalarIT1_EES1_PKS1_PKT2_SA_S7_PKT4_PKT5_S5_PT6_21rocsparse_index_base_b.has_recursion, 0
	.set _ZN9rocsparseL18bsrxmvn_4x4_kernelILj128ELj4EdlidddEEvT3_20rocsparse_direction_NS_24const_host_device_scalarIT1_EES1_PKS1_PKT2_SA_S7_PKT4_PKT5_S5_PT6_21rocsparse_index_base_b.has_indirect_call, 0
	.section	.AMDGPU.csdata,"",@progbits
; Kernel info:
; codeLenInByte = 4852
; TotalNumSgprs: 18
; NumVgprs: 140
; ScratchSize: 0
; MemoryBound: 1
; FloatMode: 240
; IeeeMode: 1
; LDSByteSize: 0 bytes/workgroup (compile time only)
; SGPRBlocks: 0
; VGPRBlocks: 17
; NumSGPRsForWavesPerEU: 18
; NumVGPRsForWavesPerEU: 140
; Occupancy: 7
; WaveLimiterHint : 1
; COMPUTE_PGM_RSRC2:SCRATCH_EN: 0
; COMPUTE_PGM_RSRC2:USER_SGPR: 6
; COMPUTE_PGM_RSRC2:TRAP_HANDLER: 0
; COMPUTE_PGM_RSRC2:TGID_X_EN: 1
; COMPUTE_PGM_RSRC2:TGID_Y_EN: 0
; COMPUTE_PGM_RSRC2:TGID_Z_EN: 0
; COMPUTE_PGM_RSRC2:TIDIG_COMP_CNT: 0
	.section	.text._ZN9rocsparseL18bsrxmvn_4x4_kernelILj128ELj8EdlidddEEvT3_20rocsparse_direction_NS_24const_host_device_scalarIT1_EES1_PKS1_PKT2_SA_S7_PKT4_PKT5_S5_PT6_21rocsparse_index_base_b,"axG",@progbits,_ZN9rocsparseL18bsrxmvn_4x4_kernelILj128ELj8EdlidddEEvT3_20rocsparse_direction_NS_24const_host_device_scalarIT1_EES1_PKS1_PKT2_SA_S7_PKT4_PKT5_S5_PT6_21rocsparse_index_base_b,comdat
	.globl	_ZN9rocsparseL18bsrxmvn_4x4_kernelILj128ELj8EdlidddEEvT3_20rocsparse_direction_NS_24const_host_device_scalarIT1_EES1_PKS1_PKT2_SA_S7_PKT4_PKT5_S5_PT6_21rocsparse_index_base_b ; -- Begin function _ZN9rocsparseL18bsrxmvn_4x4_kernelILj128ELj8EdlidddEEvT3_20rocsparse_direction_NS_24const_host_device_scalarIT1_EES1_PKS1_PKT2_SA_S7_PKT4_PKT5_S5_PT6_21rocsparse_index_base_b
	.p2align	8
	.type	_ZN9rocsparseL18bsrxmvn_4x4_kernelILj128ELj8EdlidddEEvT3_20rocsparse_direction_NS_24const_host_device_scalarIT1_EES1_PKS1_PKT2_SA_S7_PKT4_PKT5_S5_PT6_21rocsparse_index_base_b,@function
_ZN9rocsparseL18bsrxmvn_4x4_kernelILj128ELj8EdlidddEEvT3_20rocsparse_direction_NS_24const_host_device_scalarIT1_EES1_PKS1_PKT2_SA_S7_PKT4_PKT5_S5_PT6_21rocsparse_index_base_b: ; @_ZN9rocsparseL18bsrxmvn_4x4_kernelILj128ELj8EdlidddEEvT3_20rocsparse_direction_NS_24const_host_device_scalarIT1_EES1_PKS1_PKT2_SA_S7_PKT4_PKT5_S5_PT6_21rocsparse_index_base_b
; %bb.0:
	s_clause 0x2
	s_load_dwordx2 s[2:3], s[4:5], 0x58
	s_load_dwordx2 s[8:9], s[4:5], 0x8
	;; [unrolled: 1-line block ×3, first 2 shown]
	s_waitcnt lgkmcnt(0)
	s_bitcmp1_b32 s3, 0
	v_mov_b32_e32 v2, s8
	v_mov_b32_e32 v3, s9
	s_cselect_b32 s3, -1, 0
	s_and_b32 vcc_lo, exec_lo, s3
	s_xor_b32 s3, s3, -1
	s_cbranch_vccnz .LBB26_2
; %bb.1:
	v_mov_b32_e32 v1, s8
	v_mov_b32_e32 v2, s9
	flat_load_dwordx2 v[2:3], v[1:2]
.LBB26_2:
	v_mov_b32_e32 v9, s1
	v_mov_b32_e32 v8, s0
	s_andn2_b32 vcc_lo, exec_lo, s3
	s_cbranch_vccnz .LBB26_4
; %bb.3:
	v_mov_b32_e32 v5, s1
	v_mov_b32_e32 v4, s0
	flat_load_dwordx2 v[8:9], v[4:5]
.LBB26_4:
	s_waitcnt vmcnt(0) lgkmcnt(0)
	v_cmp_neq_f64_e32 vcc_lo, 0, v[2:3]
	v_cmp_neq_f64_e64 s0, 1.0, v[8:9]
	s_or_b32 s0, vcc_lo, s0
	s_and_saveexec_b32 s1, s0
	s_cbranch_execz .LBB26_10
; %bb.5:
	s_clause 0x1
	s_load_dwordx2 s[8:9], s[4:5], 0x18
	s_load_dwordx2 s[0:1], s[4:5], 0x0
	v_lshrrev_b32_e32 v1, 3, v0
	v_lshl_or_b32 v10, s6, 4, v1
	s_waitcnt lgkmcnt(0)
	s_cmp_lg_u64 s[8:9], 0
	s_cbranch_scc0 .LBB26_11
; %bb.6:
	s_load_dword s3, s[4:5], 0x10
	s_mov_b32 s6, 0
                                        ; implicit-def: $vgpr1
	s_waitcnt lgkmcnt(0)
	v_cmp_gt_i32_e32 vcc_lo, s3, v10
	s_mov_b32 s3, 0
	s_and_saveexec_b32 s7, vcc_lo
	s_xor_b32 s7, exec_lo, s7
	s_cbranch_execz .LBB26_8
; %bb.7:
	v_ashrrev_i32_e32 v11, 31, v10
	s_mov_b32 s3, exec_lo
	v_lshlrev_b64 v[4:5], 2, v[10:11]
	v_add_co_u32 v4, vcc_lo, s8, v4
	v_add_co_ci_u32_e64 v5, null, s9, v5, vcc_lo
	global_load_dword v1, v[4:5], off
	s_waitcnt vmcnt(0)
	v_subrev_nc_u32_e32 v1, s2, v1
.LBB26_8:
	s_or_b32 exec_lo, exec_lo, s7
	s_and_b32 vcc_lo, exec_lo, s6
	s_cbranch_vccz .LBB26_12
.LBB26_9:
	v_cmp_gt_i32_e32 vcc_lo, s0, v10
	s_andn2_b32 s0, s3, exec_lo
	s_and_b32 s3, vcc_lo, exec_lo
	s_or_b32 s3, s0, s3
	s_and_b32 exec_lo, exec_lo, s3
	s_cbranch_execnz .LBB26_13
.LBB26_10:
	s_endpgm
.LBB26_11:
	s_mov_b32 s3, 0
                                        ; implicit-def: $vgpr1
	s_cbranch_execnz .LBB26_9
.LBB26_12:
	v_mov_b32_e32 v10, v1
	s_and_b32 exec_lo, exec_lo, s3
	s_cbranch_execz .LBB26_10
.LBB26_13:
	s_load_dwordx8 s[8:15], s[4:5], 0x20
	v_ashrrev_i32_e32 v11, 31, v10
	v_and_b32_e32 v31, 7, v0
	s_load_dwordx2 s[6:7], s[4:5], 0x40
	v_lshlrev_b64 v[4:5], 3, v[10:11]
	s_waitcnt lgkmcnt(0)
	v_add_co_u32 v6, vcc_lo, s8, v4
	v_add_co_ci_u32_e64 v7, null, s9, v5, vcc_lo
	v_add_co_u32 v1, vcc_lo, s10, v4
	v_add_co_ci_u32_e64 v4, null, s11, v5, vcc_lo
	v_add_co_u32 v11, vcc_lo, v6, 8
	global_load_dwordx2 v[19:20], v[6:7], off
	v_add_co_ci_u32_e64 v5, null, 0, v7, vcc_lo
	s_cmp_eq_u64 s[10:11], 0
	s_cselect_b32 vcc_lo, -1, 0
	s_cmp_eq_u32 s1, 1
	v_cndmask_b32_e32 v5, v4, v5, vcc_lo
	v_cndmask_b32_e32 v4, v1, v11, vcc_lo
	global_load_dwordx2 v[4:5], v[4:5], off
	s_waitcnt vmcnt(1)
	v_sub_co_u32 v0, vcc_lo, v19, s2
	v_subrev_co_ci_u32_e64 v1, null, 0, v20, vcc_lo
	v_add_co_u32 v0, vcc_lo, v0, v31
	v_add_co_ci_u32_e64 v1, null, 0, v1, vcc_lo
	v_lshlrev_b64 v[6:7], 7, v[0:1]
	s_waitcnt vmcnt(0)
	v_sub_co_u32 v4, vcc_lo, v4, s2
	v_subrev_co_ci_u32_e64 v5, null, 0, v5, vcc_lo
	v_add_co_u32 v6, vcc_lo, s14, v6
	v_cmp_lt_i64_e64 s0, v[0:1], v[4:5]
	v_add_co_ci_u32_e64 v7, null, s15, v7, vcc_lo
	s_cbranch_scc1 .LBB26_25
; %bb.14:
	v_mov_b32_e32 v11, 0
	v_mov_b32_e32 v13, 0
	v_mov_b32_e32 v15, 0
	v_mov_b32_e32 v17, 0
	v_mov_b32_e32 v12, 0
	v_mov_b32_e32 v14, 0
	v_mov_b32_e32 v16, 0
	v_mov_b32_e32 v18, 0
	s_and_saveexec_b32 s3, s0
	s_cbranch_execz .LBB26_24
; %bb.15:
	v_or_b32_e32 v11, 8, v31
	v_not_b32_e32 v14, v19
	v_not_b32_e32 v13, v20
	v_mov_b32_e32 v22, 0
	v_mov_b32_e32 v17, 0
	v_sub_co_u32 v11, s1, v11, s2
	v_sub_co_ci_u32_e64 v12, null, 0, 0, s1
	v_sub_co_u32 v15, s1, s2, v31
	v_add_co_u32 v11, vcc_lo, v11, v19
	v_add_co_ci_u32_e64 v12, null, v12, v20, vcc_lo
	v_sub_co_ci_u32_e64 v16, null, 0, 0, s1
	v_mov_b32_e32 v24, v1
	v_cmp_gt_i64_e32 vcc_lo, v[11:12], v[4:5]
	v_mov_b32_e32 v18, 0
	v_mov_b32_e32 v23, v0
	v_cndmask_b32_e32 v12, v5, v12, vcc_lo
	v_cndmask_b32_e32 v11, v4, v11, vcc_lo
	v_add_co_u32 v14, vcc_lo, v15, v14
	v_add_co_ci_u32_e64 v13, null, v16, v13, vcc_lo
	v_mov_b32_e32 v15, 0
	v_add_co_u32 v25, vcc_lo, v14, v11
	v_add_co_ci_u32_e64 v26, null, v13, v12, vcc_lo
	v_mov_b32_e32 v13, 0
	v_and_b32_e32 v21, 24, v25
	v_mov_b32_e32 v11, 0
	v_mov_b32_e32 v16, 0
	;; [unrolled: 1-line block ×4, first 2 shown]
	v_cmp_ne_u64_e32 vcc_lo, 24, v[21:22]
	v_mov_b32_e32 v22, v7
	v_mov_b32_e32 v21, v6
	s_and_saveexec_b32 s8, vcc_lo
	s_cbranch_execz .LBB26_19
; %bb.16:
	v_lshrrev_b32_e32 v11, 3, v25
	v_lshlrev_b64 v[17:18], 2, v[0:1]
	v_mov_b32_e32 v22, v7
	v_mov_b32_e32 v13, 0
	;; [unrolled: 1-line block ×3, first 2 shown]
	v_add_nc_u32_e32 v23, 1, v11
	v_mov_b32_e32 v11, 0
	v_add_co_u32 v27, vcc_lo, s12, v17
	v_add_co_ci_u32_e64 v28, null, s13, v18, vcc_lo
	v_and_b32_e32 v23, 3, v23
	v_mov_b32_e32 v17, 0
	v_mov_b32_e32 v12, 0
	;; [unrolled: 1-line block ×4, first 2 shown]
	v_sub_co_u32 v29, s1, 0, v23
	v_mov_b32_e32 v24, v1
	v_mov_b32_e32 v16, 0
	v_sub_co_ci_u32_e64 v30, null, 0, 0, s1
	v_mov_b32_e32 v18, 0
	v_mov_b32_e32 v23, v0
	s_mov_b32 s9, 0
.LBB26_17:                              ; =>This Inner Loop Header: Depth=1
	global_load_dword v60, v[27:28], off
	s_clause 0x6
	global_load_dwordx4 v[32:35], v[21:22], off offset:48
	global_load_dwordx4 v[36:39], v[21:22], off offset:32
	;; [unrolled: 1-line block ×3, first 2 shown]
	global_load_dwordx4 v[44:47], v[21:22], off
	global_load_dwordx4 v[48:51], v[21:22], off offset:112
	global_load_dwordx4 v[52:55], v[21:22], off offset:96
	;; [unrolled: 1-line block ×3, first 2 shown]
	v_add_co_u32 v27, s1, v27, 32
	v_add_co_ci_u32_e64 v28, null, 0, v28, s1
	s_waitcnt vmcnt(7)
	v_subrev_nc_u32_e32 v60, s2, v60
	v_lshlrev_b32_e32 v60, 2, v60
	v_ashrrev_i32_e32 v61, 31, v60
	v_lshlrev_b64 v[60:61], 3, v[60:61]
	v_add_co_u32 v68, vcc_lo, s6, v60
	v_add_co_ci_u32_e64 v69, null, s7, v61, vcc_lo
	global_load_dwordx4 v[60:63], v[21:22], off offset:64
	s_clause 0x1
	global_load_dwordx4 v[64:67], v[68:69], off
	global_load_dwordx4 v[68:71], v[68:69], off offset:16
	v_add_co_u32 v21, vcc_lo, 0x400, v21
	v_add_co_ci_u32_e64 v22, null, 0, v22, vcc_lo
	v_add_co_u32 v29, vcc_lo, v29, 1
	v_add_co_ci_u32_e64 v30, null, 0, v30, vcc_lo
	;; [unrolled: 2-line block ×3, first 2 shown]
	v_cmp_eq_u64_e32 vcc_lo, 0, v[29:30]
	s_or_b32 s9, vcc_lo, s9
	s_waitcnt vmcnt(1)
	v_fma_f64 v[17:18], v[44:45], v[64:65], v[17:18]
	v_fma_f64 v[15:16], v[36:37], v[64:65], v[15:16]
	;; [unrolled: 1-line block ×8, first 2 shown]
	s_waitcnt vmcnt(0)
	v_fma_f64 v[17:18], v[40:41], v[68:69], v[17:18]
	v_fma_f64 v[15:16], v[32:33], v[68:69], v[15:16]
	;; [unrolled: 1-line block ×8, first 2 shown]
	s_andn2_b32 exec_lo, exec_lo, s9
	s_cbranch_execnz .LBB26_17
; %bb.18:
	s_or_b32 exec_lo, exec_lo, s9
.LBB26_19:
	s_or_b32 exec_lo, exec_lo, s8
	s_mov_b32 s8, exec_lo
	v_cmpx_lt_u64_e32 23, v[25:26]
	s_cbranch_execz .LBB26_23
; %bb.20:
	v_lshlrev_b64 v[25:26], 2, v[23:24]
	s_mov_b32 s9, 0
	v_add_co_u32 v25, vcc_lo, s12, v25
	v_add_co_ci_u32_e64 v26, null, s13, v26, vcc_lo
	v_add_co_u32 v25, vcc_lo, v25, 64
	v_add_co_ci_u32_e64 v26, null, 0, v26, vcc_lo
.LBB26_21:                              ; =>This Inner Loop Header: Depth=1
	global_load_dword v120, v[25:26], off offset:-64
	s_clause 0xd
	global_load_dwordx4 v[27:30], v[21:22], off offset:48
	global_load_dwordx4 v[32:35], v[21:22], off offset:32
	;; [unrolled: 1-line block ×3, first 2 shown]
	global_load_dwordx4 v[40:43], v[21:22], off
	global_load_dwordx4 v[44:47], v[21:22], off offset:112
	global_load_dwordx4 v[48:51], v[21:22], off offset:96
	;; [unrolled: 1-line block ×10, first 2 shown]
	v_add_co_u32 v128, vcc_lo, 0x800, v21
	v_add_co_ci_u32_e64 v129, null, 0, v22, vcc_lo
	s_clause 0x1
	global_load_dwordx4 v[84:87], v[21:22], off offset:1104
	global_load_dwordx4 v[88:91], v[21:22], off offset:1088
	s_clause 0x2
	global_load_dword v134, v[25:26], off offset:-32
	global_load_dword v136, v[25:26], off
	global_load_dword v137, v[25:26], off offset:32
	s_clause 0x6
	global_load_dwordx4 v[92:95], v[128:129], off offset:48
	global_load_dwordx4 v[96:99], v[128:129], off offset:32
	global_load_dwordx4 v[100:103], v[128:129], off
	global_load_dwordx4 v[104:107], v[128:129], off offset:16
	global_load_dwordx4 v[108:111], v[128:129], off offset:112
	global_load_dwordx4 v[112:115], v[128:129], off offset:96
	global_load_dwordx4 v[116:119], v[128:129], off offset:80
	v_add_co_u32 v21, s1, 0x1000, v21
	v_add_co_ci_u32_e64 v22, null, 0, v22, s1
	s_waitcnt vmcnt(26)
	v_subrev_nc_u32_e32 v120, s2, v120
	v_lshlrev_b32_e32 v120, 2, v120
	v_ashrrev_i32_e32 v121, 31, v120
	v_lshlrev_b64 v[120:121], 3, v[120:121]
	v_add_co_u32 v124, vcc_lo, s6, v120
	v_add_co_ci_u32_e64 v125, null, s7, v121, vcc_lo
	s_clause 0x1
	global_load_dwordx4 v[120:123], v[124:125], off
	global_load_dwordx4 v[124:127], v[124:125], off offset:16
	s_waitcnt vmcnt(1)
	v_fma_f64 v[13:14], v[56:57], v[120:121], v[13:14]
	v_subrev_nc_u32_e32 v56, s2, v134
	v_fma_f64 v[17:18], v[40:41], v[120:121], v[17:18]
	v_fma_f64 v[15:16], v[32:33], v[120:121], v[15:16]
	;; [unrolled: 1-line block ×3, first 2 shown]
	v_subrev_nc_u32_e32 v120, s2, v136
	v_lshlrev_b32_e32 v56, 2, v56
	v_lshlrev_b32_e32 v120, 2, v120
	v_ashrrev_i32_e32 v57, 31, v56
	v_ashrrev_i32_e32 v121, 31, v120
	v_lshlrev_b64 v[56:57], 3, v[56:57]
	v_lshlrev_b64 v[120:121], 3, v[120:121]
	v_add_co_u32 v134, vcc_lo, s6, v56
	v_add_co_ci_u32_e64 v135, null, s7, v57, vcc_lo
	v_fma_f64 v[17:18], v[42:43], v[122:123], v[17:18]
	global_load_dwordx4 v[40:43], v[128:129], off offset:64
	v_fma_f64 v[130:131], v[34:35], v[122:123], v[15:16]
	global_load_dwordx4 v[32:35], v[128:129], off offset:1072
	;; [unrolled: 2-line block ×3, first 2 shown]
	v_fma_f64 v[11:12], v[50:51], v[122:123], v[11:12]
	global_load_dwordx4 v[48:51], v[134:135], off
	global_load_dwordx4 v[56:59], v[128:129], off offset:1040
	v_add_co_u32 v120, vcc_lo, s6, v120
	v_add_co_ci_u32_e64 v121, null, s7, v121, vcc_lo
	v_subrev_nc_u32_e32 v122, s2, v137
	s_waitcnt vmcnt(5)
	v_fma_f64 v[17:18], v[36:37], v[124:125], v[17:18]
	v_fma_f64 v[27:28], v[27:28], v[124:125], v[130:131]
	;; [unrolled: 1-line block ×4, first 2 shown]
	v_lshlrev_b32_e32 v124, 2, v122
	v_ashrrev_i32_e32 v125, 31, v124
	v_lshlrev_b64 v[124:125], 3, v[124:125]
	v_fma_f64 v[17:18], v[38:39], v[126:127], v[17:18]
	global_load_dwordx4 v[36:39], v[134:135], off offset:16
	v_fma_f64 v[130:131], v[29:30], v[126:127], v[27:28]
	s_clause 0x1
	global_load_dwordx4 v[27:30], v[120:121], off
	global_load_dwordx4 v[120:123], v[120:121], off offset:16
	v_add_co_u32 v134, vcc_lo, s6, v124
	v_add_co_ci_u32_e64 v135, null, s7, v125, vcc_lo
	v_fma_f64 v[132:133], v[54:55], v[126:127], v[52:53]
	global_load_dwordx4 v[52:55], v[128:129], off offset:1024
	v_fma_f64 v[11:12], v[46:47], v[126:127], v[11:12]
	s_clause 0x1
	global_load_dwordx4 v[44:47], v[128:129], off offset:1120
	global_load_dwordx4 v[124:127], v[128:129], off offset:1088
	v_add_co_u32 v23, vcc_lo, v23, 32
	v_add_co_ci_u32_e64 v24, null, 0, v24, vcc_lo
	v_add_co_u32 v25, vcc_lo, 0x80, v25
	v_add_co_ci_u32_e64 v26, null, 0, v26, vcc_lo
	v_cmp_ge_i64_e32 vcc_lo, v[23:24], v[4:5]
	s_or_b32 s9, vcc_lo, s9
	s_waitcnt vmcnt(7)
	v_fma_f64 v[17:18], v[72:73], v[48:49], v[17:18]
	v_fma_f64 v[64:65], v[64:65], v[48:49], v[130:131]
	;; [unrolled: 1-line block ×5, first 2 shown]
	global_load_dwordx4 v[72:75], v[134:135], off
	v_fma_f64 v[136:137], v[66:67], v[50:51], v[64:65]
	global_load_dwordx4 v[64:67], v[128:129], off offset:1136
	v_fma_f64 v[132:133], v[90:91], v[50:51], v[88:89]
	global_load_dwordx4 v[88:91], v[128:129], off offset:1104
	global_load_dwordx4 v[128:131], v[134:135], off offset:16
	v_fma_f64 v[11:12], v[82:83], v[50:51], v[11:12]
	s_waitcnt vmcnt(9)
	v_fma_f64 v[17:18], v[68:69], v[36:37], v[17:18]
	v_fma_f64 v[48:49], v[60:61], v[36:37], v[136:137]
	v_fma_f64 v[50:51], v[84:85], v[36:37], v[132:133]
	v_fma_f64 v[11:12], v[76:77], v[36:37], v[11:12]
	v_fma_f64 v[17:18], v[70:71], v[38:39], v[17:18]
	v_fma_f64 v[36:37], v[62:63], v[38:39], v[48:49]
	v_fma_f64 v[48:49], v[86:87], v[38:39], v[50:51]
	v_fma_f64 v[11:12], v[78:79], v[38:39], v[11:12]
	s_waitcnt vmcnt(8)
	v_fma_f64 v[17:18], v[100:101], v[27:28], v[17:18]
	v_fma_f64 v[36:37], v[96:97], v[27:28], v[36:37]
	v_fma_f64 v[38:39], v[40:41], v[27:28], v[48:49]
	v_fma_f64 v[11:12], v[112:113], v[27:28], v[11:12]
	v_fma_f64 v[17:18], v[102:103], v[29:30], v[17:18]
	v_fma_f64 v[27:28], v[98:99], v[29:30], v[36:37]
	v_fma_f64 v[36:37], v[42:43], v[29:30], v[38:39]
	;; [unrolled: 9-line block ×5, first 2 shown]
	v_fma_f64 v[11:12], v[66:67], v[130:131], v[11:12]
	s_andn2_b32 exec_lo, exec_lo, s9
	s_cbranch_execnz .LBB26_21
; %bb.22:
	s_or_b32 exec_lo, exec_lo, s9
.LBB26_23:
	s_or_b32 exec_lo, exec_lo, s8
.LBB26_24:
	s_or_b32 exec_lo, exec_lo, s3
	s_cbranch_execz .LBB26_26
	s_branch .LBB26_37
.LBB26_25:
                                        ; implicit-def: $vgpr11_vgpr12
                                        ; implicit-def: $vgpr13_vgpr14
                                        ; implicit-def: $vgpr15_vgpr16
                                        ; implicit-def: $vgpr17_vgpr18
.LBB26_26:
	v_mov_b32_e32 v11, 0
	v_mov_b32_e32 v13, 0
	v_mov_b32_e32 v15, 0
	v_mov_b32_e32 v17, 0
	v_mov_b32_e32 v12, 0
	v_mov_b32_e32 v14, 0
	v_mov_b32_e32 v16, 0
	v_mov_b32_e32 v18, 0
	s_and_saveexec_b32 s1, s0
	s_cbranch_execz .LBB26_36
; %bb.27:
	v_or_b32_e32 v11, 8, v31
	v_not_b32_e32 v14, v19
	v_not_b32_e32 v13, v20
	v_sub_co_u32 v11, s0, v11, s2
	v_sub_co_ci_u32_e64 v12, null, 0, 0, s0
	v_sub_co_u32 v15, s0, s2, v31
	v_add_co_u32 v11, vcc_lo, v11, v19
	v_add_co_ci_u32_e64 v12, null, v12, v20, vcc_lo
	v_sub_co_ci_u32_e64 v16, null, 0, 0, s0
	v_cmp_gt_i64_e32 vcc_lo, v[11:12], v[4:5]
	v_cndmask_b32_e32 v17, v5, v12, vcc_lo
	v_cndmask_b32_e32 v11, v4, v11, vcc_lo
	v_add_co_u32 v12, vcc_lo, v15, v14
	v_add_co_ci_u32_e64 v13, null, v16, v13, vcc_lo
	v_mov_b32_e32 v15, 0
	v_add_co_u32 v19, vcc_lo, v12, v11
	v_mov_b32_e32 v12, 0
	v_add_co_ci_u32_e64 v20, null, v13, v17, vcc_lo
	v_and_b32_e32 v11, 24, v19
	v_mov_b32_e32 v17, 0
	v_mov_b32_e32 v13, 0
	;; [unrolled: 1-line block ×4, first 2 shown]
	v_cmp_ne_u64_e32 vcc_lo, 24, v[11:12]
	v_mov_b32_e32 v11, 0
	v_mov_b32_e32 v14, 0
	;; [unrolled: 1-line block ×3, first 2 shown]
	s_and_saveexec_b32 s3, vcc_lo
	s_cbranch_execz .LBB26_31
; %bb.28:
	v_lshrrev_b32_e32 v11, 3, v19
	v_lshlrev_b64 v[21:22], 2, v[0:1]
	v_mov_b32_e32 v13, 0
	v_mov_b32_e32 v15, 0
	;; [unrolled: 1-line block ×3, first 2 shown]
	v_add_nc_u32_e32 v23, 1, v11
	v_mov_b32_e32 v11, 0
	v_add_co_u32 v21, vcc_lo, s12, v21
	v_mov_b32_e32 v12, 0
	v_and_b32_e32 v23, 3, v23
	v_mov_b32_e32 v14, 0
	v_mov_b32_e32 v16, 0
	;; [unrolled: 1-line block ×3, first 2 shown]
	v_add_co_ci_u32_e64 v22, null, s13, v22, vcc_lo
	v_sub_co_u32 v23, s0, 0, v23
	v_sub_co_ci_u32_e64 v24, null, 0, 0, s0
	s_mov_b32 s8, 0
.LBB26_29:                              ; =>This Inner Loop Header: Depth=1
	global_load_dword v29, v[21:22], off
	global_load_dwordx4 v[25:28], v[6:7], off offset:16
	v_add_co_u32 v21, s0, v21, 32
	v_add_co_ci_u32_e64 v22, null, 0, v22, s0
	s_waitcnt vmcnt(1)
	v_subrev_nc_u32_e32 v29, s2, v29
	v_lshlrev_b32_e32 v29, 2, v29
	v_ashrrev_i32_e32 v30, 31, v29
	v_lshlrev_b64 v[29:30], 3, v[29:30]
	v_add_co_u32 v29, vcc_lo, s6, v29
	v_add_co_ci_u32_e64 v30, null, s7, v30, vcc_lo
	global_load_dwordx4 v[32:35], v[6:7], off
	s_clause 0x1
	global_load_dwordx4 v[36:39], v[29:30], off
	global_load_dwordx4 v[40:43], v[29:30], off offset:16
	s_clause 0x5
	global_load_dwordx4 v[44:47], v[6:7], off offset:32
	global_load_dwordx4 v[48:51], v[6:7], off offset:48
	;; [unrolled: 1-line block ×6, first 2 shown]
	v_add_co_u32 v6, vcc_lo, 0x400, v6
	v_add_co_ci_u32_e64 v7, null, 0, v7, vcc_lo
	v_add_co_u32 v23, vcc_lo, v23, 1
	v_add_co_ci_u32_e64 v24, null, 0, v24, vcc_lo
	;; [unrolled: 2-line block ×3, first 2 shown]
	v_cmp_eq_u64_e32 vcc_lo, 0, v[23:24]
	s_or_b32 s8, vcc_lo, s8
	s_waitcnt vmcnt(7)
	v_fma_f64 v[17:18], v[32:33], v[36:37], v[17:18]
	v_fma_f64 v[15:16], v[34:35], v[36:37], v[15:16]
	;; [unrolled: 1-line block ×4, first 2 shown]
	s_waitcnt vmcnt(5)
	v_fma_f64 v[17:18], v[44:45], v[38:39], v[17:18]
	v_fma_f64 v[15:16], v[46:47], v[38:39], v[15:16]
	s_waitcnt vmcnt(4)
	v_fma_f64 v[13:14], v[48:49], v[38:39], v[13:14]
	v_fma_f64 v[11:12], v[50:51], v[38:39], v[11:12]
	;; [unrolled: 3-line block ×6, first 2 shown]
	s_andn2_b32 exec_lo, exec_lo, s8
	s_cbranch_execnz .LBB26_29
; %bb.30:
	s_or_b32 exec_lo, exec_lo, s8
.LBB26_31:
	s_or_b32 exec_lo, exec_lo, s3
	s_mov_b32 s3, exec_lo
	v_cmpx_lt_u64_e32 23, v[19:20]
	s_cbranch_execz .LBB26_35
; %bb.32:
	v_lshlrev_b64 v[19:20], 2, v[0:1]
	s_mov_b32 s8, 0
	v_add_co_u32 v19, vcc_lo, s12, v19
	v_add_co_ci_u32_e64 v20, null, s13, v20, vcc_lo
	v_add_co_u32 v19, vcc_lo, v19, 64
	v_add_co_ci_u32_e64 v20, null, 0, v20, vcc_lo
.LBB26_33:                              ; =>This Inner Loop Header: Depth=1
	s_clause 0x1
	global_load_dword v30, v[19:20], off offset:-64
	global_load_dword v80, v[19:20], off offset:-32
	s_clause 0xb
	global_load_dwordx4 v[21:24], v[6:7], off offset:48
	global_load_dwordx4 v[25:28], v[6:7], off offset:32
	;; [unrolled: 1-line block ×3, first 2 shown]
	global_load_dwordx4 v[36:39], v[6:7], off
	global_load_dwordx4 v[40:43], v[6:7], off offset:112
	global_load_dwordx4 v[44:47], v[6:7], off offset:96
	;; [unrolled: 1-line block ×8, first 2 shown]
	s_clause 0x1
	global_load_dword v112, v[19:20], off
	global_load_dword v114, v[19:20], off offset:32
	s_clause 0x1
	global_load_dwordx4 v[72:75], v[6:7], off offset:1104
	global_load_dwordx4 v[76:79], v[6:7], off offset:1088
	v_add_co_u32 v29, vcc_lo, 0x800, v6
	s_waitcnt vmcnt(17)
	v_subrev_nc_u32_e32 v30, s2, v30
	s_waitcnt vmcnt(16)
	v_subrev_nc_u32_e32 v81, s2, v80
	v_lshlrev_b32_e32 v80, 2, v30
	v_lshlrev_b32_e32 v82, 2, v81
	v_add_co_ci_u32_e64 v30, null, 0, v7, vcc_lo
	v_ashrrev_i32_e32 v81, 31, v80
	v_ashrrev_i32_e32 v83, 31, v82
	s_waitcnt vmcnt(3)
	v_subrev_nc_u32_e32 v112, s2, v112
	v_lshlrev_b64 v[80:81], 3, v[80:81]
	v_lshlrev_b64 v[82:83], 3, v[82:83]
	v_add_co_u32 v84, s0, s6, v80
	v_add_co_ci_u32_e64 v85, null, s7, v81, s0
	v_add_co_u32 v92, s0, s6, v82
	v_add_co_ci_u32_e64 v93, null, s7, v83, s0
	s_clause 0x3
	global_load_dwordx4 v[80:83], v[84:85], off
	global_load_dwordx4 v[84:87], v[84:85], off offset:16
	global_load_dwordx4 v[88:91], v[92:93], off
	global_load_dwordx4 v[92:95], v[92:93], off offset:16
	s_clause 0x3
	global_load_dwordx4 v[96:99], v[6:7], off offset:1136
	global_load_dwordx4 v[100:103], v[6:7], off offset:1120
	global_load_dwordx4 v[104:107], v[29:30], off
	global_load_dwordx4 v[108:111], v[29:30], off offset:16
	v_add_co_u32 v6, s0, 0x1000, v6
	v_add_co_ci_u32_e64 v7, null, 0, v7, s0
	s_waitcnt vmcnt(7)
	v_fma_f64 v[17:18], v[36:37], v[80:81], v[17:18]
	v_lshlrev_b32_e32 v36, 2, v112
	v_fma_f64 v[15:16], v[38:39], v[80:81], v[15:16]
	v_fma_f64 v[32:33], v[32:33], v[80:81], v[13:14]
	;; [unrolled: 1-line block ×3, first 2 shown]
	v_ashrrev_i32_e32 v37, 31, v36
	v_lshlrev_b64 v[36:37], 3, v[36:37]
	v_add_co_u32 v36, vcc_lo, s6, v36
	v_add_co_ci_u32_e64 v37, null, s7, v37, vcc_lo
	v_fma_f64 v[38:39], v[25:26], v[82:83], v[17:18]
	global_load_dwordx4 v[11:14], v[36:37], off
	v_fma_f64 v[80:81], v[27:28], v[82:83], v[15:16]
	global_load_dwordx4 v[15:18], v[29:30], off offset:32
	v_fma_f64 v[112:113], v[21:22], v[82:83], v[32:33]
	v_fma_f64 v[82:83], v[23:24], v[82:83], v[34:35]
	s_clause 0x1
	global_load_dwordx4 v[21:24], v[29:30], off offset:48
	global_load_dwordx4 v[25:28], v[29:30], off offset:80
	s_waitcnt vmcnt(10)
	v_fma_f64 v[52:53], v[52:53], v[84:85], v[38:39]
	global_load_dwordx4 v[32:35], v[29:30], off offset:64
	global_load_dwordx4 v[36:39], v[36:37], off offset:16
	v_fma_f64 v[54:55], v[54:55], v[84:85], v[80:81]
	v_fma_f64 v[80:81], v[48:49], v[84:85], v[112:113]
	;; [unrolled: 1-line block ×3, first 2 shown]
	global_load_dwordx4 v[48:51], v[29:30], off offset:112
	v_fma_f64 v[84:85], v[44:45], v[86:87], v[52:53]
	v_subrev_nc_u32_e32 v52, s2, v114
	v_fma_f64 v[112:113], v[46:47], v[86:87], v[54:55]
	global_load_dwordx4 v[44:47], v[29:30], off offset:96
	v_fma_f64 v[80:81], v[40:41], v[86:87], v[80:81]
	v_lshlrev_b32_e32 v52, 2, v52
	v_fma_f64 v[82:83], v[42:43], v[86:87], v[82:83]
	global_load_dwordx4 v[40:43], v[29:30], off offset:1040
	v_ashrrev_i32_e32 v53, 31, v52
	v_lshlrev_b64 v[52:53], 3, v[52:53]
	v_add_co_u32 v86, vcc_lo, s6, v52
	v_add_co_ci_u32_e64 v87, null, s7, v53, vcc_lo
	global_load_dwordx4 v[52:55], v[29:30], off offset:1024
	s_waitcnt vmcnt(15)
	v_fma_f64 v[84:85], v[68:69], v[88:89], v[84:85]
	v_fma_f64 v[112:113], v[70:71], v[88:89], v[112:113]
	global_load_dwordx4 v[68:71], v[86:87], off
	v_fma_f64 v[80:81], v[64:65], v[88:89], v[80:81]
	v_fma_f64 v[82:83], v[66:67], v[88:89], v[82:83]
	global_load_dwordx4 v[64:67], v[29:30], off offset:1056
	v_add_co_u32 v0, vcc_lo, v0, 32
	v_add_co_ci_u32_e64 v1, null, 0, v1, vcc_lo
	v_add_co_u32 v19, vcc_lo, 0x80, v19
	v_add_co_ci_u32_e64 v20, null, 0, v20, vcc_lo
	v_cmp_ge_i64_e32 vcc_lo, v[0:1], v[4:5]
	s_or_b32 s8, vcc_lo, s8
	v_fma_f64 v[84:85], v[60:61], v[90:91], v[84:85]
	v_fma_f64 v[88:89], v[62:63], v[90:91], v[112:113]
	global_load_dwordx4 v[60:63], v[29:30], off offset:1072
	v_fma_f64 v[112:113], v[56:57], v[90:91], v[80:81]
	v_fma_f64 v[90:91], v[58:59], v[90:91], v[82:83]
	s_clause 0x1
	global_load_dwordx4 v[56:59], v[29:30], off offset:1088
	global_load_dwordx4 v[80:83], v[29:30], off offset:1104
	s_waitcnt vmcnt(19)
	v_fma_f64 v[114:115], v[76:77], v[92:93], v[84:85]
	v_fma_f64 v[88:89], v[78:79], v[92:93], v[88:89]
	global_load_dwordx4 v[76:79], v[86:87], off offset:16
	v_fma_f64 v[112:113], v[72:73], v[92:93], v[112:113]
	v_fma_f64 v[90:91], v[74:75], v[92:93], v[90:91]
	s_clause 0x1
	global_load_dwordx4 v[72:75], v[29:30], off offset:1120
	global_load_dwordx4 v[84:87], v[29:30], off offset:1136
	s_waitcnt vmcnt(20)
	v_fma_f64 v[29:30], v[100:101], v[94:95], v[114:115]
	v_fma_f64 v[88:89], v[102:103], v[94:95], v[88:89]
	v_fma_f64 v[92:93], v[96:97], v[94:95], v[112:113]
	v_fma_f64 v[90:91], v[98:99], v[94:95], v[90:91]
	s_waitcnt vmcnt(17)
	v_fma_f64 v[29:30], v[104:105], v[11:12], v[29:30]
	v_fma_f64 v[88:89], v[106:107], v[11:12], v[88:89]
	;; [unrolled: 1-line block ×4, first 2 shown]
	s_waitcnt vmcnt(16)
	v_fma_f64 v[15:16], v[15:16], v[13:14], v[29:30]
	v_fma_f64 v[17:18], v[17:18], v[13:14], v[88:89]
	s_waitcnt vmcnt(15)
	v_fma_f64 v[21:22], v[21:22], v[13:14], v[92:93]
	v_fma_f64 v[11:12], v[23:24], v[13:14], v[11:12]
	;; [unrolled: 3-line block ×3, first 2 shown]
	v_fma_f64 v[17:18], v[25:26], v[36:37], v[21:22]
	v_fma_f64 v[11:12], v[27:28], v[36:37], v[11:12]
	s_waitcnt vmcnt(10)
	v_fma_f64 v[13:14], v[44:45], v[38:39], v[13:14]
	v_fma_f64 v[15:16], v[46:47], v[38:39], v[15:16]
	v_fma_f64 v[17:18], v[48:49], v[38:39], v[17:18]
	v_fma_f64 v[11:12], v[50:51], v[38:39], v[11:12]
	s_waitcnt vmcnt(7)
	v_fma_f64 v[13:14], v[52:53], v[68:69], v[13:14]
	v_fma_f64 v[15:16], v[54:55], v[68:69], v[15:16]
	;; [unrolled: 5-line block ×3, first 2 shown]
	s_waitcnt vmcnt(5)
	v_fma_f64 v[17:18], v[60:61], v[70:71], v[17:18]
	v_fma_f64 v[11:12], v[62:63], v[70:71], v[11:12]
	s_waitcnt vmcnt(2)
	v_fma_f64 v[13:14], v[56:57], v[76:77], v[13:14]
	v_fma_f64 v[15:16], v[58:59], v[76:77], v[15:16]
	;; [unrolled: 1-line block ×4, first 2 shown]
	s_waitcnt vmcnt(1)
	v_fma_f64 v[17:18], v[72:73], v[78:79], v[13:14]
	v_fma_f64 v[15:16], v[74:75], v[78:79], v[15:16]
	s_waitcnt vmcnt(0)
	v_fma_f64 v[13:14], v[84:85], v[78:79], v[21:22]
	v_fma_f64 v[11:12], v[86:87], v[78:79], v[11:12]
	s_andn2_b32 exec_lo, exec_lo, s8
	s_cbranch_execnz .LBB26_33
; %bb.34:
	s_or_b32 exec_lo, exec_lo, s8
.LBB26_35:
	s_or_b32 exec_lo, exec_lo, s3
.LBB26_36:
	s_or_b32 exec_lo, exec_lo, s1
.LBB26_37:
	v_mbcnt_lo_u32_b32 v23, -1, 0
	v_xor_b32_e32 v0, 4, v23
	v_cmp_gt_i32_e32 vcc_lo, 32, v0
	v_cndmask_b32_e32 v0, v23, v0, vcc_lo
	v_lshlrev_b32_e32 v20, 2, v0
	ds_bpermute_b32 v0, v20, v17
	ds_bpermute_b32 v1, v20, v18
	;; [unrolled: 1-line block ×8, first 2 shown]
	s_waitcnt lgkmcnt(6)
	v_add_f64 v[0:1], v[17:18], v[0:1]
	s_waitcnt lgkmcnt(4)
	v_add_f64 v[4:5], v[15:16], v[4:5]
	;; [unrolled: 2-line block ×3, first 2 shown]
	v_xor_b32_e32 v6, 2, v23
	s_waitcnt lgkmcnt(0)
	v_add_f64 v[15:16], v[11:12], v[19:20]
	v_cmp_gt_i32_e32 vcc_lo, 32, v6
	v_cndmask_b32_e32 v6, v23, v6, vcc_lo
	v_lshlrev_b32_e32 v11, 2, v6
	ds_bpermute_b32 v6, v11, v0
	ds_bpermute_b32 v7, v11, v1
	;; [unrolled: 1-line block ×8, first 2 shown]
	s_waitcnt lgkmcnt(6)
	v_add_f64 v[11:12], v[0:1], v[6:7]
	s_waitcnt lgkmcnt(4)
	v_add_f64 v[6:7], v[4:5], v[17:18]
	;; [unrolled: 2-line block ×3, first 2 shown]
	v_xor_b32_e32 v13, 1, v23
	s_waitcnt lgkmcnt(0)
	v_add_f64 v[4:5], v[15:16], v[21:22]
	v_cmp_gt_i32_e32 vcc_lo, 32, v13
	v_cndmask_b32_e32 v13, v23, v13, vcc_lo
	v_cmp_eq_u32_e32 vcc_lo, 7, v31
	v_lshlrev_b32_e32 v14, 2, v13
	ds_bpermute_b32 v19, v14, v11
	ds_bpermute_b32 v20, v14, v12
	;; [unrolled: 1-line block ×8, first 2 shown]
	s_and_b32 exec_lo, exec_lo, vcc_lo
	s_cbranch_execz .LBB26_10
; %bb.38:
	s_waitcnt lgkmcnt(6)
	v_add_f64 v[11:12], v[11:12], v[19:20]
	s_waitcnt lgkmcnt(4)
	v_add_f64 v[6:7], v[6:7], v[17:18]
	;; [unrolled: 2-line block ×4, first 2 shown]
	s_load_dwordx2 s[0:1], s[4:5], 0x50
	v_lshlrev_b32_e32 v10, 2, v10
	s_mov_b32 s2, exec_lo
	v_mul_f64 v[4:5], v[2:3], v[11:12]
	v_mul_f64 v[6:7], v[2:3], v[6:7]
	;; [unrolled: 1-line block ×4, first 2 shown]
	v_cmpx_eq_f64_e32 0, v[8:9]
	s_xor_b32 s2, exec_lo, s2
	s_cbranch_execz .LBB26_40
; %bb.39:
	v_ashrrev_i32_e32 v11, 31, v10
	v_lshlrev_b64 v[8:9], 3, v[10:11]
                                        ; implicit-def: $vgpr10
	s_waitcnt lgkmcnt(0)
	v_add_co_u32 v8, vcc_lo, s0, v8
	v_add_co_ci_u32_e64 v9, null, s1, v9, vcc_lo
	global_store_dwordx4 v[8:9], v[4:7], off
	global_store_dwordx4 v[8:9], v[0:3], off offset:16
                                        ; implicit-def: $vgpr8_vgpr9
                                        ; implicit-def: $vgpr4_vgpr5
                                        ; implicit-def: $vgpr0_vgpr1
.LBB26_40:
	s_andn2_saveexec_b32 s2, s2
	s_cbranch_execz .LBB26_10
; %bb.41:
	v_ashrrev_i32_e32 v11, 31, v10
	v_lshlrev_b64 v[10:11], 3, v[10:11]
	s_waitcnt lgkmcnt(0)
	v_add_co_u32 v18, vcc_lo, s0, v10
	v_add_co_ci_u32_e64 v19, null, s1, v11, vcc_lo
	s_clause 0x1
	global_load_dwordx4 v[10:13], v[18:19], off
	global_load_dwordx4 v[14:17], v[18:19], off offset:16
	s_waitcnt vmcnt(1)
	v_fma_f64 v[4:5], v[8:9], v[10:11], v[4:5]
	v_fma_f64 v[6:7], v[8:9], v[12:13], v[6:7]
	s_waitcnt vmcnt(0)
	v_fma_f64 v[0:1], v[8:9], v[14:15], v[0:1]
	v_fma_f64 v[2:3], v[8:9], v[16:17], v[2:3]
	global_store_dwordx4 v[18:19], v[4:7], off
	global_store_dwordx4 v[18:19], v[0:3], off offset:16
	s_endpgm
	.section	.rodata,"a",@progbits
	.p2align	6, 0x0
	.amdhsa_kernel _ZN9rocsparseL18bsrxmvn_4x4_kernelILj128ELj8EdlidddEEvT3_20rocsparse_direction_NS_24const_host_device_scalarIT1_EES1_PKS1_PKT2_SA_S7_PKT4_PKT5_S5_PT6_21rocsparse_index_base_b
		.amdhsa_group_segment_fixed_size 0
		.amdhsa_private_segment_fixed_size 0
		.amdhsa_kernarg_size 96
		.amdhsa_user_sgpr_count 6
		.amdhsa_user_sgpr_private_segment_buffer 1
		.amdhsa_user_sgpr_dispatch_ptr 0
		.amdhsa_user_sgpr_queue_ptr 0
		.amdhsa_user_sgpr_kernarg_segment_ptr 1
		.amdhsa_user_sgpr_dispatch_id 0
		.amdhsa_user_sgpr_flat_scratch_init 0
		.amdhsa_user_sgpr_private_segment_size 0
		.amdhsa_wavefront_size32 1
		.amdhsa_uses_dynamic_stack 0
		.amdhsa_system_sgpr_private_segment_wavefront_offset 0
		.amdhsa_system_sgpr_workgroup_id_x 1
		.amdhsa_system_sgpr_workgroup_id_y 0
		.amdhsa_system_sgpr_workgroup_id_z 0
		.amdhsa_system_sgpr_workgroup_info 0
		.amdhsa_system_vgpr_workitem_id 0
		.amdhsa_next_free_vgpr 138
		.amdhsa_next_free_sgpr 16
		.amdhsa_reserve_vcc 1
		.amdhsa_reserve_flat_scratch 0
		.amdhsa_float_round_mode_32 0
		.amdhsa_float_round_mode_16_64 0
		.amdhsa_float_denorm_mode_32 3
		.amdhsa_float_denorm_mode_16_64 3
		.amdhsa_dx10_clamp 1
		.amdhsa_ieee_mode 1
		.amdhsa_fp16_overflow 0
		.amdhsa_workgroup_processor_mode 1
		.amdhsa_memory_ordered 1
		.amdhsa_forward_progress 1
		.amdhsa_shared_vgpr_count 0
		.amdhsa_exception_fp_ieee_invalid_op 0
		.amdhsa_exception_fp_denorm_src 0
		.amdhsa_exception_fp_ieee_div_zero 0
		.amdhsa_exception_fp_ieee_overflow 0
		.amdhsa_exception_fp_ieee_underflow 0
		.amdhsa_exception_fp_ieee_inexact 0
		.amdhsa_exception_int_div_zero 0
	.end_amdhsa_kernel
	.section	.text._ZN9rocsparseL18bsrxmvn_4x4_kernelILj128ELj8EdlidddEEvT3_20rocsparse_direction_NS_24const_host_device_scalarIT1_EES1_PKS1_PKT2_SA_S7_PKT4_PKT5_S5_PT6_21rocsparse_index_base_b,"axG",@progbits,_ZN9rocsparseL18bsrxmvn_4x4_kernelILj128ELj8EdlidddEEvT3_20rocsparse_direction_NS_24const_host_device_scalarIT1_EES1_PKS1_PKT2_SA_S7_PKT4_PKT5_S5_PT6_21rocsparse_index_base_b,comdat
.Lfunc_end26:
	.size	_ZN9rocsparseL18bsrxmvn_4x4_kernelILj128ELj8EdlidddEEvT3_20rocsparse_direction_NS_24const_host_device_scalarIT1_EES1_PKS1_PKT2_SA_S7_PKT4_PKT5_S5_PT6_21rocsparse_index_base_b, .Lfunc_end26-_ZN9rocsparseL18bsrxmvn_4x4_kernelILj128ELj8EdlidddEEvT3_20rocsparse_direction_NS_24const_host_device_scalarIT1_EES1_PKS1_PKT2_SA_S7_PKT4_PKT5_S5_PT6_21rocsparse_index_base_b
                                        ; -- End function
	.set _ZN9rocsparseL18bsrxmvn_4x4_kernelILj128ELj8EdlidddEEvT3_20rocsparse_direction_NS_24const_host_device_scalarIT1_EES1_PKS1_PKT2_SA_S7_PKT4_PKT5_S5_PT6_21rocsparse_index_base_b.num_vgpr, 138
	.set _ZN9rocsparseL18bsrxmvn_4x4_kernelILj128ELj8EdlidddEEvT3_20rocsparse_direction_NS_24const_host_device_scalarIT1_EES1_PKS1_PKT2_SA_S7_PKT4_PKT5_S5_PT6_21rocsparse_index_base_b.num_agpr, 0
	.set _ZN9rocsparseL18bsrxmvn_4x4_kernelILj128ELj8EdlidddEEvT3_20rocsparse_direction_NS_24const_host_device_scalarIT1_EES1_PKS1_PKT2_SA_S7_PKT4_PKT5_S5_PT6_21rocsparse_index_base_b.numbered_sgpr, 16
	.set _ZN9rocsparseL18bsrxmvn_4x4_kernelILj128ELj8EdlidddEEvT3_20rocsparse_direction_NS_24const_host_device_scalarIT1_EES1_PKS1_PKT2_SA_S7_PKT4_PKT5_S5_PT6_21rocsparse_index_base_b.num_named_barrier, 0
	.set _ZN9rocsparseL18bsrxmvn_4x4_kernelILj128ELj8EdlidddEEvT3_20rocsparse_direction_NS_24const_host_device_scalarIT1_EES1_PKS1_PKT2_SA_S7_PKT4_PKT5_S5_PT6_21rocsparse_index_base_b.private_seg_size, 0
	.set _ZN9rocsparseL18bsrxmvn_4x4_kernelILj128ELj8EdlidddEEvT3_20rocsparse_direction_NS_24const_host_device_scalarIT1_EES1_PKS1_PKT2_SA_S7_PKT4_PKT5_S5_PT6_21rocsparse_index_base_b.uses_vcc, 1
	.set _ZN9rocsparseL18bsrxmvn_4x4_kernelILj128ELj8EdlidddEEvT3_20rocsparse_direction_NS_24const_host_device_scalarIT1_EES1_PKS1_PKT2_SA_S7_PKT4_PKT5_S5_PT6_21rocsparse_index_base_b.uses_flat_scratch, 0
	.set _ZN9rocsparseL18bsrxmvn_4x4_kernelILj128ELj8EdlidddEEvT3_20rocsparse_direction_NS_24const_host_device_scalarIT1_EES1_PKS1_PKT2_SA_S7_PKT4_PKT5_S5_PT6_21rocsparse_index_base_b.has_dyn_sized_stack, 0
	.set _ZN9rocsparseL18bsrxmvn_4x4_kernelILj128ELj8EdlidddEEvT3_20rocsparse_direction_NS_24const_host_device_scalarIT1_EES1_PKS1_PKT2_SA_S7_PKT4_PKT5_S5_PT6_21rocsparse_index_base_b.has_recursion, 0
	.set _ZN9rocsparseL18bsrxmvn_4x4_kernelILj128ELj8EdlidddEEvT3_20rocsparse_direction_NS_24const_host_device_scalarIT1_EES1_PKS1_PKT2_SA_S7_PKT4_PKT5_S5_PT6_21rocsparse_index_base_b.has_indirect_call, 0
	.section	.AMDGPU.csdata,"",@progbits
; Kernel info:
; codeLenInByte = 5036
; TotalNumSgprs: 18
; NumVgprs: 138
; ScratchSize: 0
; MemoryBound: 1
; FloatMode: 240
; IeeeMode: 1
; LDSByteSize: 0 bytes/workgroup (compile time only)
; SGPRBlocks: 0
; VGPRBlocks: 17
; NumSGPRsForWavesPerEU: 18
; NumVGPRsForWavesPerEU: 138
; Occupancy: 7
; WaveLimiterHint : 1
; COMPUTE_PGM_RSRC2:SCRATCH_EN: 0
; COMPUTE_PGM_RSRC2:USER_SGPR: 6
; COMPUTE_PGM_RSRC2:TRAP_HANDLER: 0
; COMPUTE_PGM_RSRC2:TGID_X_EN: 1
; COMPUTE_PGM_RSRC2:TGID_Y_EN: 0
; COMPUTE_PGM_RSRC2:TGID_Z_EN: 0
; COMPUTE_PGM_RSRC2:TIDIG_COMP_CNT: 0
	.section	.text._ZN9rocsparseL18bsrxmvn_4x4_kernelILj128ELj16EdlidddEEvT3_20rocsparse_direction_NS_24const_host_device_scalarIT1_EES1_PKS1_PKT2_SA_S7_PKT4_PKT5_S5_PT6_21rocsparse_index_base_b,"axG",@progbits,_ZN9rocsparseL18bsrxmvn_4x4_kernelILj128ELj16EdlidddEEvT3_20rocsparse_direction_NS_24const_host_device_scalarIT1_EES1_PKS1_PKT2_SA_S7_PKT4_PKT5_S5_PT6_21rocsparse_index_base_b,comdat
	.globl	_ZN9rocsparseL18bsrxmvn_4x4_kernelILj128ELj16EdlidddEEvT3_20rocsparse_direction_NS_24const_host_device_scalarIT1_EES1_PKS1_PKT2_SA_S7_PKT4_PKT5_S5_PT6_21rocsparse_index_base_b ; -- Begin function _ZN9rocsparseL18bsrxmvn_4x4_kernelILj128ELj16EdlidddEEvT3_20rocsparse_direction_NS_24const_host_device_scalarIT1_EES1_PKS1_PKT2_SA_S7_PKT4_PKT5_S5_PT6_21rocsparse_index_base_b
	.p2align	8
	.type	_ZN9rocsparseL18bsrxmvn_4x4_kernelILj128ELj16EdlidddEEvT3_20rocsparse_direction_NS_24const_host_device_scalarIT1_EES1_PKS1_PKT2_SA_S7_PKT4_PKT5_S5_PT6_21rocsparse_index_base_b,@function
_ZN9rocsparseL18bsrxmvn_4x4_kernelILj128ELj16EdlidddEEvT3_20rocsparse_direction_NS_24const_host_device_scalarIT1_EES1_PKS1_PKT2_SA_S7_PKT4_PKT5_S5_PT6_21rocsparse_index_base_b: ; @_ZN9rocsparseL18bsrxmvn_4x4_kernelILj128ELj16EdlidddEEvT3_20rocsparse_direction_NS_24const_host_device_scalarIT1_EES1_PKS1_PKT2_SA_S7_PKT4_PKT5_S5_PT6_21rocsparse_index_base_b
; %bb.0:
	s_clause 0x2
	s_load_dwordx2 s[2:3], s[4:5], 0x58
	s_load_dwordx2 s[8:9], s[4:5], 0x8
	;; [unrolled: 1-line block ×3, first 2 shown]
	s_waitcnt lgkmcnt(0)
	s_bitcmp1_b32 s3, 0
	v_mov_b32_e32 v2, s8
	v_mov_b32_e32 v3, s9
	s_cselect_b32 s3, -1, 0
	s_and_b32 vcc_lo, exec_lo, s3
	s_xor_b32 s3, s3, -1
	s_cbranch_vccnz .LBB27_2
; %bb.1:
	v_mov_b32_e32 v1, s8
	v_mov_b32_e32 v2, s9
	flat_load_dwordx2 v[2:3], v[1:2]
.LBB27_2:
	v_mov_b32_e32 v9, s1
	v_mov_b32_e32 v8, s0
	s_andn2_b32 vcc_lo, exec_lo, s3
	s_cbranch_vccnz .LBB27_4
; %bb.3:
	v_mov_b32_e32 v5, s1
	v_mov_b32_e32 v4, s0
	flat_load_dwordx2 v[8:9], v[4:5]
.LBB27_4:
	s_waitcnt vmcnt(0) lgkmcnt(0)
	v_cmp_neq_f64_e32 vcc_lo, 0, v[2:3]
	v_cmp_neq_f64_e64 s0, 1.0, v[8:9]
	s_or_b32 s0, vcc_lo, s0
	s_and_saveexec_b32 s1, s0
	s_cbranch_execz .LBB27_10
; %bb.5:
	s_clause 0x1
	s_load_dwordx2 s[8:9], s[4:5], 0x18
	s_load_dwordx2 s[0:1], s[4:5], 0x0
	v_lshrrev_b32_e32 v1, 4, v0
	v_lshl_or_b32 v10, s6, 3, v1
	s_waitcnt lgkmcnt(0)
	s_cmp_lg_u64 s[8:9], 0
	s_cbranch_scc0 .LBB27_11
; %bb.6:
	s_load_dword s3, s[4:5], 0x10
	s_mov_b32 s6, 0
                                        ; implicit-def: $vgpr1
	s_waitcnt lgkmcnt(0)
	v_cmp_gt_i32_e32 vcc_lo, s3, v10
	s_mov_b32 s3, 0
	s_and_saveexec_b32 s7, vcc_lo
	s_xor_b32 s7, exec_lo, s7
	s_cbranch_execz .LBB27_8
; %bb.7:
	v_ashrrev_i32_e32 v11, 31, v10
	s_mov_b32 s3, exec_lo
	v_lshlrev_b64 v[4:5], 2, v[10:11]
	v_add_co_u32 v4, vcc_lo, s8, v4
	v_add_co_ci_u32_e64 v5, null, s9, v5, vcc_lo
	global_load_dword v1, v[4:5], off
	s_waitcnt vmcnt(0)
	v_subrev_nc_u32_e32 v1, s2, v1
.LBB27_8:
	s_or_b32 exec_lo, exec_lo, s7
	s_and_b32 vcc_lo, exec_lo, s6
	s_cbranch_vccz .LBB27_12
.LBB27_9:
	v_cmp_gt_i32_e32 vcc_lo, s0, v10
	s_andn2_b32 s0, s3, exec_lo
	s_and_b32 s3, vcc_lo, exec_lo
	s_or_b32 s3, s0, s3
	s_and_b32 exec_lo, exec_lo, s3
	s_cbranch_execnz .LBB27_13
.LBB27_10:
	s_endpgm
.LBB27_11:
	s_mov_b32 s3, 0
                                        ; implicit-def: $vgpr1
	s_cbranch_execnz .LBB27_9
.LBB27_12:
	v_mov_b32_e32 v10, v1
	s_and_b32 exec_lo, exec_lo, s3
	s_cbranch_execz .LBB27_10
.LBB27_13:
	s_load_dwordx8 s[8:15], s[4:5], 0x20
	v_ashrrev_i32_e32 v11, 31, v10
	v_and_b32_e32 v31, 15, v0
	s_load_dwordx2 s[6:7], s[4:5], 0x40
	v_lshlrev_b64 v[4:5], 3, v[10:11]
	s_waitcnt lgkmcnt(0)
	v_add_co_u32 v6, vcc_lo, s8, v4
	v_add_co_ci_u32_e64 v7, null, s9, v5, vcc_lo
	v_add_co_u32 v1, vcc_lo, s10, v4
	v_add_co_ci_u32_e64 v4, null, s11, v5, vcc_lo
	v_add_co_u32 v11, vcc_lo, v6, 8
	global_load_dwordx2 v[19:20], v[6:7], off
	v_add_co_ci_u32_e64 v5, null, 0, v7, vcc_lo
	s_cmp_eq_u64 s[10:11], 0
	s_cselect_b32 vcc_lo, -1, 0
	s_cmp_eq_u32 s1, 1
	v_cndmask_b32_e32 v5, v4, v5, vcc_lo
	v_cndmask_b32_e32 v4, v1, v11, vcc_lo
	global_load_dwordx2 v[4:5], v[4:5], off
	s_waitcnt vmcnt(1)
	v_sub_co_u32 v0, vcc_lo, v19, s2
	v_subrev_co_ci_u32_e64 v1, null, 0, v20, vcc_lo
	v_add_co_u32 v0, vcc_lo, v0, v31
	v_add_co_ci_u32_e64 v1, null, 0, v1, vcc_lo
	v_lshlrev_b64 v[6:7], 7, v[0:1]
	s_waitcnt vmcnt(0)
	v_sub_co_u32 v4, vcc_lo, v4, s2
	v_subrev_co_ci_u32_e64 v5, null, 0, v5, vcc_lo
	v_add_co_u32 v6, vcc_lo, s14, v6
	v_cmp_lt_i64_e64 s0, v[0:1], v[4:5]
	v_add_co_ci_u32_e64 v7, null, s15, v7, vcc_lo
	s_cbranch_scc1 .LBB27_25
; %bb.14:
	v_mov_b32_e32 v11, 0
	v_mov_b32_e32 v13, 0
	;; [unrolled: 1-line block ×8, first 2 shown]
	s_and_saveexec_b32 s3, s0
	s_cbranch_execz .LBB27_24
; %bb.15:
	v_or_b32_e32 v11, 16, v31
	v_not_b32_e32 v14, v19
	v_not_b32_e32 v13, v20
	v_mov_b32_e32 v22, 0
	v_mov_b32_e32 v17, 0
	v_sub_co_u32 v11, s1, v11, s2
	v_sub_co_ci_u32_e64 v12, null, 0, 0, s1
	v_sub_co_u32 v15, s1, s2, v31
	v_add_co_u32 v11, vcc_lo, v11, v19
	v_add_co_ci_u32_e64 v12, null, v12, v20, vcc_lo
	v_sub_co_ci_u32_e64 v16, null, 0, 0, s1
	v_mov_b32_e32 v24, v1
	v_cmp_gt_i64_e32 vcc_lo, v[11:12], v[4:5]
	v_mov_b32_e32 v18, 0
	v_mov_b32_e32 v23, v0
	v_cndmask_b32_e32 v12, v5, v12, vcc_lo
	v_cndmask_b32_e32 v11, v4, v11, vcc_lo
	v_add_co_u32 v14, vcc_lo, v15, v14
	v_add_co_ci_u32_e64 v13, null, v16, v13, vcc_lo
	v_mov_b32_e32 v15, 0
	v_add_co_u32 v25, vcc_lo, v14, v11
	v_add_co_ci_u32_e64 v26, null, v13, v12, vcc_lo
	v_mov_b32_e32 v13, 0
	v_and_b32_e32 v21, 48, v25
	v_mov_b32_e32 v11, 0
	v_mov_b32_e32 v16, 0
	v_mov_b32_e32 v14, 0
	v_mov_b32_e32 v12, 0
	v_cmp_ne_u64_e32 vcc_lo, 48, v[21:22]
	v_mov_b32_e32 v22, v7
	v_mov_b32_e32 v21, v6
	s_and_saveexec_b32 s8, vcc_lo
	s_cbranch_execz .LBB27_19
; %bb.16:
	v_lshrrev_b32_e32 v11, 4, v25
	v_lshlrev_b64 v[17:18], 2, v[0:1]
	v_mov_b32_e32 v22, v7
	v_mov_b32_e32 v13, 0
	;; [unrolled: 1-line block ×3, first 2 shown]
	v_add_nc_u32_e32 v23, 1, v11
	v_mov_b32_e32 v11, 0
	v_add_co_u32 v27, vcc_lo, s12, v17
	v_add_co_ci_u32_e64 v28, null, s13, v18, vcc_lo
	v_and_b32_e32 v23, 3, v23
	v_mov_b32_e32 v17, 0
	v_mov_b32_e32 v12, 0
	;; [unrolled: 1-line block ×4, first 2 shown]
	v_sub_co_u32 v29, s1, 0, v23
	v_mov_b32_e32 v24, v1
	v_mov_b32_e32 v16, 0
	v_sub_co_ci_u32_e64 v30, null, 0, 0, s1
	v_mov_b32_e32 v18, 0
	v_mov_b32_e32 v23, v0
	s_mov_b32 s9, 0
.LBB27_17:                              ; =>This Inner Loop Header: Depth=1
	global_load_dword v60, v[27:28], off
	s_clause 0x6
	global_load_dwordx4 v[32:35], v[21:22], off offset:48
	global_load_dwordx4 v[36:39], v[21:22], off offset:32
	global_load_dwordx4 v[40:43], v[21:22], off offset:16
	global_load_dwordx4 v[44:47], v[21:22], off
	global_load_dwordx4 v[48:51], v[21:22], off offset:112
	global_load_dwordx4 v[52:55], v[21:22], off offset:96
	;; [unrolled: 1-line block ×3, first 2 shown]
	v_add_co_u32 v27, s1, v27, 64
	v_add_co_ci_u32_e64 v28, null, 0, v28, s1
	s_waitcnt vmcnt(7)
	v_subrev_nc_u32_e32 v60, s2, v60
	v_lshlrev_b32_e32 v60, 2, v60
	v_ashrrev_i32_e32 v61, 31, v60
	v_lshlrev_b64 v[60:61], 3, v[60:61]
	v_add_co_u32 v68, vcc_lo, s6, v60
	v_add_co_ci_u32_e64 v69, null, s7, v61, vcc_lo
	global_load_dwordx4 v[60:63], v[21:22], off offset:64
	s_clause 0x1
	global_load_dwordx4 v[64:67], v[68:69], off
	global_load_dwordx4 v[68:71], v[68:69], off offset:16
	v_add_co_u32 v21, vcc_lo, 0x800, v21
	v_add_co_ci_u32_e64 v22, null, 0, v22, vcc_lo
	v_add_co_u32 v29, vcc_lo, v29, 1
	v_add_co_ci_u32_e64 v30, null, 0, v30, vcc_lo
	;; [unrolled: 2-line block ×3, first 2 shown]
	v_cmp_eq_u64_e32 vcc_lo, 0, v[29:30]
	s_or_b32 s9, vcc_lo, s9
	s_waitcnt vmcnt(1)
	v_fma_f64 v[17:18], v[44:45], v[64:65], v[17:18]
	v_fma_f64 v[15:16], v[36:37], v[64:65], v[15:16]
	;; [unrolled: 1-line block ×8, first 2 shown]
	s_waitcnt vmcnt(0)
	v_fma_f64 v[17:18], v[40:41], v[68:69], v[17:18]
	v_fma_f64 v[15:16], v[32:33], v[68:69], v[15:16]
	;; [unrolled: 1-line block ×8, first 2 shown]
	s_andn2_b32 exec_lo, exec_lo, s9
	s_cbranch_execnz .LBB27_17
; %bb.18:
	s_or_b32 exec_lo, exec_lo, s9
.LBB27_19:
	s_or_b32 exec_lo, exec_lo, s8
	s_mov_b32 s8, exec_lo
	v_cmpx_lt_u64_e32 47, v[25:26]
	s_cbranch_execz .LBB27_23
; %bb.20:
	v_lshlrev_b64 v[25:26], 2, v[23:24]
	s_mov_b32 s9, 0
	v_add_co_u32 v25, vcc_lo, s12, v25
	v_add_co_ci_u32_e64 v26, null, s13, v26, vcc_lo
	v_add_co_u32 v25, vcc_lo, 0x80, v25
	v_add_co_ci_u32_e64 v26, null, 0, v26, vcc_lo
.LBB27_21:                              ; =>This Inner Loop Header: Depth=1
	global_load_dword v120, v[25:26], off offset:-128
	s_clause 0x7
	global_load_dwordx4 v[27:30], v[21:22], off offset:48
	global_load_dwordx4 v[32:35], v[21:22], off offset:32
	;; [unrolled: 1-line block ×3, first 2 shown]
	global_load_dwordx4 v[40:43], v[21:22], off
	global_load_dwordx4 v[44:47], v[21:22], off offset:112
	global_load_dwordx4 v[48:51], v[21:22], off offset:96
	;; [unrolled: 1-line block ×4, first 2 shown]
	s_clause 0x2
	global_load_dword v134, v[25:26], off offset:-64
	global_load_dword v135, v[25:26], off
	global_load_dword v138, v[25:26], off offset:64
	v_add_co_u32 v84, vcc_lo, 0x800, v21
	v_add_co_ci_u32_e64 v85, null, 0, v22, vcc_lo
	v_add_co_u32 v92, vcc_lo, v21, 0x1000
	v_add_co_ci_u32_e64 v93, null, 0, v22, vcc_lo
	v_add_co_u32 v128, vcc_lo, 0x1000, v21
	v_add_co_ci_u32_e64 v129, null, 0, v22, vcc_lo
	v_add_co_u32 v130, vcc_lo, 0x1800, v21
	v_add_co_ci_u32_e64 v131, null, 0, v22, vcc_lo
	s_clause 0xe
	global_load_dwordx4 v[60:63], v[84:85], off offset:32
	global_load_dwordx4 v[64:67], v[84:85], off offset:16
	;; [unrolled: 1-line block ×7, first 2 shown]
	global_load_dwordx4 v[88:91], v[92:93], off offset:-2048
	global_load_dwordx4 v[92:95], v[92:93], off
	global_load_dwordx4 v[96:99], v[128:129], off offset:48
	global_load_dwordx4 v[100:103], v[128:129], off offset:32
	;; [unrolled: 1-line block ×6, first 2 shown]
	v_add_co_u32 v21, s1, 0x2000, v21
	v_add_co_ci_u32_e64 v22, null, 0, v22, s1
	s_waitcnt vmcnt(26)
	v_subrev_nc_u32_e32 v120, s2, v120
	v_lshlrev_b32_e32 v120, 2, v120
	v_ashrrev_i32_e32 v121, 31, v120
	v_lshlrev_b64 v[120:121], 3, v[120:121]
	v_add_co_u32 v124, vcc_lo, s6, v120
	v_add_co_ci_u32_e64 v125, null, s7, v121, vcc_lo
	s_clause 0x1
	global_load_dwordx4 v[120:123], v[124:125], off
	global_load_dwordx4 v[124:127], v[124:125], off offset:16
	s_waitcnt vmcnt(1)
	v_fma_f64 v[13:14], v[56:57], v[120:121], v[13:14]
	v_fma_f64 v[17:18], v[40:41], v[120:121], v[17:18]
	;; [unrolled: 1-line block ×5, first 2 shown]
	v_subrev_nc_u32_e32 v13, s2, v134
	v_fma_f64 v[132:133], v[42:43], v[122:123], v[17:18]
	global_load_dwordx4 v[40:43], v[128:129], off offset:64
	v_fma_f64 v[128:129], v[34:35], v[122:123], v[15:16]
	s_clause 0x1
	global_load_dwordx4 v[15:18], v[130:131], off
	global_load_dwordx4 v[32:35], v[130:131], off offset:48
	v_lshlrev_b32_e32 v13, 2, v13
	v_fma_f64 v[120:121], v[50:51], v[122:123], v[11:12]
	v_subrev_nc_u32_e32 v122, s2, v135
	v_ashrrev_i32_e32 v14, 31, v13
	v_lshlrev_b32_e32 v122, 2, v122
	v_lshlrev_b64 v[13:14], 3, v[13:14]
	v_ashrrev_i32_e32 v123, 31, v122
	s_waitcnt vmcnt(3)
	v_fma_f64 v[52:53], v[52:53], v[124:125], v[56:57]
	v_add_co_u32 v58, vcc_lo, s6, v13
	v_add_co_ci_u32_e64 v59, null, s7, v14, vcc_lo
	v_fma_f64 v[36:37], v[36:37], v[124:125], v[132:133]
	global_load_dwordx4 v[11:14], v[58:59], off
	global_load_dwordx4 v[48:51], v[130:131], off offset:32
	v_fma_f64 v[27:28], v[27:28], v[124:125], v[128:129]
	v_lshlrev_b64 v[122:123], 3, v[122:123]
	v_subrev_nc_u32_e32 v56, s2, v138
	v_fma_f64 v[44:45], v[44:45], v[124:125], v[120:121]
	v_lshlrev_b32_e32 v120, 2, v56
	v_ashrrev_i32_e32 v121, 31, v120
	v_fma_f64 v[134:135], v[54:55], v[126:127], v[52:53]
	global_load_dwordx4 v[52:55], v[130:131], off offset:112
	v_lshlrev_b64 v[120:121], 3, v[120:121]
	v_fma_f64 v[132:133], v[38:39], v[126:127], v[36:37]
	global_load_dwordx4 v[36:39], v[58:59], off offset:16
	v_add_co_u32 v58, vcc_lo, s6, v122
	v_add_co_ci_u32_e64 v59, null, s7, v123, vcc_lo
	v_fma_f64 v[128:129], v[29:30], v[126:127], v[27:28]
	v_add_co_u32 v124, vcc_lo, s6, v120
	global_load_dwordx4 v[27:30], v[58:59], off
	v_add_co_ci_u32_e64 v125, null, s7, v121, vcc_lo
	v_fma_f64 v[136:137], v[46:47], v[126:127], v[44:45]
	s_clause 0x1
	global_load_dwordx4 v[44:47], v[130:131], off offset:96
	global_load_dwordx4 v[120:123], v[130:131], off offset:64
	v_add_co_u32 v23, vcc_lo, v23, 64
	v_add_co_ci_u32_e64 v24, null, 0, v24, vcc_lo
	v_add_co_u32 v25, vcc_lo, 0x100, v25
	v_add_co_ci_u32_e64 v26, null, 0, v26, vcc_lo
	v_cmp_ge_i64_e32 vcc_lo, v[23:24], v[4:5]
	s_or_b32 s9, vcc_lo, s9
	s_waitcnt vmcnt(6)
	v_fma_f64 v[88:89], v[88:89], v[11:12], v[132:133]
	v_fma_f64 v[60:61], v[60:61], v[11:12], v[128:129]
	;; [unrolled: 1-line block ×5, first 2 shown]
	s_clause 0x1
	global_load_dwordx4 v[88:91], v[124:125], off
	global_load_dwordx4 v[56:59], v[58:59], off offset:16
	v_fma_f64 v[128:129], v[62:63], v[13:14], v[60:61]
	global_load_dwordx4 v[60:63], v[130:131], off offset:80
	v_fma_f64 v[134:135], v[86:87], v[13:14], v[84:85]
	global_load_dwordx4 v[84:87], v[130:131], off offset:16
	global_load_dwordx4 v[124:127], v[124:125], off offset:16
	v_fma_f64 v[11:12], v[74:75], v[13:14], v[11:12]
	s_waitcnt vmcnt(8)
	v_fma_f64 v[13:14], v[64:65], v[36:37], v[132:133]
	v_fma_f64 v[64:65], v[80:81], v[36:37], v[128:129]
	v_fma_f64 v[72:73], v[76:77], v[36:37], v[134:135]
	v_fma_f64 v[11:12], v[68:69], v[36:37], v[11:12]
	v_fma_f64 v[13:14], v[66:67], v[38:39], v[13:14]
	v_fma_f64 v[36:37], v[82:83], v[38:39], v[64:65]
	v_fma_f64 v[64:65], v[78:79], v[38:39], v[72:73]
	v_fma_f64 v[11:12], v[70:71], v[38:39], v[11:12]
	s_waitcnt vmcnt(7)
	v_fma_f64 v[13:14], v[92:93], v[27:28], v[13:14]
	v_fma_f64 v[36:37], v[100:101], v[27:28], v[36:37]
	v_fma_f64 v[38:39], v[40:41], v[27:28], v[64:65]
	v_fma_f64 v[11:12], v[112:113], v[27:28], v[11:12]
	v_fma_f64 v[13:14], v[94:95], v[29:30], v[13:14]
	v_fma_f64 v[27:28], v[102:103], v[29:30], v[36:37]
	v_fma_f64 v[36:37], v[42:43], v[29:30], v[38:39]
	;; [unrolled: 9-line block ×3, first 2 shown]
	v_fma_f64 v[11:12], v[110:111], v[58:59], v[11:12]
	v_fma_f64 v[13:14], v[15:16], v[88:89], v[13:14]
	;; [unrolled: 1-line block ×9, first 2 shown]
	s_waitcnt vmcnt(0)
	v_fma_f64 v[13:14], v[84:85], v[124:125], v[13:14]
	v_fma_f64 v[15:16], v[32:33], v[124:125], v[15:16]
	;; [unrolled: 1-line block ×8, first 2 shown]
	s_andn2_b32 exec_lo, exec_lo, s9
	s_cbranch_execnz .LBB27_21
; %bb.22:
	s_or_b32 exec_lo, exec_lo, s9
.LBB27_23:
	s_or_b32 exec_lo, exec_lo, s8
.LBB27_24:
	s_or_b32 exec_lo, exec_lo, s3
	s_cbranch_execz .LBB27_26
	s_branch .LBB27_37
.LBB27_25:
                                        ; implicit-def: $vgpr11_vgpr12
                                        ; implicit-def: $vgpr13_vgpr14
                                        ; implicit-def: $vgpr15_vgpr16
                                        ; implicit-def: $vgpr17_vgpr18
.LBB27_26:
	v_mov_b32_e32 v11, 0
	v_mov_b32_e32 v13, 0
	;; [unrolled: 1-line block ×8, first 2 shown]
	s_and_saveexec_b32 s1, s0
	s_cbranch_execz .LBB27_36
; %bb.27:
	v_or_b32_e32 v11, 16, v31
	v_not_b32_e32 v14, v19
	v_not_b32_e32 v13, v20
	v_sub_co_u32 v11, s0, v11, s2
	v_sub_co_ci_u32_e64 v12, null, 0, 0, s0
	v_sub_co_u32 v15, s0, s2, v31
	v_add_co_u32 v11, vcc_lo, v11, v19
	v_add_co_ci_u32_e64 v12, null, v12, v20, vcc_lo
	v_sub_co_ci_u32_e64 v16, null, 0, 0, s0
	v_cmp_gt_i64_e32 vcc_lo, v[11:12], v[4:5]
	v_cndmask_b32_e32 v17, v5, v12, vcc_lo
	v_cndmask_b32_e32 v11, v4, v11, vcc_lo
	v_add_co_u32 v12, vcc_lo, v15, v14
	v_add_co_ci_u32_e64 v13, null, v16, v13, vcc_lo
	v_mov_b32_e32 v15, 0
	v_add_co_u32 v19, vcc_lo, v12, v11
	v_mov_b32_e32 v12, 0
	v_add_co_ci_u32_e64 v20, null, v13, v17, vcc_lo
	v_and_b32_e32 v11, 48, v19
	v_mov_b32_e32 v17, 0
	v_mov_b32_e32 v13, 0
	;; [unrolled: 1-line block ×4, first 2 shown]
	v_cmp_ne_u64_e32 vcc_lo, 48, v[11:12]
	v_mov_b32_e32 v11, 0
	v_mov_b32_e32 v14, 0
	;; [unrolled: 1-line block ×3, first 2 shown]
	s_and_saveexec_b32 s3, vcc_lo
	s_cbranch_execz .LBB27_31
; %bb.28:
	v_lshrrev_b32_e32 v11, 4, v19
	v_lshlrev_b64 v[21:22], 2, v[0:1]
	v_mov_b32_e32 v13, 0
	v_mov_b32_e32 v15, 0
	;; [unrolled: 1-line block ×3, first 2 shown]
	v_add_nc_u32_e32 v23, 1, v11
	v_mov_b32_e32 v11, 0
	v_add_co_u32 v21, vcc_lo, s12, v21
	v_mov_b32_e32 v12, 0
	v_and_b32_e32 v23, 3, v23
	v_mov_b32_e32 v14, 0
	v_mov_b32_e32 v16, 0
	;; [unrolled: 1-line block ×3, first 2 shown]
	v_add_co_ci_u32_e64 v22, null, s13, v22, vcc_lo
	v_sub_co_u32 v23, s0, 0, v23
	v_sub_co_ci_u32_e64 v24, null, 0, 0, s0
	s_mov_b32 s8, 0
.LBB27_29:                              ; =>This Inner Loop Header: Depth=1
	global_load_dword v29, v[21:22], off
	global_load_dwordx4 v[25:28], v[6:7], off offset:16
	v_add_co_u32 v21, s0, v21, 64
	v_add_co_ci_u32_e64 v22, null, 0, v22, s0
	s_waitcnt vmcnt(1)
	v_subrev_nc_u32_e32 v29, s2, v29
	v_lshlrev_b32_e32 v29, 2, v29
	v_ashrrev_i32_e32 v30, 31, v29
	v_lshlrev_b64 v[29:30], 3, v[29:30]
	v_add_co_u32 v29, vcc_lo, s6, v29
	v_add_co_ci_u32_e64 v30, null, s7, v30, vcc_lo
	global_load_dwordx4 v[32:35], v[6:7], off
	s_clause 0x1
	global_load_dwordx4 v[36:39], v[29:30], off
	global_load_dwordx4 v[40:43], v[29:30], off offset:16
	s_clause 0x5
	global_load_dwordx4 v[44:47], v[6:7], off offset:32
	global_load_dwordx4 v[48:51], v[6:7], off offset:48
	;; [unrolled: 1-line block ×6, first 2 shown]
	v_add_co_u32 v6, vcc_lo, 0x800, v6
	v_add_co_ci_u32_e64 v7, null, 0, v7, vcc_lo
	v_add_co_u32 v23, vcc_lo, v23, 1
	v_add_co_ci_u32_e64 v24, null, 0, v24, vcc_lo
	;; [unrolled: 2-line block ×3, first 2 shown]
	v_cmp_eq_u64_e32 vcc_lo, 0, v[23:24]
	s_or_b32 s8, vcc_lo, s8
	s_waitcnt vmcnt(7)
	v_fma_f64 v[17:18], v[32:33], v[36:37], v[17:18]
	v_fma_f64 v[15:16], v[34:35], v[36:37], v[15:16]
	v_fma_f64 v[13:14], v[25:26], v[36:37], v[13:14]
	v_fma_f64 v[11:12], v[27:28], v[36:37], v[11:12]
	s_waitcnt vmcnt(5)
	v_fma_f64 v[17:18], v[44:45], v[38:39], v[17:18]
	v_fma_f64 v[15:16], v[46:47], v[38:39], v[15:16]
	s_waitcnt vmcnt(4)
	v_fma_f64 v[13:14], v[48:49], v[38:39], v[13:14]
	v_fma_f64 v[11:12], v[50:51], v[38:39], v[11:12]
	;; [unrolled: 3-line block ×6, first 2 shown]
	s_andn2_b32 exec_lo, exec_lo, s8
	s_cbranch_execnz .LBB27_29
; %bb.30:
	s_or_b32 exec_lo, exec_lo, s8
.LBB27_31:
	s_or_b32 exec_lo, exec_lo, s3
	s_mov_b32 s3, exec_lo
	v_cmpx_lt_u64_e32 47, v[19:20]
	s_cbranch_execz .LBB27_35
; %bb.32:
	v_lshlrev_b64 v[19:20], 2, v[0:1]
	s_mov_b32 s8, 0
	v_add_co_u32 v19, vcc_lo, s12, v19
	v_add_co_ci_u32_e64 v20, null, s13, v20, vcc_lo
	v_add_co_u32 v19, vcc_lo, 0x80, v19
	v_add_co_ci_u32_e64 v20, null, 0, v20, vcc_lo
.LBB27_33:                              ; =>This Inner Loop Header: Depth=1
	s_clause 0x1
	global_load_dword v84, v[19:20], off offset:-128
	global_load_dword v85, v[19:20], off offset:-64
	s_clause 0x5
	global_load_dwordx4 v[21:24], v[6:7], off offset:48
	global_load_dwordx4 v[25:28], v[6:7], off offset:32
	;; [unrolled: 1-line block ×3, first 2 shown]
	global_load_dwordx4 v[36:39], v[6:7], off
	global_load_dwordx4 v[40:43], v[6:7], off offset:112
	global_load_dwordx4 v[44:47], v[6:7], off offset:96
	v_add_co_u32 v29, vcc_lo, 0x800, v6
	v_add_co_ci_u32_e64 v30, null, 0, v7, vcc_lo
	v_add_co_u32 v104, vcc_lo, v6, 0x1000
	v_add_co_ci_u32_e64 v105, null, 0, v7, vcc_lo
	s_clause 0x1
	global_load_dwordx4 v[48:51], v[6:7], off offset:80
	global_load_dwordx4 v[52:55], v[6:7], off offset:64
	s_clause 0x1
	global_load_dword v114, v[19:20], off
	global_load_dword v115, v[19:20], off offset:64
	s_clause 0x6
	global_load_dwordx4 v[56:59], v[104:105], off offset:-2048
	global_load_dwordx4 v[60:63], v[29:30], off offset:32
	global_load_dwordx4 v[64:67], v[29:30], off offset:16
	;; [unrolled: 1-line block ×6, first 2 shown]
	s_waitcnt vmcnt(18)
	v_subrev_nc_u32_e32 v84, s2, v84
	s_waitcnt vmcnt(17)
	v_subrev_nc_u32_e32 v85, s2, v85
	v_lshlrev_b32_e32 v84, 2, v84
	v_lshlrev_b32_e32 v86, 2, v85
	v_ashrrev_i32_e32 v85, 31, v84
	v_ashrrev_i32_e32 v87, 31, v86
	v_lshlrev_b64 v[84:85], 3, v[84:85]
	v_lshlrev_b64 v[86:87], 3, v[86:87]
	v_add_co_u32 v88, vcc_lo, s6, v84
	v_add_co_ci_u32_e64 v89, null, s7, v85, vcc_lo
	v_add_co_u32 v96, vcc_lo, s6, v86
	v_add_co_ci_u32_e64 v97, null, s7, v87, vcc_lo
	s_clause 0x3
	global_load_dwordx4 v[84:87], v[88:89], off
	global_load_dwordx4 v[88:91], v[88:89], off offset:16
	global_load_dwordx4 v[92:95], v[96:97], off
	global_load_dwordx4 v[96:99], v[96:97], off offset:16
	v_add_co_u32 v112, vcc_lo, 0x1000, v6
	v_add_co_ci_u32_e64 v113, null, 0, v7, vcc_lo
	s_clause 0x2
	global_load_dwordx4 v[100:103], v[29:30], off offset:112
	global_load_dwordx4 v[104:107], v[104:105], off
	global_load_dwordx4 v[108:111], v[112:113], off offset:32
	s_waitcnt vmcnt(6)
	v_fma_f64 v[29:30], v[36:37], v[84:85], v[17:18]
	v_fma_f64 v[36:37], v[38:39], v[84:85], v[15:16]
	v_subrev_nc_u32_e32 v38, s2, v114
	v_fma_f64 v[34:35], v[34:35], v[84:85], v[11:12]
	v_fma_f64 v[32:33], v[32:33], v[84:85], v[13:14]
	global_load_dwordx4 v[15:18], v[112:113], off offset:16
	v_lshlrev_b32_e32 v11, 2, v38
	v_ashrrev_i32_e32 v12, 31, v11
	v_lshlrev_b64 v[11:12], 3, v[11:12]
	v_fma_f64 v[29:30], v[25:26], v[86:87], v[29:30]
	v_add_co_u32 v84, vcc_lo, s6, v11
	v_add_co_ci_u32_e64 v85, null, s7, v12, vcc_lo
	v_fma_f64 v[36:37], v[27:28], v[86:87], v[36:37]
	v_fma_f64 v[38:39], v[21:22], v[86:87], v[32:33]
	;; [unrolled: 1-line block ×3, first 2 shown]
	global_load_dwordx4 v[11:14], v[84:85], off
	s_clause 0x2
	global_load_dwordx4 v[21:24], v[112:113], off offset:48
	global_load_dwordx4 v[25:28], v[112:113], off offset:96
	;; [unrolled: 1-line block ×3, first 2 shown]
	s_waitcnt vmcnt(10)
	v_fma_f64 v[29:30], v[52:53], v[88:89], v[29:30]
	v_fma_f64 v[52:53], v[54:55], v[88:89], v[36:37]
	;; [unrolled: 1-line block ×4, first 2 shown]
	global_load_dwordx4 v[36:39], v[112:113], off offset:64
	global_load_dwordx4 v[48:51], v[84:85], off offset:16
	v_add_co_u32 v88, vcc_lo, 0x1800, v6
	v_add_co_ci_u32_e64 v89, null, 0, v7, vcc_lo
	v_add_co_u32 v6, s0, 0x2000, v6
	v_add_co_ci_u32_e64 v7, null, 0, v7, s0
	v_fma_f64 v[29:30], v[44:45], v[90:91], v[29:30]
	v_fma_f64 v[84:85], v[46:47], v[90:91], v[52:53]
	v_subrev_nc_u32_e32 v52, s2, v115
	global_load_dwordx4 v[44:47], v[112:113], off offset:112
	v_fma_f64 v[112:113], v[40:41], v[90:91], v[54:55]
	v_fma_f64 v[86:87], v[42:43], v[90:91], v[86:87]
	global_load_dwordx4 v[40:43], v[88:89], off
	v_lshlrev_b32_e32 v52, 2, v52
	v_ashrrev_i32_e32 v53, 31, v52
	v_lshlrev_b64 v[52:53], 3, v[52:53]
	s_waitcnt vmcnt(13)
	v_fma_f64 v[29:30], v[56:57], v[92:93], v[29:30]
	v_add_co_u32 v90, vcc_lo, s6, v52
	v_add_co_ci_u32_e64 v91, null, s7, v53, vcc_lo
	global_load_dwordx4 v[52:55], v[88:89], off offset:16
	v_fma_f64 v[84:85], v[58:59], v[92:93], v[84:85]
	v_fma_f64 v[112:113], v[64:65], v[92:93], v[112:113]
	global_load_dwordx4 v[56:59], v[90:91], off
	v_fma_f64 v[86:87], v[66:67], v[92:93], v[86:87]
	global_load_dwordx4 v[64:67], v[88:89], off offset:32
	v_add_co_u32 v0, vcc_lo, v0, 64
	v_add_co_ci_u32_e64 v1, null, 0, v1, vcc_lo
	v_add_co_u32 v19, vcc_lo, 0x100, v19
	v_add_co_ci_u32_e64 v20, null, 0, v20, vcc_lo
	v_fma_f64 v[29:30], v[60:61], v[94:95], v[29:30]
	v_cmp_ge_i64_e32 vcc_lo, v[0:1], v[4:5]
	s_or_b32 s8, vcc_lo, s8
	v_fma_f64 v[92:93], v[62:63], v[94:95], v[84:85]
	global_load_dwordx4 v[60:63], v[88:89], off offset:48
	v_fma_f64 v[112:113], v[76:77], v[94:95], v[112:113]
	v_fma_f64 v[94:95], v[78:79], v[94:95], v[86:87]
	s_clause 0x1
	global_load_dwordx4 v[76:79], v[88:89], off offset:64
	global_load_dwordx4 v[84:87], v[88:89], off offset:80
	s_waitcnt vmcnt(18)
	v_fma_f64 v[29:30], v[80:81], v[96:97], v[29:30]
	v_fma_f64 v[92:93], v[82:83], v[96:97], v[92:93]
	global_load_dwordx4 v[80:83], v[90:91], off offset:16
	v_fma_f64 v[112:113], v[72:73], v[96:97], v[112:113]
	v_fma_f64 v[94:95], v[74:75], v[96:97], v[94:95]
	s_clause 0x1
	global_load_dwordx4 v[72:75], v[88:89], off offset:96
	global_load_dwordx4 v[88:91], v[88:89], off offset:112
	v_fma_f64 v[29:30], v[68:69], v[98:99], v[29:30]
	v_fma_f64 v[68:69], v[70:71], v[98:99], v[92:93]
	s_waitcnt vmcnt(20)
	v_fma_f64 v[70:71], v[100:101], v[98:99], v[112:113]
	v_fma_f64 v[92:93], v[102:103], v[98:99], v[94:95]
	s_waitcnt vmcnt(16)
	v_fma_f64 v[29:30], v[104:105], v[11:12], v[29:30]
	v_fma_f64 v[68:69], v[106:107], v[11:12], v[68:69]
	v_fma_f64 v[15:16], v[15:16], v[11:12], v[70:71]
	v_fma_f64 v[11:12], v[17:18], v[11:12], v[92:93]
	v_fma_f64 v[17:18], v[108:109], v[13:14], v[29:30]
	v_fma_f64 v[29:30], v[110:111], v[13:14], v[68:69]
	s_waitcnt vmcnt(15)
	v_fma_f64 v[15:16], v[21:22], v[13:14], v[15:16]
	v_fma_f64 v[11:12], v[23:24], v[13:14], v[11:12]
	s_waitcnt vmcnt(11)
	v_fma_f64 v[13:14], v[36:37], v[48:49], v[17:18]
	v_fma_f64 v[17:18], v[38:39], v[48:49], v[29:30]
	v_fma_f64 v[15:16], v[32:33], v[48:49], v[15:16]
	v_fma_f64 v[11:12], v[34:35], v[48:49], v[11:12]
	;; [unrolled: 10-line block ×3, first 2 shown]
	s_waitcnt vmcnt(6)
	v_fma_f64 v[13:14], v[64:65], v[58:59], v[13:14]
	v_fma_f64 v[17:18], v[66:67], v[58:59], v[17:18]
	s_waitcnt vmcnt(5)
	v_fma_f64 v[15:16], v[60:61], v[58:59], v[15:16]
	v_fma_f64 v[11:12], v[62:63], v[58:59], v[11:12]
	;; [unrolled: 3-line block ×3, first 2 shown]
	v_fma_f64 v[23:24], v[84:85], v[80:81], v[15:16]
	v_fma_f64 v[11:12], v[86:87], v[80:81], v[11:12]
	s_waitcnt vmcnt(1)
	v_fma_f64 v[17:18], v[72:73], v[82:83], v[13:14]
	v_fma_f64 v[15:16], v[74:75], v[82:83], v[21:22]
	s_waitcnt vmcnt(0)
	v_fma_f64 v[13:14], v[88:89], v[82:83], v[23:24]
	v_fma_f64 v[11:12], v[90:91], v[82:83], v[11:12]
	s_andn2_b32 exec_lo, exec_lo, s8
	s_cbranch_execnz .LBB27_33
; %bb.34:
	s_or_b32 exec_lo, exec_lo, s8
.LBB27_35:
	s_or_b32 exec_lo, exec_lo, s3
.LBB27_36:
	s_or_b32 exec_lo, exec_lo, s1
.LBB27_37:
	v_mbcnt_lo_u32_b32 v23, -1, 0
	v_xor_b32_e32 v0, 8, v23
	v_cmp_gt_i32_e32 vcc_lo, 32, v0
	v_cndmask_b32_e32 v0, v23, v0, vcc_lo
	v_lshlrev_b32_e32 v20, 2, v0
	ds_bpermute_b32 v0, v20, v17
	ds_bpermute_b32 v1, v20, v18
	ds_bpermute_b32 v4, v20, v15
	ds_bpermute_b32 v5, v20, v16
	ds_bpermute_b32 v6, v20, v13
	ds_bpermute_b32 v7, v20, v14
	ds_bpermute_b32 v19, v20, v11
	ds_bpermute_b32 v20, v20, v12
	s_waitcnt lgkmcnt(6)
	v_add_f64 v[0:1], v[17:18], v[0:1]
	s_waitcnt lgkmcnt(4)
	v_add_f64 v[4:5], v[15:16], v[4:5]
	s_waitcnt lgkmcnt(2)
	v_add_f64 v[6:7], v[13:14], v[6:7]
	v_xor_b32_e32 v13, 4, v23
	s_waitcnt lgkmcnt(0)
	v_add_f64 v[11:12], v[11:12], v[19:20]
	v_cmp_gt_i32_e32 vcc_lo, 32, v13
	v_cndmask_b32_e32 v13, v23, v13, vcc_lo
	v_lshlrev_b32_e32 v20, 2, v13
	ds_bpermute_b32 v13, v20, v0
	ds_bpermute_b32 v14, v20, v1
	ds_bpermute_b32 v15, v20, v4
	ds_bpermute_b32 v16, v20, v5
	ds_bpermute_b32 v17, v20, v6
	ds_bpermute_b32 v18, v20, v7
	ds_bpermute_b32 v19, v20, v11
	ds_bpermute_b32 v20, v20, v12
	s_waitcnt lgkmcnt(6)
	v_add_f64 v[0:1], v[0:1], v[13:14]
	s_waitcnt lgkmcnt(4)
	v_add_f64 v[4:5], v[4:5], v[15:16]
	s_waitcnt lgkmcnt(2)
	v_add_f64 v[13:14], v[6:7], v[17:18]
	v_xor_b32_e32 v6, 2, v23
	s_waitcnt lgkmcnt(0)
	v_add_f64 v[15:16], v[11:12], v[19:20]
	;; [unrolled: 20-line block ×3, first 2 shown]
	v_cmp_gt_i32_e32 vcc_lo, 32, v13
	v_cndmask_b32_e32 v13, v23, v13, vcc_lo
	v_cmp_eq_u32_e32 vcc_lo, 15, v31
	v_lshlrev_b32_e32 v14, 2, v13
	ds_bpermute_b32 v19, v14, v11
	ds_bpermute_b32 v20, v14, v12
	ds_bpermute_b32 v17, v14, v6
	ds_bpermute_b32 v18, v14, v7
	ds_bpermute_b32 v15, v14, v0
	ds_bpermute_b32 v16, v14, v1
	ds_bpermute_b32 v13, v14, v4
	ds_bpermute_b32 v14, v14, v5
	s_and_b32 exec_lo, exec_lo, vcc_lo
	s_cbranch_execz .LBB27_10
; %bb.38:
	s_waitcnt lgkmcnt(6)
	v_add_f64 v[11:12], v[11:12], v[19:20]
	s_waitcnt lgkmcnt(4)
	v_add_f64 v[6:7], v[6:7], v[17:18]
	;; [unrolled: 2-line block ×4, first 2 shown]
	s_load_dwordx2 s[0:1], s[4:5], 0x50
	v_lshlrev_b32_e32 v10, 2, v10
	s_mov_b32 s2, exec_lo
	v_mul_f64 v[4:5], v[2:3], v[11:12]
	v_mul_f64 v[6:7], v[2:3], v[6:7]
	;; [unrolled: 1-line block ×4, first 2 shown]
	v_cmpx_eq_f64_e32 0, v[8:9]
	s_xor_b32 s2, exec_lo, s2
	s_cbranch_execz .LBB27_40
; %bb.39:
	v_ashrrev_i32_e32 v11, 31, v10
	v_lshlrev_b64 v[8:9], 3, v[10:11]
                                        ; implicit-def: $vgpr10
	s_waitcnt lgkmcnt(0)
	v_add_co_u32 v8, vcc_lo, s0, v8
	v_add_co_ci_u32_e64 v9, null, s1, v9, vcc_lo
	global_store_dwordx4 v[8:9], v[4:7], off
	global_store_dwordx4 v[8:9], v[0:3], off offset:16
                                        ; implicit-def: $vgpr8_vgpr9
                                        ; implicit-def: $vgpr4_vgpr5
                                        ; implicit-def: $vgpr0_vgpr1
.LBB27_40:
	s_andn2_saveexec_b32 s2, s2
	s_cbranch_execz .LBB27_10
; %bb.41:
	v_ashrrev_i32_e32 v11, 31, v10
	v_lshlrev_b64 v[10:11], 3, v[10:11]
	s_waitcnt lgkmcnt(0)
	v_add_co_u32 v18, vcc_lo, s0, v10
	v_add_co_ci_u32_e64 v19, null, s1, v11, vcc_lo
	s_clause 0x1
	global_load_dwordx4 v[10:13], v[18:19], off
	global_load_dwordx4 v[14:17], v[18:19], off offset:16
	s_waitcnt vmcnt(1)
	v_fma_f64 v[4:5], v[8:9], v[10:11], v[4:5]
	v_fma_f64 v[6:7], v[8:9], v[12:13], v[6:7]
	s_waitcnt vmcnt(0)
	v_fma_f64 v[0:1], v[8:9], v[14:15], v[0:1]
	v_fma_f64 v[2:3], v[8:9], v[16:17], v[2:3]
	global_store_dwordx4 v[18:19], v[4:7], off
	global_store_dwordx4 v[18:19], v[0:3], off offset:16
	s_endpgm
	.section	.rodata,"a",@progbits
	.p2align	6, 0x0
	.amdhsa_kernel _ZN9rocsparseL18bsrxmvn_4x4_kernelILj128ELj16EdlidddEEvT3_20rocsparse_direction_NS_24const_host_device_scalarIT1_EES1_PKS1_PKT2_SA_S7_PKT4_PKT5_S5_PT6_21rocsparse_index_base_b
		.amdhsa_group_segment_fixed_size 0
		.amdhsa_private_segment_fixed_size 0
		.amdhsa_kernarg_size 96
		.amdhsa_user_sgpr_count 6
		.amdhsa_user_sgpr_private_segment_buffer 1
		.amdhsa_user_sgpr_dispatch_ptr 0
		.amdhsa_user_sgpr_queue_ptr 0
		.amdhsa_user_sgpr_kernarg_segment_ptr 1
		.amdhsa_user_sgpr_dispatch_id 0
		.amdhsa_user_sgpr_flat_scratch_init 0
		.amdhsa_user_sgpr_private_segment_size 0
		.amdhsa_wavefront_size32 1
		.amdhsa_uses_dynamic_stack 0
		.amdhsa_system_sgpr_private_segment_wavefront_offset 0
		.amdhsa_system_sgpr_workgroup_id_x 1
		.amdhsa_system_sgpr_workgroup_id_y 0
		.amdhsa_system_sgpr_workgroup_id_z 0
		.amdhsa_system_sgpr_workgroup_info 0
		.amdhsa_system_vgpr_workitem_id 0
		.amdhsa_next_free_vgpr 139
		.amdhsa_next_free_sgpr 16
		.amdhsa_reserve_vcc 1
		.amdhsa_reserve_flat_scratch 0
		.amdhsa_float_round_mode_32 0
		.amdhsa_float_round_mode_16_64 0
		.amdhsa_float_denorm_mode_32 3
		.amdhsa_float_denorm_mode_16_64 3
		.amdhsa_dx10_clamp 1
		.amdhsa_ieee_mode 1
		.amdhsa_fp16_overflow 0
		.amdhsa_workgroup_processor_mode 1
		.amdhsa_memory_ordered 1
		.amdhsa_forward_progress 1
		.amdhsa_shared_vgpr_count 0
		.amdhsa_exception_fp_ieee_invalid_op 0
		.amdhsa_exception_fp_denorm_src 0
		.amdhsa_exception_fp_ieee_div_zero 0
		.amdhsa_exception_fp_ieee_overflow 0
		.amdhsa_exception_fp_ieee_underflow 0
		.amdhsa_exception_fp_ieee_inexact 0
		.amdhsa_exception_int_div_zero 0
	.end_amdhsa_kernel
	.section	.text._ZN9rocsparseL18bsrxmvn_4x4_kernelILj128ELj16EdlidddEEvT3_20rocsparse_direction_NS_24const_host_device_scalarIT1_EES1_PKS1_PKT2_SA_S7_PKT4_PKT5_S5_PT6_21rocsparse_index_base_b,"axG",@progbits,_ZN9rocsparseL18bsrxmvn_4x4_kernelILj128ELj16EdlidddEEvT3_20rocsparse_direction_NS_24const_host_device_scalarIT1_EES1_PKS1_PKT2_SA_S7_PKT4_PKT5_S5_PT6_21rocsparse_index_base_b,comdat
.Lfunc_end27:
	.size	_ZN9rocsparseL18bsrxmvn_4x4_kernelILj128ELj16EdlidddEEvT3_20rocsparse_direction_NS_24const_host_device_scalarIT1_EES1_PKS1_PKT2_SA_S7_PKT4_PKT5_S5_PT6_21rocsparse_index_base_b, .Lfunc_end27-_ZN9rocsparseL18bsrxmvn_4x4_kernelILj128ELj16EdlidddEEvT3_20rocsparse_direction_NS_24const_host_device_scalarIT1_EES1_PKS1_PKT2_SA_S7_PKT4_PKT5_S5_PT6_21rocsparse_index_base_b
                                        ; -- End function
	.set _ZN9rocsparseL18bsrxmvn_4x4_kernelILj128ELj16EdlidddEEvT3_20rocsparse_direction_NS_24const_host_device_scalarIT1_EES1_PKS1_PKT2_SA_S7_PKT4_PKT5_S5_PT6_21rocsparse_index_base_b.num_vgpr, 139
	.set _ZN9rocsparseL18bsrxmvn_4x4_kernelILj128ELj16EdlidddEEvT3_20rocsparse_direction_NS_24const_host_device_scalarIT1_EES1_PKS1_PKT2_SA_S7_PKT4_PKT5_S5_PT6_21rocsparse_index_base_b.num_agpr, 0
	.set _ZN9rocsparseL18bsrxmvn_4x4_kernelILj128ELj16EdlidddEEvT3_20rocsparse_direction_NS_24const_host_device_scalarIT1_EES1_PKS1_PKT2_SA_S7_PKT4_PKT5_S5_PT6_21rocsparse_index_base_b.numbered_sgpr, 16
	.set _ZN9rocsparseL18bsrxmvn_4x4_kernelILj128ELj16EdlidddEEvT3_20rocsparse_direction_NS_24const_host_device_scalarIT1_EES1_PKS1_PKT2_SA_S7_PKT4_PKT5_S5_PT6_21rocsparse_index_base_b.num_named_barrier, 0
	.set _ZN9rocsparseL18bsrxmvn_4x4_kernelILj128ELj16EdlidddEEvT3_20rocsparse_direction_NS_24const_host_device_scalarIT1_EES1_PKS1_PKT2_SA_S7_PKT4_PKT5_S5_PT6_21rocsparse_index_base_b.private_seg_size, 0
	.set _ZN9rocsparseL18bsrxmvn_4x4_kernelILj128ELj16EdlidddEEvT3_20rocsparse_direction_NS_24const_host_device_scalarIT1_EES1_PKS1_PKT2_SA_S7_PKT4_PKT5_S5_PT6_21rocsparse_index_base_b.uses_vcc, 1
	.set _ZN9rocsparseL18bsrxmvn_4x4_kernelILj128ELj16EdlidddEEvT3_20rocsparse_direction_NS_24const_host_device_scalarIT1_EES1_PKS1_PKT2_SA_S7_PKT4_PKT5_S5_PT6_21rocsparse_index_base_b.uses_flat_scratch, 0
	.set _ZN9rocsparseL18bsrxmvn_4x4_kernelILj128ELj16EdlidddEEvT3_20rocsparse_direction_NS_24const_host_device_scalarIT1_EES1_PKS1_PKT2_SA_S7_PKT4_PKT5_S5_PT6_21rocsparse_index_base_b.has_dyn_sized_stack, 0
	.set _ZN9rocsparseL18bsrxmvn_4x4_kernelILj128ELj16EdlidddEEvT3_20rocsparse_direction_NS_24const_host_device_scalarIT1_EES1_PKS1_PKT2_SA_S7_PKT4_PKT5_S5_PT6_21rocsparse_index_base_b.has_recursion, 0
	.set _ZN9rocsparseL18bsrxmvn_4x4_kernelILj128ELj16EdlidddEEvT3_20rocsparse_direction_NS_24const_host_device_scalarIT1_EES1_PKS1_PKT2_SA_S7_PKT4_PKT5_S5_PT6_21rocsparse_index_base_b.has_indirect_call, 0
	.section	.AMDGPU.csdata,"",@progbits
; Kernel info:
; codeLenInByte = 5284
; TotalNumSgprs: 18
; NumVgprs: 139
; ScratchSize: 0
; MemoryBound: 1
; FloatMode: 240
; IeeeMode: 1
; LDSByteSize: 0 bytes/workgroup (compile time only)
; SGPRBlocks: 0
; VGPRBlocks: 17
; NumSGPRsForWavesPerEU: 18
; NumVGPRsForWavesPerEU: 139
; Occupancy: 7
; WaveLimiterHint : 1
; COMPUTE_PGM_RSRC2:SCRATCH_EN: 0
; COMPUTE_PGM_RSRC2:USER_SGPR: 6
; COMPUTE_PGM_RSRC2:TRAP_HANDLER: 0
; COMPUTE_PGM_RSRC2:TGID_X_EN: 1
; COMPUTE_PGM_RSRC2:TGID_Y_EN: 0
; COMPUTE_PGM_RSRC2:TGID_Z_EN: 0
; COMPUTE_PGM_RSRC2:TIDIG_COMP_CNT: 0
	.section	.text._ZN9rocsparseL18bsrxmvn_4x4_kernelILj128ELj32EdlidddEEvT3_20rocsparse_direction_NS_24const_host_device_scalarIT1_EES1_PKS1_PKT2_SA_S7_PKT4_PKT5_S5_PT6_21rocsparse_index_base_b,"axG",@progbits,_ZN9rocsparseL18bsrxmvn_4x4_kernelILj128ELj32EdlidddEEvT3_20rocsparse_direction_NS_24const_host_device_scalarIT1_EES1_PKS1_PKT2_SA_S7_PKT4_PKT5_S5_PT6_21rocsparse_index_base_b,comdat
	.globl	_ZN9rocsparseL18bsrxmvn_4x4_kernelILj128ELj32EdlidddEEvT3_20rocsparse_direction_NS_24const_host_device_scalarIT1_EES1_PKS1_PKT2_SA_S7_PKT4_PKT5_S5_PT6_21rocsparse_index_base_b ; -- Begin function _ZN9rocsparseL18bsrxmvn_4x4_kernelILj128ELj32EdlidddEEvT3_20rocsparse_direction_NS_24const_host_device_scalarIT1_EES1_PKS1_PKT2_SA_S7_PKT4_PKT5_S5_PT6_21rocsparse_index_base_b
	.p2align	8
	.type	_ZN9rocsparseL18bsrxmvn_4x4_kernelILj128ELj32EdlidddEEvT3_20rocsparse_direction_NS_24const_host_device_scalarIT1_EES1_PKS1_PKT2_SA_S7_PKT4_PKT5_S5_PT6_21rocsparse_index_base_b,@function
_ZN9rocsparseL18bsrxmvn_4x4_kernelILj128ELj32EdlidddEEvT3_20rocsparse_direction_NS_24const_host_device_scalarIT1_EES1_PKS1_PKT2_SA_S7_PKT4_PKT5_S5_PT6_21rocsparse_index_base_b: ; @_ZN9rocsparseL18bsrxmvn_4x4_kernelILj128ELj32EdlidddEEvT3_20rocsparse_direction_NS_24const_host_device_scalarIT1_EES1_PKS1_PKT2_SA_S7_PKT4_PKT5_S5_PT6_21rocsparse_index_base_b
; %bb.0:
	s_clause 0x2
	s_load_dwordx2 s[2:3], s[4:5], 0x58
	s_load_dwordx2 s[8:9], s[4:5], 0x8
	;; [unrolled: 1-line block ×3, first 2 shown]
	s_waitcnt lgkmcnt(0)
	s_bitcmp1_b32 s3, 0
	v_mov_b32_e32 v2, s8
	v_mov_b32_e32 v3, s9
	s_cselect_b32 s3, -1, 0
	s_and_b32 vcc_lo, exec_lo, s3
	s_xor_b32 s3, s3, -1
	s_cbranch_vccnz .LBB28_2
; %bb.1:
	v_mov_b32_e32 v1, s8
	v_mov_b32_e32 v2, s9
	flat_load_dwordx2 v[2:3], v[1:2]
.LBB28_2:
	v_mov_b32_e32 v9, s1
	v_mov_b32_e32 v8, s0
	s_andn2_b32 vcc_lo, exec_lo, s3
	s_cbranch_vccnz .LBB28_4
; %bb.3:
	v_mov_b32_e32 v5, s1
	v_mov_b32_e32 v4, s0
	flat_load_dwordx2 v[8:9], v[4:5]
.LBB28_4:
	s_waitcnt vmcnt(0) lgkmcnt(0)
	v_cmp_neq_f64_e32 vcc_lo, 0, v[2:3]
	v_cmp_neq_f64_e64 s0, 1.0, v[8:9]
	s_or_b32 s0, vcc_lo, s0
	s_and_saveexec_b32 s1, s0
	s_cbranch_execz .LBB28_10
; %bb.5:
	s_clause 0x1
	s_load_dwordx2 s[8:9], s[4:5], 0x18
	s_load_dwordx2 s[0:1], s[4:5], 0x0
	v_lshrrev_b32_e32 v1, 5, v0
	v_lshl_or_b32 v10, s6, 2, v1
	s_waitcnt lgkmcnt(0)
	s_cmp_lg_u64 s[8:9], 0
	s_cbranch_scc0 .LBB28_11
; %bb.6:
	s_load_dword s3, s[4:5], 0x10
	s_mov_b32 s6, 0
                                        ; implicit-def: $vgpr1
	s_waitcnt lgkmcnt(0)
	v_cmp_gt_i32_e32 vcc_lo, s3, v10
	s_mov_b32 s3, 0
	s_and_saveexec_b32 s7, vcc_lo
	s_xor_b32 s7, exec_lo, s7
	s_cbranch_execz .LBB28_8
; %bb.7:
	v_ashrrev_i32_e32 v11, 31, v10
	s_mov_b32 s3, exec_lo
	v_lshlrev_b64 v[4:5], 2, v[10:11]
	v_add_co_u32 v4, vcc_lo, s8, v4
	v_add_co_ci_u32_e64 v5, null, s9, v5, vcc_lo
	global_load_dword v1, v[4:5], off
	s_waitcnt vmcnt(0)
	v_subrev_nc_u32_e32 v1, s2, v1
.LBB28_8:
	s_or_b32 exec_lo, exec_lo, s7
	s_and_b32 vcc_lo, exec_lo, s6
	s_cbranch_vccz .LBB28_12
.LBB28_9:
	v_cmp_gt_i32_e32 vcc_lo, s0, v10
	s_andn2_b32 s0, s3, exec_lo
	s_and_b32 s3, vcc_lo, exec_lo
	s_or_b32 s3, s0, s3
	s_and_b32 exec_lo, exec_lo, s3
	s_cbranch_execnz .LBB28_13
.LBB28_10:
	s_endpgm
.LBB28_11:
	s_mov_b32 s3, 0
                                        ; implicit-def: $vgpr1
	s_cbranch_execnz .LBB28_9
.LBB28_12:
	v_mov_b32_e32 v10, v1
	s_and_b32 exec_lo, exec_lo, s3
	s_cbranch_execz .LBB28_10
.LBB28_13:
	s_load_dwordx8 s[8:15], s[4:5], 0x20
	v_ashrrev_i32_e32 v11, 31, v10
	v_and_b32_e32 v31, 31, v0
	s_load_dwordx2 s[6:7], s[4:5], 0x40
	v_lshlrev_b64 v[4:5], 3, v[10:11]
	s_waitcnt lgkmcnt(0)
	v_add_co_u32 v6, vcc_lo, s8, v4
	v_add_co_ci_u32_e64 v7, null, s9, v5, vcc_lo
	v_add_co_u32 v1, vcc_lo, s10, v4
	v_add_co_ci_u32_e64 v4, null, s11, v5, vcc_lo
	v_add_co_u32 v11, vcc_lo, v6, 8
	global_load_dwordx2 v[19:20], v[6:7], off
	v_add_co_ci_u32_e64 v5, null, 0, v7, vcc_lo
	s_cmp_eq_u64 s[10:11], 0
	s_cselect_b32 vcc_lo, -1, 0
	s_cmp_eq_u32 s1, 1
	v_cndmask_b32_e32 v5, v4, v5, vcc_lo
	v_cndmask_b32_e32 v4, v1, v11, vcc_lo
	global_load_dwordx2 v[4:5], v[4:5], off
	s_waitcnt vmcnt(1)
	v_sub_co_u32 v0, vcc_lo, v19, s2
	v_subrev_co_ci_u32_e64 v1, null, 0, v20, vcc_lo
	v_add_co_u32 v0, vcc_lo, v0, v31
	v_add_co_ci_u32_e64 v1, null, 0, v1, vcc_lo
	v_lshlrev_b64 v[6:7], 7, v[0:1]
	s_waitcnt vmcnt(0)
	v_sub_co_u32 v4, vcc_lo, v4, s2
	v_subrev_co_ci_u32_e64 v5, null, 0, v5, vcc_lo
	v_add_co_u32 v6, vcc_lo, s14, v6
	v_cmp_lt_i64_e64 s0, v[0:1], v[4:5]
	v_add_co_ci_u32_e64 v7, null, s15, v7, vcc_lo
	s_cbranch_scc1 .LBB28_25
; %bb.14:
	v_mov_b32_e32 v11, 0
	v_mov_b32_e32 v13, 0
	;; [unrolled: 1-line block ×8, first 2 shown]
	s_and_saveexec_b32 s3, s0
	s_cbranch_execz .LBB28_24
; %bb.15:
	v_or_b32_e32 v11, 32, v31
	v_not_b32_e32 v14, v19
	v_not_b32_e32 v13, v20
	v_mov_b32_e32 v22, 0
	v_mov_b32_e32 v17, 0
	v_sub_co_u32 v11, s1, v11, s2
	v_sub_co_ci_u32_e64 v12, null, 0, 0, s1
	v_sub_co_u32 v15, s1, s2, v31
	v_add_co_u32 v11, vcc_lo, v11, v19
	v_add_co_ci_u32_e64 v12, null, v12, v20, vcc_lo
	v_sub_co_ci_u32_e64 v16, null, 0, 0, s1
	v_mov_b32_e32 v24, v1
	v_cmp_gt_i64_e32 vcc_lo, v[11:12], v[4:5]
	v_mov_b32_e32 v18, 0
	v_mov_b32_e32 v23, v0
	v_cndmask_b32_e32 v12, v5, v12, vcc_lo
	v_cndmask_b32_e32 v11, v4, v11, vcc_lo
	v_add_co_u32 v14, vcc_lo, v15, v14
	v_add_co_ci_u32_e64 v13, null, v16, v13, vcc_lo
	v_mov_b32_e32 v15, 0
	v_add_co_u32 v25, vcc_lo, v14, v11
	v_add_co_ci_u32_e64 v26, null, v13, v12, vcc_lo
	v_mov_b32_e32 v13, 0
	v_and_b32_e32 v21, 0x60, v25
	v_mov_b32_e32 v11, 0
	v_mov_b32_e32 v16, 0
	;; [unrolled: 1-line block ×4, first 2 shown]
	v_cmp_ne_u64_e32 vcc_lo, 0x60, v[21:22]
	v_mov_b32_e32 v22, v7
	v_mov_b32_e32 v21, v6
	s_and_saveexec_b32 s8, vcc_lo
	s_cbranch_execz .LBB28_19
; %bb.16:
	v_lshrrev_b32_e32 v11, 5, v25
	v_lshlrev_b64 v[17:18], 2, v[0:1]
	v_mov_b32_e32 v22, v7
	v_mov_b32_e32 v13, 0
	;; [unrolled: 1-line block ×3, first 2 shown]
	v_add_nc_u32_e32 v23, 1, v11
	v_mov_b32_e32 v11, 0
	v_add_co_u32 v27, vcc_lo, s12, v17
	v_add_co_ci_u32_e64 v28, null, s13, v18, vcc_lo
	v_and_b32_e32 v23, 3, v23
	v_mov_b32_e32 v17, 0
	v_mov_b32_e32 v12, 0
	;; [unrolled: 1-line block ×4, first 2 shown]
	v_sub_co_u32 v29, s1, 0, v23
	v_mov_b32_e32 v24, v1
	v_mov_b32_e32 v16, 0
	v_sub_co_ci_u32_e64 v30, null, 0, 0, s1
	v_mov_b32_e32 v18, 0
	v_mov_b32_e32 v23, v0
	s_mov_b32 s9, 0
.LBB28_17:                              ; =>This Inner Loop Header: Depth=1
	global_load_dword v60, v[27:28], off
	s_clause 0x6
	global_load_dwordx4 v[32:35], v[21:22], off offset:48
	global_load_dwordx4 v[36:39], v[21:22], off offset:32
	;; [unrolled: 1-line block ×3, first 2 shown]
	global_load_dwordx4 v[44:47], v[21:22], off
	global_load_dwordx4 v[48:51], v[21:22], off offset:112
	global_load_dwordx4 v[52:55], v[21:22], off offset:96
	;; [unrolled: 1-line block ×3, first 2 shown]
	v_add_co_u32 v27, s1, 0x80, v27
	v_add_co_ci_u32_e64 v28, null, 0, v28, s1
	s_waitcnt vmcnt(7)
	v_subrev_nc_u32_e32 v60, s2, v60
	v_lshlrev_b32_e32 v60, 2, v60
	v_ashrrev_i32_e32 v61, 31, v60
	v_lshlrev_b64 v[60:61], 3, v[60:61]
	v_add_co_u32 v68, vcc_lo, s6, v60
	v_add_co_ci_u32_e64 v69, null, s7, v61, vcc_lo
	global_load_dwordx4 v[60:63], v[21:22], off offset:64
	s_clause 0x1
	global_load_dwordx4 v[64:67], v[68:69], off
	global_load_dwordx4 v[68:71], v[68:69], off offset:16
	v_add_co_u32 v21, vcc_lo, 0x1000, v21
	v_add_co_ci_u32_e64 v22, null, 0, v22, vcc_lo
	v_add_co_u32 v29, vcc_lo, v29, 1
	v_add_co_ci_u32_e64 v30, null, 0, v30, vcc_lo
	;; [unrolled: 2-line block ×3, first 2 shown]
	v_cmp_eq_u64_e32 vcc_lo, 0, v[29:30]
	s_or_b32 s9, vcc_lo, s9
	s_waitcnt vmcnt(1)
	v_fma_f64 v[17:18], v[44:45], v[64:65], v[17:18]
	v_fma_f64 v[15:16], v[36:37], v[64:65], v[15:16]
	;; [unrolled: 1-line block ×8, first 2 shown]
	s_waitcnt vmcnt(0)
	v_fma_f64 v[17:18], v[40:41], v[68:69], v[17:18]
	v_fma_f64 v[15:16], v[32:33], v[68:69], v[15:16]
	;; [unrolled: 1-line block ×8, first 2 shown]
	s_andn2_b32 exec_lo, exec_lo, s9
	s_cbranch_execnz .LBB28_17
; %bb.18:
	s_or_b32 exec_lo, exec_lo, s9
.LBB28_19:
	s_or_b32 exec_lo, exec_lo, s8
	s_mov_b32 s8, exec_lo
	v_cmpx_lt_u64_e32 0x5f, v[25:26]
	s_cbranch_execz .LBB28_23
; %bb.20:
	v_lshlrev_b64 v[25:26], 2, v[23:24]
	s_mov_b32 s9, 0
	v_add_co_u32 v25, vcc_lo, s12, v25
	v_add_co_ci_u32_e64 v26, null, s13, v26, vcc_lo
	v_add_co_u32 v25, vcc_lo, 0x100, v25
	v_add_co_ci_u32_e64 v26, null, 0, v26, vcc_lo
.LBB28_21:                              ; =>This Inner Loop Header: Depth=1
	global_load_dword v120, v[25:26], off offset:-256
	s_clause 0x7
	global_load_dwordx4 v[27:30], v[21:22], off offset:48
	global_load_dwordx4 v[32:35], v[21:22], off offset:32
	;; [unrolled: 1-line block ×3, first 2 shown]
	global_load_dwordx4 v[40:43], v[21:22], off
	global_load_dwordx4 v[44:47], v[21:22], off offset:112
	global_load_dwordx4 v[48:51], v[21:22], off offset:96
	;; [unrolled: 1-line block ×4, first 2 shown]
	s_clause 0x2
	global_load_dword v134, v[25:26], off offset:-128
	global_load_dword v135, v[25:26], off
	global_load_dword v138, v[25:26], off offset:128
	v_add_co_u32 v88, vcc_lo, 0x1000, v21
	v_add_co_ci_u32_e64 v89, null, 0, v22, vcc_lo
	v_add_co_u32 v128, vcc_lo, 0x2000, v21
	v_add_co_ci_u32_e64 v129, null, 0, v22, vcc_lo
	;; [unrolled: 2-line block ×3, first 2 shown]
	s_clause 0xe
	global_load_dwordx4 v[60:63], v[88:89], off offset:48
	global_load_dwordx4 v[64:67], v[88:89], off offset:32
	global_load_dwordx4 v[68:71], v[88:89], off
	global_load_dwordx4 v[72:75], v[88:89], off offset:16
	global_load_dwordx4 v[76:79], v[88:89], off offset:112
	;; [unrolled: 1-line block ×7, first 2 shown]
	global_load_dwordx4 v[100:103], v[128:129], off
	global_load_dwordx4 v[104:107], v[128:129], off offset:16
	global_load_dwordx4 v[108:111], v[128:129], off offset:112
	;; [unrolled: 1-line block ×4, first 2 shown]
	v_add_co_u32 v21, s1, 0x4000, v21
	v_add_co_ci_u32_e64 v22, null, 0, v22, s1
	s_waitcnt vmcnt(26)
	v_subrev_nc_u32_e32 v120, s2, v120
	v_lshlrev_b32_e32 v120, 2, v120
	v_ashrrev_i32_e32 v121, 31, v120
	v_lshlrev_b64 v[120:121], 3, v[120:121]
	v_add_co_u32 v124, vcc_lo, s6, v120
	v_add_co_ci_u32_e64 v125, null, s7, v121, vcc_lo
	s_clause 0x1
	global_load_dwordx4 v[120:123], v[124:125], off
	global_load_dwordx4 v[124:127], v[124:125], off offset:16
	s_waitcnt vmcnt(1)
	v_fma_f64 v[13:14], v[56:57], v[120:121], v[13:14]
	v_fma_f64 v[17:18], v[40:41], v[120:121], v[17:18]
	;; [unrolled: 1-line block ×5, first 2 shown]
	v_subrev_nc_u32_e32 v13, s2, v134
	v_fma_f64 v[132:133], v[42:43], v[122:123], v[17:18]
	global_load_dwordx4 v[40:43], v[128:129], off offset:64
	v_fma_f64 v[128:129], v[34:35], v[122:123], v[15:16]
	s_clause 0x1
	global_load_dwordx4 v[15:18], v[130:131], off
	global_load_dwordx4 v[32:35], v[130:131], off offset:48
	v_lshlrev_b32_e32 v13, 2, v13
	v_fma_f64 v[120:121], v[50:51], v[122:123], v[11:12]
	v_subrev_nc_u32_e32 v122, s2, v135
	v_ashrrev_i32_e32 v14, 31, v13
	v_lshlrev_b32_e32 v122, 2, v122
	v_lshlrev_b64 v[13:14], 3, v[13:14]
	v_ashrrev_i32_e32 v123, 31, v122
	s_waitcnt vmcnt(3)
	v_fma_f64 v[52:53], v[52:53], v[124:125], v[56:57]
	v_add_co_u32 v58, vcc_lo, s6, v13
	v_add_co_ci_u32_e64 v59, null, s7, v14, vcc_lo
	v_fma_f64 v[36:37], v[36:37], v[124:125], v[132:133]
	global_load_dwordx4 v[11:14], v[58:59], off
	global_load_dwordx4 v[48:51], v[130:131], off offset:32
	v_fma_f64 v[27:28], v[27:28], v[124:125], v[128:129]
	v_lshlrev_b64 v[122:123], 3, v[122:123]
	v_subrev_nc_u32_e32 v56, s2, v138
	v_fma_f64 v[44:45], v[44:45], v[124:125], v[120:121]
	v_lshlrev_b32_e32 v120, 2, v56
	v_ashrrev_i32_e32 v121, 31, v120
	v_fma_f64 v[134:135], v[54:55], v[126:127], v[52:53]
	global_load_dwordx4 v[52:55], v[130:131], off offset:112
	v_lshlrev_b64 v[120:121], 3, v[120:121]
	v_fma_f64 v[132:133], v[38:39], v[126:127], v[36:37]
	global_load_dwordx4 v[36:39], v[58:59], off offset:16
	v_add_co_u32 v58, vcc_lo, s6, v122
	v_add_co_ci_u32_e64 v59, null, s7, v123, vcc_lo
	v_fma_f64 v[128:129], v[29:30], v[126:127], v[27:28]
	v_add_co_u32 v124, vcc_lo, s6, v120
	global_load_dwordx4 v[27:30], v[58:59], off
	v_add_co_ci_u32_e64 v125, null, s7, v121, vcc_lo
	v_fma_f64 v[136:137], v[46:47], v[126:127], v[44:45]
	s_clause 0x1
	global_load_dwordx4 v[44:47], v[130:131], off offset:96
	global_load_dwordx4 v[120:123], v[130:131], off offset:64
	v_add_co_u32 v23, vcc_lo, 0x80, v23
	v_add_co_ci_u32_e64 v24, null, 0, v24, vcc_lo
	v_add_co_u32 v25, vcc_lo, 0x200, v25
	v_add_co_ci_u32_e64 v26, null, 0, v26, vcc_lo
	v_cmp_ge_i64_e32 vcc_lo, v[23:24], v[4:5]
	s_or_b32 s9, vcc_lo, s9
	s_waitcnt vmcnt(6)
	v_fma_f64 v[68:69], v[68:69], v[11:12], v[132:133]
	v_fma_f64 v[64:65], v[64:65], v[11:12], v[128:129]
	v_fma_f64 v[88:89], v[88:89], v[11:12], v[134:135]
	v_fma_f64 v[11:12], v[80:81], v[11:12], v[136:137]
	v_fma_f64 v[132:133], v[70:71], v[13:14], v[68:69]
	s_clause 0x1
	global_load_dwordx4 v[68:71], v[124:125], off
	global_load_dwordx4 v[56:59], v[58:59], off offset:16
	v_fma_f64 v[128:129], v[66:67], v[13:14], v[64:65]
	global_load_dwordx4 v[64:67], v[130:131], off offset:80
	v_fma_f64 v[134:135], v[90:91], v[13:14], v[88:89]
	global_load_dwordx4 v[88:91], v[130:131], off offset:16
	global_load_dwordx4 v[124:127], v[124:125], off offset:16
	v_fma_f64 v[11:12], v[82:83], v[13:14], v[11:12]
	s_waitcnt vmcnt(8)
	v_fma_f64 v[13:14], v[72:73], v[36:37], v[132:133]
	v_fma_f64 v[60:61], v[60:61], v[36:37], v[128:129]
	v_fma_f64 v[72:73], v[84:85], v[36:37], v[134:135]
	v_fma_f64 v[11:12], v[76:77], v[36:37], v[11:12]
	v_fma_f64 v[13:14], v[74:75], v[38:39], v[13:14]
	v_fma_f64 v[36:37], v[62:63], v[38:39], v[60:61]
	v_fma_f64 v[60:61], v[86:87], v[38:39], v[72:73]
	v_fma_f64 v[11:12], v[78:79], v[38:39], v[11:12]
	s_waitcnt vmcnt(7)
	v_fma_f64 v[13:14], v[100:101], v[27:28], v[13:14]
	v_fma_f64 v[36:37], v[96:97], v[27:28], v[36:37]
	v_fma_f64 v[38:39], v[40:41], v[27:28], v[60:61]
	v_fma_f64 v[11:12], v[112:113], v[27:28], v[11:12]
	v_fma_f64 v[13:14], v[102:103], v[29:30], v[13:14]
	v_fma_f64 v[27:28], v[98:99], v[29:30], v[36:37]
	v_fma_f64 v[36:37], v[42:43], v[29:30], v[38:39]
	;; [unrolled: 9-line block ×3, first 2 shown]
	v_fma_f64 v[11:12], v[110:111], v[58:59], v[11:12]
	v_fma_f64 v[13:14], v[15:16], v[68:69], v[13:14]
	;; [unrolled: 1-line block ×9, first 2 shown]
	s_waitcnt vmcnt(0)
	v_fma_f64 v[13:14], v[88:89], v[124:125], v[13:14]
	v_fma_f64 v[15:16], v[32:33], v[124:125], v[15:16]
	;; [unrolled: 1-line block ×8, first 2 shown]
	s_andn2_b32 exec_lo, exec_lo, s9
	s_cbranch_execnz .LBB28_21
; %bb.22:
	s_or_b32 exec_lo, exec_lo, s9
.LBB28_23:
	s_or_b32 exec_lo, exec_lo, s8
.LBB28_24:
	s_or_b32 exec_lo, exec_lo, s3
	s_cbranch_execz .LBB28_26
	s_branch .LBB28_37
.LBB28_25:
                                        ; implicit-def: $vgpr11_vgpr12
                                        ; implicit-def: $vgpr13_vgpr14
                                        ; implicit-def: $vgpr15_vgpr16
                                        ; implicit-def: $vgpr17_vgpr18
.LBB28_26:
	v_mov_b32_e32 v11, 0
	v_mov_b32_e32 v13, 0
	;; [unrolled: 1-line block ×8, first 2 shown]
	s_and_saveexec_b32 s1, s0
	s_cbranch_execz .LBB28_36
; %bb.27:
	v_or_b32_e32 v11, 32, v31
	v_not_b32_e32 v14, v19
	v_not_b32_e32 v13, v20
	v_sub_co_u32 v11, s0, v11, s2
	v_sub_co_ci_u32_e64 v12, null, 0, 0, s0
	v_sub_co_u32 v15, s0, s2, v31
	v_add_co_u32 v11, vcc_lo, v11, v19
	v_add_co_ci_u32_e64 v12, null, v12, v20, vcc_lo
	v_sub_co_ci_u32_e64 v16, null, 0, 0, s0
	v_cmp_gt_i64_e32 vcc_lo, v[11:12], v[4:5]
	v_cndmask_b32_e32 v17, v5, v12, vcc_lo
	v_cndmask_b32_e32 v11, v4, v11, vcc_lo
	v_add_co_u32 v12, vcc_lo, v15, v14
	v_add_co_ci_u32_e64 v13, null, v16, v13, vcc_lo
	v_mov_b32_e32 v15, 0
	v_add_co_u32 v19, vcc_lo, v12, v11
	v_mov_b32_e32 v12, 0
	v_add_co_ci_u32_e64 v20, null, v13, v17, vcc_lo
	v_and_b32_e32 v11, 0x60, v19
	v_mov_b32_e32 v17, 0
	v_mov_b32_e32 v13, 0
	;; [unrolled: 1-line block ×4, first 2 shown]
	v_cmp_ne_u64_e32 vcc_lo, 0x60, v[11:12]
	v_mov_b32_e32 v11, 0
	v_mov_b32_e32 v14, 0
	;; [unrolled: 1-line block ×3, first 2 shown]
	s_and_saveexec_b32 s3, vcc_lo
	s_cbranch_execz .LBB28_31
; %bb.28:
	v_lshrrev_b32_e32 v11, 5, v19
	v_lshlrev_b64 v[21:22], 2, v[0:1]
	v_mov_b32_e32 v13, 0
	v_mov_b32_e32 v15, 0
	;; [unrolled: 1-line block ×3, first 2 shown]
	v_add_nc_u32_e32 v23, 1, v11
	v_mov_b32_e32 v11, 0
	v_add_co_u32 v21, vcc_lo, s12, v21
	v_mov_b32_e32 v12, 0
	v_and_b32_e32 v23, 3, v23
	v_mov_b32_e32 v14, 0
	v_mov_b32_e32 v16, 0
	;; [unrolled: 1-line block ×3, first 2 shown]
	v_add_co_ci_u32_e64 v22, null, s13, v22, vcc_lo
	v_sub_co_u32 v23, s0, 0, v23
	v_sub_co_ci_u32_e64 v24, null, 0, 0, s0
	s_mov_b32 s8, 0
.LBB28_29:                              ; =>This Inner Loop Header: Depth=1
	global_load_dword v29, v[21:22], off
	global_load_dwordx4 v[25:28], v[6:7], off offset:16
	v_add_co_u32 v21, s0, 0x80, v21
	v_add_co_ci_u32_e64 v22, null, 0, v22, s0
	s_waitcnt vmcnt(1)
	v_subrev_nc_u32_e32 v29, s2, v29
	v_lshlrev_b32_e32 v29, 2, v29
	v_ashrrev_i32_e32 v30, 31, v29
	v_lshlrev_b64 v[29:30], 3, v[29:30]
	v_add_co_u32 v29, vcc_lo, s6, v29
	v_add_co_ci_u32_e64 v30, null, s7, v30, vcc_lo
	global_load_dwordx4 v[32:35], v[6:7], off
	s_clause 0x1
	global_load_dwordx4 v[36:39], v[29:30], off
	global_load_dwordx4 v[40:43], v[29:30], off offset:16
	s_clause 0x5
	global_load_dwordx4 v[44:47], v[6:7], off offset:32
	global_load_dwordx4 v[48:51], v[6:7], off offset:48
	;; [unrolled: 1-line block ×6, first 2 shown]
	v_add_co_u32 v6, vcc_lo, 0x1000, v6
	v_add_co_ci_u32_e64 v7, null, 0, v7, vcc_lo
	v_add_co_u32 v23, vcc_lo, v23, 1
	v_add_co_ci_u32_e64 v24, null, 0, v24, vcc_lo
	;; [unrolled: 2-line block ×3, first 2 shown]
	v_cmp_eq_u64_e32 vcc_lo, 0, v[23:24]
	s_or_b32 s8, vcc_lo, s8
	s_waitcnt vmcnt(7)
	v_fma_f64 v[17:18], v[32:33], v[36:37], v[17:18]
	v_fma_f64 v[15:16], v[34:35], v[36:37], v[15:16]
	;; [unrolled: 1-line block ×4, first 2 shown]
	s_waitcnt vmcnt(5)
	v_fma_f64 v[17:18], v[44:45], v[38:39], v[17:18]
	v_fma_f64 v[15:16], v[46:47], v[38:39], v[15:16]
	s_waitcnt vmcnt(4)
	v_fma_f64 v[13:14], v[48:49], v[38:39], v[13:14]
	v_fma_f64 v[11:12], v[50:51], v[38:39], v[11:12]
	s_waitcnt vmcnt(3)
	v_fma_f64 v[17:18], v[52:53], v[40:41], v[17:18]
	v_fma_f64 v[15:16], v[54:55], v[40:41], v[15:16]
	s_waitcnt vmcnt(2)
	v_fma_f64 v[13:14], v[56:57], v[40:41], v[13:14]
	v_fma_f64 v[11:12], v[58:59], v[40:41], v[11:12]
	s_waitcnt vmcnt(1)
	v_fma_f64 v[17:18], v[60:61], v[42:43], v[17:18]
	v_fma_f64 v[15:16], v[62:63], v[42:43], v[15:16]
	s_waitcnt vmcnt(0)
	v_fma_f64 v[13:14], v[64:65], v[42:43], v[13:14]
	v_fma_f64 v[11:12], v[66:67], v[42:43], v[11:12]
	s_andn2_b32 exec_lo, exec_lo, s8
	s_cbranch_execnz .LBB28_29
; %bb.30:
	s_or_b32 exec_lo, exec_lo, s8
.LBB28_31:
	s_or_b32 exec_lo, exec_lo, s3
	s_mov_b32 s3, exec_lo
	v_cmpx_lt_u64_e32 0x5f, v[19:20]
	s_cbranch_execz .LBB28_35
; %bb.32:
	v_lshlrev_b64 v[19:20], 2, v[0:1]
	s_mov_b32 s8, 0
	v_add_co_u32 v19, vcc_lo, s12, v19
	v_add_co_ci_u32_e64 v20, null, s13, v20, vcc_lo
	v_add_co_u32 v19, vcc_lo, 0x100, v19
	v_add_co_ci_u32_e64 v20, null, 0, v20, vcc_lo
.LBB28_33:                              ; =>This Inner Loop Header: Depth=1
	s_clause 0x1
	global_load_dword v80, v[19:20], off offset:-256
	global_load_dword v81, v[19:20], off offset:-128
	s_clause 0x7
	global_load_dwordx4 v[21:24], v[6:7], off offset:48
	global_load_dwordx4 v[25:28], v[6:7], off offset:32
	;; [unrolled: 1-line block ×3, first 2 shown]
	global_load_dwordx4 v[36:39], v[6:7], off
	global_load_dwordx4 v[40:43], v[6:7], off offset:112
	global_load_dwordx4 v[44:47], v[6:7], off offset:96
	;; [unrolled: 1-line block ×4, first 2 shown]
	v_add_co_u32 v29, vcc_lo, 0x1000, v6
	v_add_co_ci_u32_e64 v30, null, 0, v7, vcc_lo
	s_clause 0x1
	global_load_dword v114, v[19:20], off
	global_load_dword v116, v[19:20], off offset:128
	s_clause 0x5
	global_load_dwordx4 v[56:59], v[29:30], off offset:48
	global_load_dwordx4 v[60:63], v[29:30], off offset:32
	global_load_dwordx4 v[64:67], v[29:30], off
	global_load_dwordx4 v[68:71], v[29:30], off offset:16
	global_load_dwordx4 v[72:75], v[29:30], off offset:80
	;; [unrolled: 1-line block ×3, first 2 shown]
	v_add_co_u32 v112, vcc_lo, 0x2000, v6
	v_add_co_ci_u32_e64 v113, null, 0, v7, vcc_lo
	s_waitcnt vmcnt(17)
	v_subrev_nc_u32_e32 v80, s2, v80
	s_waitcnt vmcnt(16)
	v_subrev_nc_u32_e32 v81, s2, v81
	v_lshlrev_b32_e32 v80, 2, v80
	v_lshlrev_b32_e32 v82, 2, v81
	v_ashrrev_i32_e32 v81, 31, v80
	v_ashrrev_i32_e32 v83, 31, v82
	v_lshlrev_b64 v[80:81], 3, v[80:81]
	v_lshlrev_b64 v[82:83], 3, v[82:83]
	v_add_co_u32 v84, s0, s6, v80
	v_add_co_ci_u32_e64 v85, null, s7, v81, s0
	v_add_co_u32 v92, s0, s6, v82
	v_add_co_ci_u32_e64 v93, null, s7, v83, s0
	s_clause 0x3
	global_load_dwordx4 v[80:83], v[84:85], off
	global_load_dwordx4 v[84:87], v[84:85], off offset:16
	global_load_dwordx4 v[88:91], v[92:93], off
	global_load_dwordx4 v[92:95], v[92:93], off offset:16
	s_clause 0x3
	global_load_dwordx4 v[96:99], v[29:30], off offset:112
	global_load_dwordx4 v[100:103], v[29:30], off offset:96
	global_load_dwordx4 v[104:107], v[112:113], off
	global_load_dwordx4 v[108:111], v[112:113], off offset:16
	s_waitcnt vmcnt(15)
	v_subrev_nc_u32_e32 v29, s2, v114
	v_lshlrev_b32_e32 v29, 2, v29
	v_ashrrev_i32_e32 v30, 31, v29
	v_lshlrev_b64 v[29:30], 3, v[29:30]
	v_add_co_u32 v29, vcc_lo, s6, v29
	v_add_co_ci_u32_e64 v30, null, s7, v30, vcc_lo
	s_waitcnt vmcnt(7)
	v_fma_f64 v[17:18], v[36:37], v[80:81], v[17:18]
	v_fma_f64 v[15:16], v[38:39], v[80:81], v[15:16]
	;; [unrolled: 1-line block ×4, first 2 shown]
	global_load_dwordx4 v[11:14], v[29:30], off
	v_fma_f64 v[36:37], v[25:26], v[82:83], v[17:18]
	v_fma_f64 v[38:39], v[27:28], v[82:83], v[15:16]
	global_load_dwordx4 v[15:18], v[112:113], off offset:32
	v_fma_f64 v[80:81], v[21:22], v[82:83], v[32:33]
	v_fma_f64 v[82:83], v[23:24], v[82:83], v[34:35]
	s_clause 0x1
	global_load_dwordx4 v[21:24], v[112:113], off offset:48
	global_load_dwordx4 v[25:28], v[112:113], off offset:80
	s_waitcnt vmcnt(10)
	v_fma_f64 v[52:53], v[52:53], v[84:85], v[36:37]
	v_fma_f64 v[54:55], v[54:55], v[84:85], v[38:39]
	global_load_dwordx4 v[32:35], v[112:113], off offset:64
	global_load_dwordx4 v[36:39], v[29:30], off offset:16
	v_fma_f64 v[29:30], v[48:49], v[84:85], v[80:81]
	v_fma_f64 v[80:81], v[50:51], v[84:85], v[82:83]
	v_add_co_u32 v84, vcc_lo, 0x3000, v6
	v_add_co_ci_u32_e64 v85, null, 0, v7, vcc_lo
	v_add_co_u32 v6, s0, 0x4000, v6
	v_add_co_ci_u32_e64 v7, null, 0, v7, s0
	v_fma_f64 v[82:83], v[44:45], v[86:87], v[52:53]
	v_subrev_nc_u32_e32 v52, s2, v116
	v_fma_f64 v[114:115], v[46:47], v[86:87], v[54:55]
	s_clause 0x1
	global_load_dwordx4 v[44:47], v[112:113], off offset:112
	global_load_dwordx4 v[48:51], v[112:113], off offset:96
	v_fma_f64 v[29:30], v[40:41], v[86:87], v[29:30]
	v_fma_f64 v[80:81], v[42:43], v[86:87], v[80:81]
	v_lshlrev_b32_e32 v52, 2, v52
	global_load_dwordx4 v[40:43], v[84:85], off
	v_ashrrev_i32_e32 v53, 31, v52
	v_lshlrev_b64 v[52:53], 3, v[52:53]
	v_add_co_u32 v86, vcc_lo, s6, v52
	v_add_co_ci_u32_e64 v87, null, s7, v53, vcc_lo
	global_load_dwordx4 v[52:55], v[84:85], off offset:16
	s_waitcnt vmcnt(15)
	v_fma_f64 v[82:83], v[64:65], v[88:89], v[82:83]
	v_fma_f64 v[112:113], v[66:67], v[88:89], v[114:115]
	global_load_dwordx4 v[64:67], v[86:87], off
	v_fma_f64 v[29:30], v[68:69], v[88:89], v[29:30]
	v_fma_f64 v[80:81], v[70:71], v[88:89], v[80:81]
	global_load_dwordx4 v[68:71], v[84:85], off offset:32
	v_add_co_u32 v0, vcc_lo, 0x80, v0
	v_add_co_ci_u32_e64 v1, null, 0, v1, vcc_lo
	v_add_co_u32 v19, vcc_lo, 0x200, v19
	v_add_co_ci_u32_e64 v20, null, 0, v20, vcc_lo
	v_cmp_ge_i64_e32 vcc_lo, v[0:1], v[4:5]
	s_or_b32 s8, vcc_lo, s8
	v_fma_f64 v[88:89], v[60:61], v[90:91], v[82:83]
	v_fma_f64 v[112:113], v[62:63], v[90:91], v[112:113]
	global_load_dwordx4 v[60:63], v[84:85], off offset:48
	v_fma_f64 v[29:30], v[56:57], v[90:91], v[29:30]
	v_fma_f64 v[90:91], v[58:59], v[90:91], v[80:81]
	s_clause 0x1
	global_load_dwordx4 v[56:59], v[84:85], off offset:64
	global_load_dwordx4 v[80:83], v[84:85], off offset:80
	s_waitcnt vmcnt(19)
	v_fma_f64 v[88:89], v[76:77], v[92:93], v[88:89]
	v_fma_f64 v[112:113], v[78:79], v[92:93], v[112:113]
	global_load_dwordx4 v[76:79], v[86:87], off offset:16
	v_fma_f64 v[29:30], v[72:73], v[92:93], v[29:30]
	v_fma_f64 v[90:91], v[74:75], v[92:93], v[90:91]
	s_clause 0x1
	global_load_dwordx4 v[72:75], v[84:85], off offset:96
	global_load_dwordx4 v[84:87], v[84:85], off offset:112
	s_waitcnt vmcnt(20)
	v_fma_f64 v[88:89], v[100:101], v[94:95], v[88:89]
	v_fma_f64 v[92:93], v[102:103], v[94:95], v[112:113]
	;; [unrolled: 1-line block ×4, first 2 shown]
	s_waitcnt vmcnt(17)
	v_fma_f64 v[88:89], v[104:105], v[11:12], v[88:89]
	v_fma_f64 v[92:93], v[106:107], v[11:12], v[92:93]
	;; [unrolled: 1-line block ×4, first 2 shown]
	s_waitcnt vmcnt(16)
	v_fma_f64 v[15:16], v[15:16], v[13:14], v[88:89]
	v_fma_f64 v[17:18], v[17:18], v[13:14], v[92:93]
	s_waitcnt vmcnt(15)
	v_fma_f64 v[21:22], v[21:22], v[13:14], v[29:30]
	v_fma_f64 v[11:12], v[23:24], v[13:14], v[11:12]
	;; [unrolled: 3-line block ×3, first 2 shown]
	v_fma_f64 v[17:18], v[25:26], v[36:37], v[21:22]
	v_fma_f64 v[11:12], v[27:28], v[36:37], v[11:12]
	s_waitcnt vmcnt(10)
	v_fma_f64 v[13:14], v[48:49], v[38:39], v[13:14]
	v_fma_f64 v[15:16], v[50:51], v[38:39], v[15:16]
	v_fma_f64 v[17:18], v[44:45], v[38:39], v[17:18]
	v_fma_f64 v[11:12], v[46:47], v[38:39], v[11:12]
	s_waitcnt vmcnt(7)
	v_fma_f64 v[13:14], v[40:41], v[64:65], v[13:14]
	v_fma_f64 v[15:16], v[42:43], v[64:65], v[15:16]
	;; [unrolled: 5-line block ×3, first 2 shown]
	s_waitcnt vmcnt(5)
	v_fma_f64 v[17:18], v[60:61], v[66:67], v[17:18]
	v_fma_f64 v[11:12], v[62:63], v[66:67], v[11:12]
	s_waitcnt vmcnt(2)
	v_fma_f64 v[13:14], v[56:57], v[76:77], v[13:14]
	v_fma_f64 v[15:16], v[58:59], v[76:77], v[15:16]
	;; [unrolled: 1-line block ×4, first 2 shown]
	s_waitcnt vmcnt(1)
	v_fma_f64 v[17:18], v[72:73], v[78:79], v[13:14]
	v_fma_f64 v[15:16], v[74:75], v[78:79], v[15:16]
	s_waitcnt vmcnt(0)
	v_fma_f64 v[13:14], v[84:85], v[78:79], v[21:22]
	v_fma_f64 v[11:12], v[86:87], v[78:79], v[11:12]
	s_andn2_b32 exec_lo, exec_lo, s8
	s_cbranch_execnz .LBB28_33
; %bb.34:
	s_or_b32 exec_lo, exec_lo, s8
.LBB28_35:
	s_or_b32 exec_lo, exec_lo, s3
.LBB28_36:
	s_or_b32 exec_lo, exec_lo, s1
.LBB28_37:
	v_mbcnt_lo_u32_b32 v23, -1, 0
	v_xor_b32_e32 v0, 16, v23
	v_cmp_gt_i32_e32 vcc_lo, 32, v0
	v_cndmask_b32_e32 v0, v23, v0, vcc_lo
	v_lshlrev_b32_e32 v20, 2, v0
	ds_bpermute_b32 v0, v20, v17
	ds_bpermute_b32 v1, v20, v18
	;; [unrolled: 1-line block ×8, first 2 shown]
	s_waitcnt lgkmcnt(6)
	v_add_f64 v[0:1], v[17:18], v[0:1]
	s_waitcnt lgkmcnt(4)
	v_add_f64 v[4:5], v[15:16], v[4:5]
	;; [unrolled: 2-line block ×3, first 2 shown]
	v_xor_b32_e32 v13, 8, v23
	s_waitcnt lgkmcnt(0)
	v_add_f64 v[11:12], v[11:12], v[19:20]
	v_cmp_gt_i32_e32 vcc_lo, 32, v13
	v_cndmask_b32_e32 v13, v23, v13, vcc_lo
	v_lshlrev_b32_e32 v20, 2, v13
	ds_bpermute_b32 v13, v20, v0
	ds_bpermute_b32 v14, v20, v1
	;; [unrolled: 1-line block ×8, first 2 shown]
	s_waitcnt lgkmcnt(6)
	v_add_f64 v[0:1], v[0:1], v[13:14]
	v_xor_b32_e32 v13, 4, v23
	s_waitcnt lgkmcnt(4)
	v_add_f64 v[4:5], v[4:5], v[15:16]
	s_waitcnt lgkmcnt(2)
	v_add_f64 v[6:7], v[6:7], v[17:18]
	;; [unrolled: 2-line block ×3, first 2 shown]
	v_cmp_gt_i32_e32 vcc_lo, 32, v13
	v_cndmask_b32_e32 v13, v23, v13, vcc_lo
	v_lshlrev_b32_e32 v20, 2, v13
	ds_bpermute_b32 v13, v20, v0
	ds_bpermute_b32 v14, v20, v1
	;; [unrolled: 1-line block ×8, first 2 shown]
	s_waitcnt lgkmcnt(6)
	v_add_f64 v[0:1], v[0:1], v[13:14]
	s_waitcnt lgkmcnt(4)
	v_add_f64 v[4:5], v[4:5], v[15:16]
	;; [unrolled: 2-line block ×3, first 2 shown]
	v_xor_b32_e32 v6, 2, v23
	s_waitcnt lgkmcnt(0)
	v_add_f64 v[15:16], v[11:12], v[19:20]
	v_cmp_gt_i32_e32 vcc_lo, 32, v6
	v_cndmask_b32_e32 v6, v23, v6, vcc_lo
	v_lshlrev_b32_e32 v11, 2, v6
	ds_bpermute_b32 v6, v11, v0
	ds_bpermute_b32 v7, v11, v1
	ds_bpermute_b32 v17, v11, v4
	ds_bpermute_b32 v18, v11, v5
	ds_bpermute_b32 v19, v11, v13
	ds_bpermute_b32 v20, v11, v14
	ds_bpermute_b32 v21, v11, v15
	ds_bpermute_b32 v22, v11, v16
	s_waitcnt lgkmcnt(6)
	v_add_f64 v[11:12], v[0:1], v[6:7]
	s_waitcnt lgkmcnt(4)
	v_add_f64 v[6:7], v[4:5], v[17:18]
	;; [unrolled: 2-line block ×3, first 2 shown]
	v_xor_b32_e32 v13, 1, v23
	s_waitcnt lgkmcnt(0)
	v_add_f64 v[4:5], v[15:16], v[21:22]
	v_cmp_gt_i32_e32 vcc_lo, 32, v13
	v_cndmask_b32_e32 v13, v23, v13, vcc_lo
	v_cmp_eq_u32_e32 vcc_lo, 31, v31
	v_lshlrev_b32_e32 v14, 2, v13
	ds_bpermute_b32 v19, v14, v11
	ds_bpermute_b32 v20, v14, v12
	;; [unrolled: 1-line block ×8, first 2 shown]
	s_and_b32 exec_lo, exec_lo, vcc_lo
	s_cbranch_execz .LBB28_10
; %bb.38:
	s_waitcnt lgkmcnt(6)
	v_add_f64 v[11:12], v[11:12], v[19:20]
	s_waitcnt lgkmcnt(4)
	v_add_f64 v[6:7], v[6:7], v[17:18]
	;; [unrolled: 2-line block ×4, first 2 shown]
	s_load_dwordx2 s[0:1], s[4:5], 0x50
	v_lshlrev_b32_e32 v10, 2, v10
	s_mov_b32 s2, exec_lo
	v_mul_f64 v[4:5], v[2:3], v[11:12]
	v_mul_f64 v[6:7], v[2:3], v[6:7]
	;; [unrolled: 1-line block ×4, first 2 shown]
	v_cmpx_eq_f64_e32 0, v[8:9]
	s_xor_b32 s2, exec_lo, s2
	s_cbranch_execz .LBB28_40
; %bb.39:
	v_ashrrev_i32_e32 v11, 31, v10
	v_lshlrev_b64 v[8:9], 3, v[10:11]
                                        ; implicit-def: $vgpr10
	s_waitcnt lgkmcnt(0)
	v_add_co_u32 v8, vcc_lo, s0, v8
	v_add_co_ci_u32_e64 v9, null, s1, v9, vcc_lo
	global_store_dwordx4 v[8:9], v[4:7], off
	global_store_dwordx4 v[8:9], v[0:3], off offset:16
                                        ; implicit-def: $vgpr8_vgpr9
                                        ; implicit-def: $vgpr4_vgpr5
                                        ; implicit-def: $vgpr0_vgpr1
.LBB28_40:
	s_andn2_saveexec_b32 s2, s2
	s_cbranch_execz .LBB28_10
; %bb.41:
	v_ashrrev_i32_e32 v11, 31, v10
	v_lshlrev_b64 v[10:11], 3, v[10:11]
	s_waitcnt lgkmcnt(0)
	v_add_co_u32 v18, vcc_lo, s0, v10
	v_add_co_ci_u32_e64 v19, null, s1, v11, vcc_lo
	s_clause 0x1
	global_load_dwordx4 v[10:13], v[18:19], off
	global_load_dwordx4 v[14:17], v[18:19], off offset:16
	s_waitcnt vmcnt(1)
	v_fma_f64 v[4:5], v[8:9], v[10:11], v[4:5]
	v_fma_f64 v[6:7], v[8:9], v[12:13], v[6:7]
	s_waitcnt vmcnt(0)
	v_fma_f64 v[0:1], v[8:9], v[14:15], v[0:1]
	v_fma_f64 v[2:3], v[8:9], v[16:17], v[2:3]
	global_store_dwordx4 v[18:19], v[4:7], off
	global_store_dwordx4 v[18:19], v[0:3], off offset:16
	s_endpgm
	.section	.rodata,"a",@progbits
	.p2align	6, 0x0
	.amdhsa_kernel _ZN9rocsparseL18bsrxmvn_4x4_kernelILj128ELj32EdlidddEEvT3_20rocsparse_direction_NS_24const_host_device_scalarIT1_EES1_PKS1_PKT2_SA_S7_PKT4_PKT5_S5_PT6_21rocsparse_index_base_b
		.amdhsa_group_segment_fixed_size 0
		.amdhsa_private_segment_fixed_size 0
		.amdhsa_kernarg_size 96
		.amdhsa_user_sgpr_count 6
		.amdhsa_user_sgpr_private_segment_buffer 1
		.amdhsa_user_sgpr_dispatch_ptr 0
		.amdhsa_user_sgpr_queue_ptr 0
		.amdhsa_user_sgpr_kernarg_segment_ptr 1
		.amdhsa_user_sgpr_dispatch_id 0
		.amdhsa_user_sgpr_flat_scratch_init 0
		.amdhsa_user_sgpr_private_segment_size 0
		.amdhsa_wavefront_size32 1
		.amdhsa_uses_dynamic_stack 0
		.amdhsa_system_sgpr_private_segment_wavefront_offset 0
		.amdhsa_system_sgpr_workgroup_id_x 1
		.amdhsa_system_sgpr_workgroup_id_y 0
		.amdhsa_system_sgpr_workgroup_id_z 0
		.amdhsa_system_sgpr_workgroup_info 0
		.amdhsa_system_vgpr_workitem_id 0
		.amdhsa_next_free_vgpr 139
		.amdhsa_next_free_sgpr 16
		.amdhsa_reserve_vcc 1
		.amdhsa_reserve_flat_scratch 0
		.amdhsa_float_round_mode_32 0
		.amdhsa_float_round_mode_16_64 0
		.amdhsa_float_denorm_mode_32 3
		.amdhsa_float_denorm_mode_16_64 3
		.amdhsa_dx10_clamp 1
		.amdhsa_ieee_mode 1
		.amdhsa_fp16_overflow 0
		.amdhsa_workgroup_processor_mode 1
		.amdhsa_memory_ordered 1
		.amdhsa_forward_progress 1
		.amdhsa_shared_vgpr_count 0
		.amdhsa_exception_fp_ieee_invalid_op 0
		.amdhsa_exception_fp_denorm_src 0
		.amdhsa_exception_fp_ieee_div_zero 0
		.amdhsa_exception_fp_ieee_overflow 0
		.amdhsa_exception_fp_ieee_underflow 0
		.amdhsa_exception_fp_ieee_inexact 0
		.amdhsa_exception_int_div_zero 0
	.end_amdhsa_kernel
	.section	.text._ZN9rocsparseL18bsrxmvn_4x4_kernelILj128ELj32EdlidddEEvT3_20rocsparse_direction_NS_24const_host_device_scalarIT1_EES1_PKS1_PKT2_SA_S7_PKT4_PKT5_S5_PT6_21rocsparse_index_base_b,"axG",@progbits,_ZN9rocsparseL18bsrxmvn_4x4_kernelILj128ELj32EdlidddEEvT3_20rocsparse_direction_NS_24const_host_device_scalarIT1_EES1_PKS1_PKT2_SA_S7_PKT4_PKT5_S5_PT6_21rocsparse_index_base_b,comdat
.Lfunc_end28:
	.size	_ZN9rocsparseL18bsrxmvn_4x4_kernelILj128ELj32EdlidddEEvT3_20rocsparse_direction_NS_24const_host_device_scalarIT1_EES1_PKS1_PKT2_SA_S7_PKT4_PKT5_S5_PT6_21rocsparse_index_base_b, .Lfunc_end28-_ZN9rocsparseL18bsrxmvn_4x4_kernelILj128ELj32EdlidddEEvT3_20rocsparse_direction_NS_24const_host_device_scalarIT1_EES1_PKS1_PKT2_SA_S7_PKT4_PKT5_S5_PT6_21rocsparse_index_base_b
                                        ; -- End function
	.set _ZN9rocsparseL18bsrxmvn_4x4_kernelILj128ELj32EdlidddEEvT3_20rocsparse_direction_NS_24const_host_device_scalarIT1_EES1_PKS1_PKT2_SA_S7_PKT4_PKT5_S5_PT6_21rocsparse_index_base_b.num_vgpr, 139
	.set _ZN9rocsparseL18bsrxmvn_4x4_kernelILj128ELj32EdlidddEEvT3_20rocsparse_direction_NS_24const_host_device_scalarIT1_EES1_PKS1_PKT2_SA_S7_PKT4_PKT5_S5_PT6_21rocsparse_index_base_b.num_agpr, 0
	.set _ZN9rocsparseL18bsrxmvn_4x4_kernelILj128ELj32EdlidddEEvT3_20rocsparse_direction_NS_24const_host_device_scalarIT1_EES1_PKS1_PKT2_SA_S7_PKT4_PKT5_S5_PT6_21rocsparse_index_base_b.numbered_sgpr, 16
	.set _ZN9rocsparseL18bsrxmvn_4x4_kernelILj128ELj32EdlidddEEvT3_20rocsparse_direction_NS_24const_host_device_scalarIT1_EES1_PKS1_PKT2_SA_S7_PKT4_PKT5_S5_PT6_21rocsparse_index_base_b.num_named_barrier, 0
	.set _ZN9rocsparseL18bsrxmvn_4x4_kernelILj128ELj32EdlidddEEvT3_20rocsparse_direction_NS_24const_host_device_scalarIT1_EES1_PKS1_PKT2_SA_S7_PKT4_PKT5_S5_PT6_21rocsparse_index_base_b.private_seg_size, 0
	.set _ZN9rocsparseL18bsrxmvn_4x4_kernelILj128ELj32EdlidddEEvT3_20rocsparse_direction_NS_24const_host_device_scalarIT1_EES1_PKS1_PKT2_SA_S7_PKT4_PKT5_S5_PT6_21rocsparse_index_base_b.uses_vcc, 1
	.set _ZN9rocsparseL18bsrxmvn_4x4_kernelILj128ELj32EdlidddEEvT3_20rocsparse_direction_NS_24const_host_device_scalarIT1_EES1_PKS1_PKT2_SA_S7_PKT4_PKT5_S5_PT6_21rocsparse_index_base_b.uses_flat_scratch, 0
	.set _ZN9rocsparseL18bsrxmvn_4x4_kernelILj128ELj32EdlidddEEvT3_20rocsparse_direction_NS_24const_host_device_scalarIT1_EES1_PKS1_PKT2_SA_S7_PKT4_PKT5_S5_PT6_21rocsparse_index_base_b.has_dyn_sized_stack, 0
	.set _ZN9rocsparseL18bsrxmvn_4x4_kernelILj128ELj32EdlidddEEvT3_20rocsparse_direction_NS_24const_host_device_scalarIT1_EES1_PKS1_PKT2_SA_S7_PKT4_PKT5_S5_PT6_21rocsparse_index_base_b.has_recursion, 0
	.set _ZN9rocsparseL18bsrxmvn_4x4_kernelILj128ELj32EdlidddEEvT3_20rocsparse_direction_NS_24const_host_device_scalarIT1_EES1_PKS1_PKT2_SA_S7_PKT4_PKT5_S5_PT6_21rocsparse_index_base_b.has_indirect_call, 0
	.section	.AMDGPU.csdata,"",@progbits
; Kernel info:
; codeLenInByte = 5420
; TotalNumSgprs: 18
; NumVgprs: 139
; ScratchSize: 0
; MemoryBound: 1
; FloatMode: 240
; IeeeMode: 1
; LDSByteSize: 0 bytes/workgroup (compile time only)
; SGPRBlocks: 0
; VGPRBlocks: 17
; NumSGPRsForWavesPerEU: 18
; NumVGPRsForWavesPerEU: 139
; Occupancy: 7
; WaveLimiterHint : 1
; COMPUTE_PGM_RSRC2:SCRATCH_EN: 0
; COMPUTE_PGM_RSRC2:USER_SGPR: 6
; COMPUTE_PGM_RSRC2:TRAP_HANDLER: 0
; COMPUTE_PGM_RSRC2:TGID_X_EN: 1
; COMPUTE_PGM_RSRC2:TGID_Y_EN: 0
; COMPUTE_PGM_RSRC2:TGID_Z_EN: 0
; COMPUTE_PGM_RSRC2:TIDIG_COMP_CNT: 0
	.section	.text._ZN9rocsparseL18bsrxmvn_4x4_kernelILj128ELj64EdlidddEEvT3_20rocsparse_direction_NS_24const_host_device_scalarIT1_EES1_PKS1_PKT2_SA_S7_PKT4_PKT5_S5_PT6_21rocsparse_index_base_b,"axG",@progbits,_ZN9rocsparseL18bsrxmvn_4x4_kernelILj128ELj64EdlidddEEvT3_20rocsparse_direction_NS_24const_host_device_scalarIT1_EES1_PKS1_PKT2_SA_S7_PKT4_PKT5_S5_PT6_21rocsparse_index_base_b,comdat
	.globl	_ZN9rocsparseL18bsrxmvn_4x4_kernelILj128ELj64EdlidddEEvT3_20rocsparse_direction_NS_24const_host_device_scalarIT1_EES1_PKS1_PKT2_SA_S7_PKT4_PKT5_S5_PT6_21rocsparse_index_base_b ; -- Begin function _ZN9rocsparseL18bsrxmvn_4x4_kernelILj128ELj64EdlidddEEvT3_20rocsparse_direction_NS_24const_host_device_scalarIT1_EES1_PKS1_PKT2_SA_S7_PKT4_PKT5_S5_PT6_21rocsparse_index_base_b
	.p2align	8
	.type	_ZN9rocsparseL18bsrxmvn_4x4_kernelILj128ELj64EdlidddEEvT3_20rocsparse_direction_NS_24const_host_device_scalarIT1_EES1_PKS1_PKT2_SA_S7_PKT4_PKT5_S5_PT6_21rocsparse_index_base_b,@function
_ZN9rocsparseL18bsrxmvn_4x4_kernelILj128ELj64EdlidddEEvT3_20rocsparse_direction_NS_24const_host_device_scalarIT1_EES1_PKS1_PKT2_SA_S7_PKT4_PKT5_S5_PT6_21rocsparse_index_base_b: ; @_ZN9rocsparseL18bsrxmvn_4x4_kernelILj128ELj64EdlidddEEvT3_20rocsparse_direction_NS_24const_host_device_scalarIT1_EES1_PKS1_PKT2_SA_S7_PKT4_PKT5_S5_PT6_21rocsparse_index_base_b
; %bb.0:
	s_clause 0x2
	s_load_dwordx2 s[2:3], s[4:5], 0x58
	s_load_dwordx2 s[8:9], s[4:5], 0x8
	;; [unrolled: 1-line block ×3, first 2 shown]
	s_waitcnt lgkmcnt(0)
	s_bitcmp1_b32 s3, 0
	v_mov_b32_e32 v2, s8
	v_mov_b32_e32 v3, s9
	s_cselect_b32 s3, -1, 0
	s_and_b32 vcc_lo, exec_lo, s3
	s_xor_b32 s3, s3, -1
	s_cbranch_vccnz .LBB29_2
; %bb.1:
	v_mov_b32_e32 v1, s8
	v_mov_b32_e32 v2, s9
	flat_load_dwordx2 v[2:3], v[1:2]
.LBB29_2:
	v_mov_b32_e32 v9, s1
	v_mov_b32_e32 v8, s0
	s_andn2_b32 vcc_lo, exec_lo, s3
	s_cbranch_vccnz .LBB29_4
; %bb.3:
	v_mov_b32_e32 v5, s1
	v_mov_b32_e32 v4, s0
	flat_load_dwordx2 v[8:9], v[4:5]
.LBB29_4:
	s_waitcnt vmcnt(0) lgkmcnt(0)
	v_cmp_neq_f64_e32 vcc_lo, 0, v[2:3]
	v_cmp_neq_f64_e64 s0, 1.0, v[8:9]
	s_or_b32 s0, vcc_lo, s0
	s_and_saveexec_b32 s1, s0
	s_cbranch_execz .LBB29_10
; %bb.5:
	s_clause 0x1
	s_load_dwordx2 s[8:9], s[4:5], 0x18
	s_load_dwordx2 s[0:1], s[4:5], 0x0
	v_lshrrev_b32_e32 v1, 6, v0
	v_lshl_or_b32 v10, s6, 1, v1
	s_waitcnt lgkmcnt(0)
	s_cmp_lg_u64 s[8:9], 0
	s_cbranch_scc0 .LBB29_11
; %bb.6:
	s_load_dword s3, s[4:5], 0x10
	s_mov_b32 s6, 0
                                        ; implicit-def: $vgpr1
	s_waitcnt lgkmcnt(0)
	v_cmp_gt_i32_e32 vcc_lo, s3, v10
	s_mov_b32 s3, 0
	s_and_saveexec_b32 s7, vcc_lo
	s_xor_b32 s7, exec_lo, s7
	s_cbranch_execz .LBB29_8
; %bb.7:
	v_ashrrev_i32_e32 v11, 31, v10
	s_mov_b32 s3, exec_lo
	v_lshlrev_b64 v[4:5], 2, v[10:11]
	v_add_co_u32 v4, vcc_lo, s8, v4
	v_add_co_ci_u32_e64 v5, null, s9, v5, vcc_lo
	global_load_dword v1, v[4:5], off
	s_waitcnt vmcnt(0)
	v_subrev_nc_u32_e32 v1, s2, v1
.LBB29_8:
	s_or_b32 exec_lo, exec_lo, s7
	s_and_b32 vcc_lo, exec_lo, s6
	s_cbranch_vccz .LBB29_12
.LBB29_9:
	v_cmp_gt_i32_e32 vcc_lo, s0, v10
	s_andn2_b32 s0, s3, exec_lo
	s_and_b32 s3, vcc_lo, exec_lo
	s_or_b32 s3, s0, s3
	s_and_b32 exec_lo, exec_lo, s3
	s_cbranch_execnz .LBB29_13
.LBB29_10:
	s_endpgm
.LBB29_11:
	s_mov_b32 s3, 0
                                        ; implicit-def: $vgpr1
	s_cbranch_execnz .LBB29_9
.LBB29_12:
	v_mov_b32_e32 v10, v1
	s_and_b32 exec_lo, exec_lo, s3
	s_cbranch_execz .LBB29_10
.LBB29_13:
	s_load_dwordx8 s[8:15], s[4:5], 0x20
	v_ashrrev_i32_e32 v11, 31, v10
	v_and_b32_e32 v31, 63, v0
	s_load_dwordx2 s[6:7], s[4:5], 0x40
	v_lshlrev_b64 v[4:5], 3, v[10:11]
	s_waitcnt lgkmcnt(0)
	v_add_co_u32 v6, vcc_lo, s8, v4
	v_add_co_ci_u32_e64 v7, null, s9, v5, vcc_lo
	v_add_co_u32 v1, vcc_lo, s10, v4
	v_add_co_ci_u32_e64 v4, null, s11, v5, vcc_lo
	v_add_co_u32 v11, vcc_lo, v6, 8
	global_load_dwordx2 v[19:20], v[6:7], off
	v_add_co_ci_u32_e64 v5, null, 0, v7, vcc_lo
	s_cmp_eq_u64 s[10:11], 0
	s_cselect_b32 vcc_lo, -1, 0
	s_cmp_eq_u32 s1, 1
	v_cndmask_b32_e32 v5, v4, v5, vcc_lo
	v_cndmask_b32_e32 v4, v1, v11, vcc_lo
	global_load_dwordx2 v[4:5], v[4:5], off
	s_waitcnt vmcnt(1)
	v_sub_co_u32 v0, vcc_lo, v19, s2
	v_subrev_co_ci_u32_e64 v1, null, 0, v20, vcc_lo
	v_add_co_u32 v0, vcc_lo, v0, v31
	v_add_co_ci_u32_e64 v1, null, 0, v1, vcc_lo
	v_lshlrev_b64 v[6:7], 7, v[0:1]
	s_waitcnt vmcnt(0)
	v_sub_co_u32 v4, vcc_lo, v4, s2
	v_subrev_co_ci_u32_e64 v5, null, 0, v5, vcc_lo
	v_add_co_u32 v6, vcc_lo, s14, v6
	v_cmp_lt_i64_e64 s0, v[0:1], v[4:5]
	v_add_co_ci_u32_e64 v7, null, s15, v7, vcc_lo
	s_cbranch_scc1 .LBB29_25
; %bb.14:
	v_mov_b32_e32 v11, 0
	v_mov_b32_e32 v13, 0
	;; [unrolled: 1-line block ×8, first 2 shown]
	s_and_saveexec_b32 s3, s0
	s_cbranch_execz .LBB29_24
; %bb.15:
	v_or_b32_e32 v11, 64, v31
	v_not_b32_e32 v14, v19
	v_not_b32_e32 v13, v20
	v_mov_b32_e32 v22, 0
	v_mov_b32_e32 v17, 0
	v_sub_co_u32 v11, s1, v11, s2
	v_sub_co_ci_u32_e64 v12, null, 0, 0, s1
	v_sub_co_u32 v15, s1, s2, v31
	v_add_co_u32 v11, vcc_lo, v11, v19
	v_add_co_ci_u32_e64 v12, null, v12, v20, vcc_lo
	v_sub_co_ci_u32_e64 v16, null, 0, 0, s1
	v_mov_b32_e32 v24, v1
	v_cmp_gt_i64_e32 vcc_lo, v[11:12], v[4:5]
	v_mov_b32_e32 v18, 0
	v_mov_b32_e32 v23, v0
	v_cndmask_b32_e32 v12, v5, v12, vcc_lo
	v_cndmask_b32_e32 v11, v4, v11, vcc_lo
	v_add_co_u32 v14, vcc_lo, v15, v14
	v_add_co_ci_u32_e64 v13, null, v16, v13, vcc_lo
	v_mov_b32_e32 v15, 0
	v_add_co_u32 v25, vcc_lo, v14, v11
	v_add_co_ci_u32_e64 v26, null, v13, v12, vcc_lo
	v_mov_b32_e32 v13, 0
	v_and_b32_e32 v21, 0xc0, v25
	v_mov_b32_e32 v11, 0
	v_mov_b32_e32 v16, 0
	;; [unrolled: 1-line block ×4, first 2 shown]
	v_cmp_ne_u64_e32 vcc_lo, 0xc0, v[21:22]
	v_mov_b32_e32 v22, v7
	v_mov_b32_e32 v21, v6
	s_and_saveexec_b32 s8, vcc_lo
	s_cbranch_execz .LBB29_19
; %bb.16:
	v_lshrrev_b32_e32 v11, 6, v25
	v_lshlrev_b64 v[17:18], 2, v[0:1]
	v_mov_b32_e32 v22, v7
	v_mov_b32_e32 v13, 0
	;; [unrolled: 1-line block ×3, first 2 shown]
	v_add_nc_u32_e32 v23, 1, v11
	v_mov_b32_e32 v11, 0
	v_add_co_u32 v27, vcc_lo, s12, v17
	v_add_co_ci_u32_e64 v28, null, s13, v18, vcc_lo
	v_and_b32_e32 v23, 3, v23
	v_mov_b32_e32 v17, 0
	v_mov_b32_e32 v12, 0
	;; [unrolled: 1-line block ×4, first 2 shown]
	v_sub_co_u32 v29, s1, 0, v23
	v_mov_b32_e32 v24, v1
	v_mov_b32_e32 v16, 0
	v_sub_co_ci_u32_e64 v30, null, 0, 0, s1
	v_mov_b32_e32 v18, 0
	v_mov_b32_e32 v23, v0
	s_mov_b32 s9, 0
.LBB29_17:                              ; =>This Inner Loop Header: Depth=1
	global_load_dword v60, v[27:28], off
	s_clause 0x6
	global_load_dwordx4 v[32:35], v[21:22], off offset:48
	global_load_dwordx4 v[36:39], v[21:22], off offset:32
	;; [unrolled: 1-line block ×3, first 2 shown]
	global_load_dwordx4 v[44:47], v[21:22], off
	global_load_dwordx4 v[48:51], v[21:22], off offset:112
	global_load_dwordx4 v[52:55], v[21:22], off offset:96
	;; [unrolled: 1-line block ×3, first 2 shown]
	v_add_co_u32 v27, s1, 0x100, v27
	v_add_co_ci_u32_e64 v28, null, 0, v28, s1
	s_waitcnt vmcnt(7)
	v_subrev_nc_u32_e32 v60, s2, v60
	v_lshlrev_b32_e32 v60, 2, v60
	v_ashrrev_i32_e32 v61, 31, v60
	v_lshlrev_b64 v[60:61], 3, v[60:61]
	v_add_co_u32 v68, vcc_lo, s6, v60
	v_add_co_ci_u32_e64 v69, null, s7, v61, vcc_lo
	global_load_dwordx4 v[60:63], v[21:22], off offset:64
	s_clause 0x1
	global_load_dwordx4 v[64:67], v[68:69], off
	global_load_dwordx4 v[68:71], v[68:69], off offset:16
	v_add_co_u32 v21, vcc_lo, 0x2000, v21
	v_add_co_ci_u32_e64 v22, null, 0, v22, vcc_lo
	v_add_co_u32 v29, vcc_lo, v29, 1
	v_add_co_ci_u32_e64 v30, null, 0, v30, vcc_lo
	;; [unrolled: 2-line block ×3, first 2 shown]
	v_cmp_eq_u64_e32 vcc_lo, 0, v[29:30]
	s_or_b32 s9, vcc_lo, s9
	s_waitcnt vmcnt(1)
	v_fma_f64 v[17:18], v[44:45], v[64:65], v[17:18]
	v_fma_f64 v[15:16], v[36:37], v[64:65], v[15:16]
	;; [unrolled: 1-line block ×8, first 2 shown]
	s_waitcnt vmcnt(0)
	v_fma_f64 v[17:18], v[40:41], v[68:69], v[17:18]
	v_fma_f64 v[15:16], v[32:33], v[68:69], v[15:16]
	;; [unrolled: 1-line block ×8, first 2 shown]
	s_andn2_b32 exec_lo, exec_lo, s9
	s_cbranch_execnz .LBB29_17
; %bb.18:
	s_or_b32 exec_lo, exec_lo, s9
.LBB29_19:
	s_or_b32 exec_lo, exec_lo, s8
	s_mov_b32 s8, exec_lo
	v_cmpx_lt_u64_e32 0xbf, v[25:26]
	s_cbranch_execz .LBB29_23
; %bb.20:
	v_lshlrev_b64 v[25:26], 2, v[23:24]
	s_mov_b32 s9, 0
	v_add_co_u32 v25, vcc_lo, s12, v25
	v_add_co_ci_u32_e64 v26, null, s13, v26, vcc_lo
	v_add_co_u32 v25, vcc_lo, 0x200, v25
	v_add_co_ci_u32_e64 v26, null, 0, v26, vcc_lo
.LBB29_21:                              ; =>This Inner Loop Header: Depth=1
	global_load_dword v120, v[25:26], off offset:-512
	s_clause 0x7
	global_load_dwordx4 v[27:30], v[21:22], off offset:48
	global_load_dwordx4 v[32:35], v[21:22], off offset:32
	;; [unrolled: 1-line block ×3, first 2 shown]
	global_load_dwordx4 v[40:43], v[21:22], off
	global_load_dwordx4 v[44:47], v[21:22], off offset:112
	global_load_dwordx4 v[48:51], v[21:22], off offset:96
	;; [unrolled: 1-line block ×4, first 2 shown]
	s_clause 0x2
	global_load_dword v134, v[25:26], off offset:-256
	global_load_dword v135, v[25:26], off
	global_load_dword v138, v[25:26], off offset:256
	v_add_co_u32 v88, vcc_lo, 0x2000, v21
	v_add_co_ci_u32_e64 v89, null, 0, v22, vcc_lo
	v_add_co_u32 v128, vcc_lo, 0x4000, v21
	v_add_co_ci_u32_e64 v129, null, 0, v22, vcc_lo
	;; [unrolled: 2-line block ×3, first 2 shown]
	s_clause 0xe
	global_load_dwordx4 v[60:63], v[88:89], off offset:48
	global_load_dwordx4 v[64:67], v[88:89], off offset:32
	global_load_dwordx4 v[68:71], v[88:89], off
	global_load_dwordx4 v[72:75], v[88:89], off offset:16
	global_load_dwordx4 v[76:79], v[88:89], off offset:112
	;; [unrolled: 1-line block ×7, first 2 shown]
	global_load_dwordx4 v[100:103], v[128:129], off
	global_load_dwordx4 v[104:107], v[128:129], off offset:16
	global_load_dwordx4 v[108:111], v[128:129], off offset:112
	;; [unrolled: 1-line block ×4, first 2 shown]
	v_add_co_u32 v21, s1, 0x8000, v21
	v_add_co_ci_u32_e64 v22, null, 0, v22, s1
	s_waitcnt vmcnt(26)
	v_subrev_nc_u32_e32 v120, s2, v120
	v_lshlrev_b32_e32 v120, 2, v120
	v_ashrrev_i32_e32 v121, 31, v120
	v_lshlrev_b64 v[120:121], 3, v[120:121]
	v_add_co_u32 v124, vcc_lo, s6, v120
	v_add_co_ci_u32_e64 v125, null, s7, v121, vcc_lo
	s_clause 0x1
	global_load_dwordx4 v[120:123], v[124:125], off
	global_load_dwordx4 v[124:127], v[124:125], off offset:16
	s_waitcnt vmcnt(1)
	v_fma_f64 v[13:14], v[56:57], v[120:121], v[13:14]
	v_fma_f64 v[17:18], v[40:41], v[120:121], v[17:18]
	;; [unrolled: 1-line block ×5, first 2 shown]
	v_subrev_nc_u32_e32 v13, s2, v134
	v_fma_f64 v[132:133], v[42:43], v[122:123], v[17:18]
	global_load_dwordx4 v[40:43], v[128:129], off offset:64
	v_fma_f64 v[128:129], v[34:35], v[122:123], v[15:16]
	s_clause 0x1
	global_load_dwordx4 v[15:18], v[130:131], off
	global_load_dwordx4 v[32:35], v[130:131], off offset:48
	v_lshlrev_b32_e32 v13, 2, v13
	v_fma_f64 v[120:121], v[50:51], v[122:123], v[11:12]
	v_subrev_nc_u32_e32 v122, s2, v135
	v_ashrrev_i32_e32 v14, 31, v13
	v_lshlrev_b32_e32 v122, 2, v122
	v_lshlrev_b64 v[13:14], 3, v[13:14]
	v_ashrrev_i32_e32 v123, 31, v122
	s_waitcnt vmcnt(3)
	v_fma_f64 v[52:53], v[52:53], v[124:125], v[56:57]
	v_add_co_u32 v58, vcc_lo, s6, v13
	v_add_co_ci_u32_e64 v59, null, s7, v14, vcc_lo
	v_fma_f64 v[36:37], v[36:37], v[124:125], v[132:133]
	global_load_dwordx4 v[11:14], v[58:59], off
	global_load_dwordx4 v[48:51], v[130:131], off offset:32
	v_fma_f64 v[27:28], v[27:28], v[124:125], v[128:129]
	v_lshlrev_b64 v[122:123], 3, v[122:123]
	v_subrev_nc_u32_e32 v56, s2, v138
	v_fma_f64 v[44:45], v[44:45], v[124:125], v[120:121]
	v_lshlrev_b32_e32 v120, 2, v56
	v_ashrrev_i32_e32 v121, 31, v120
	v_fma_f64 v[134:135], v[54:55], v[126:127], v[52:53]
	global_load_dwordx4 v[52:55], v[130:131], off offset:112
	v_lshlrev_b64 v[120:121], 3, v[120:121]
	v_fma_f64 v[132:133], v[38:39], v[126:127], v[36:37]
	global_load_dwordx4 v[36:39], v[58:59], off offset:16
	v_add_co_u32 v58, vcc_lo, s6, v122
	v_add_co_ci_u32_e64 v59, null, s7, v123, vcc_lo
	v_fma_f64 v[128:129], v[29:30], v[126:127], v[27:28]
	v_add_co_u32 v124, vcc_lo, s6, v120
	global_load_dwordx4 v[27:30], v[58:59], off
	v_add_co_ci_u32_e64 v125, null, s7, v121, vcc_lo
	v_fma_f64 v[136:137], v[46:47], v[126:127], v[44:45]
	s_clause 0x1
	global_load_dwordx4 v[44:47], v[130:131], off offset:96
	global_load_dwordx4 v[120:123], v[130:131], off offset:64
	v_add_co_u32 v23, vcc_lo, 0x100, v23
	v_add_co_ci_u32_e64 v24, null, 0, v24, vcc_lo
	v_add_co_u32 v25, vcc_lo, 0x400, v25
	v_add_co_ci_u32_e64 v26, null, 0, v26, vcc_lo
	v_cmp_ge_i64_e32 vcc_lo, v[23:24], v[4:5]
	s_or_b32 s9, vcc_lo, s9
	s_waitcnt vmcnt(6)
	v_fma_f64 v[68:69], v[68:69], v[11:12], v[132:133]
	v_fma_f64 v[64:65], v[64:65], v[11:12], v[128:129]
	v_fma_f64 v[88:89], v[88:89], v[11:12], v[134:135]
	v_fma_f64 v[11:12], v[80:81], v[11:12], v[136:137]
	v_fma_f64 v[132:133], v[70:71], v[13:14], v[68:69]
	s_clause 0x1
	global_load_dwordx4 v[68:71], v[124:125], off
	global_load_dwordx4 v[56:59], v[58:59], off offset:16
	v_fma_f64 v[128:129], v[66:67], v[13:14], v[64:65]
	global_load_dwordx4 v[64:67], v[130:131], off offset:80
	v_fma_f64 v[134:135], v[90:91], v[13:14], v[88:89]
	global_load_dwordx4 v[88:91], v[130:131], off offset:16
	global_load_dwordx4 v[124:127], v[124:125], off offset:16
	v_fma_f64 v[11:12], v[82:83], v[13:14], v[11:12]
	s_waitcnt vmcnt(8)
	v_fma_f64 v[13:14], v[72:73], v[36:37], v[132:133]
	v_fma_f64 v[60:61], v[60:61], v[36:37], v[128:129]
	v_fma_f64 v[72:73], v[84:85], v[36:37], v[134:135]
	v_fma_f64 v[11:12], v[76:77], v[36:37], v[11:12]
	v_fma_f64 v[13:14], v[74:75], v[38:39], v[13:14]
	v_fma_f64 v[36:37], v[62:63], v[38:39], v[60:61]
	v_fma_f64 v[60:61], v[86:87], v[38:39], v[72:73]
	v_fma_f64 v[11:12], v[78:79], v[38:39], v[11:12]
	s_waitcnt vmcnt(7)
	v_fma_f64 v[13:14], v[100:101], v[27:28], v[13:14]
	v_fma_f64 v[36:37], v[96:97], v[27:28], v[36:37]
	v_fma_f64 v[38:39], v[40:41], v[27:28], v[60:61]
	v_fma_f64 v[11:12], v[112:113], v[27:28], v[11:12]
	v_fma_f64 v[13:14], v[102:103], v[29:30], v[13:14]
	v_fma_f64 v[27:28], v[98:99], v[29:30], v[36:37]
	v_fma_f64 v[36:37], v[42:43], v[29:30], v[38:39]
	v_fma_f64 v[11:12], v[114:115], v[29:30], v[11:12]
	s_waitcnt vmcnt(3)
	v_fma_f64 v[13:14], v[104:105], v[56:57], v[13:14]
	v_fma_f64 v[27:28], v[92:93], v[56:57], v[27:28]
	v_fma_f64 v[29:30], v[116:117], v[56:57], v[36:37]
	v_fma_f64 v[11:12], v[108:109], v[56:57], v[11:12]
	v_fma_f64 v[13:14], v[106:107], v[58:59], v[13:14]
	v_fma_f64 v[27:28], v[94:95], v[58:59], v[27:28]
	v_fma_f64 v[29:30], v[118:119], v[58:59], v[29:30]
	v_fma_f64 v[11:12], v[110:111], v[58:59], v[11:12]
	v_fma_f64 v[13:14], v[15:16], v[68:69], v[13:14]
	;; [unrolled: 1-line block ×9, first 2 shown]
	s_waitcnt vmcnt(0)
	v_fma_f64 v[13:14], v[88:89], v[124:125], v[13:14]
	v_fma_f64 v[15:16], v[32:33], v[124:125], v[15:16]
	;; [unrolled: 1-line block ×8, first 2 shown]
	s_andn2_b32 exec_lo, exec_lo, s9
	s_cbranch_execnz .LBB29_21
; %bb.22:
	s_or_b32 exec_lo, exec_lo, s9
.LBB29_23:
	s_or_b32 exec_lo, exec_lo, s8
.LBB29_24:
	s_or_b32 exec_lo, exec_lo, s3
	s_cbranch_execz .LBB29_26
	s_branch .LBB29_37
.LBB29_25:
                                        ; implicit-def: $vgpr11_vgpr12
                                        ; implicit-def: $vgpr13_vgpr14
                                        ; implicit-def: $vgpr15_vgpr16
                                        ; implicit-def: $vgpr17_vgpr18
.LBB29_26:
	v_mov_b32_e32 v11, 0
	v_mov_b32_e32 v13, 0
	v_mov_b32_e32 v15, 0
	v_mov_b32_e32 v17, 0
	v_mov_b32_e32 v12, 0
	v_mov_b32_e32 v14, 0
	v_mov_b32_e32 v16, 0
	v_mov_b32_e32 v18, 0
	s_and_saveexec_b32 s1, s0
	s_cbranch_execz .LBB29_36
; %bb.27:
	v_or_b32_e32 v11, 64, v31
	v_not_b32_e32 v14, v19
	v_not_b32_e32 v13, v20
	v_sub_co_u32 v11, s0, v11, s2
	v_sub_co_ci_u32_e64 v12, null, 0, 0, s0
	v_sub_co_u32 v15, s0, s2, v31
	v_add_co_u32 v11, vcc_lo, v11, v19
	v_add_co_ci_u32_e64 v12, null, v12, v20, vcc_lo
	v_sub_co_ci_u32_e64 v16, null, 0, 0, s0
	v_cmp_gt_i64_e32 vcc_lo, v[11:12], v[4:5]
	v_cndmask_b32_e32 v17, v5, v12, vcc_lo
	v_cndmask_b32_e32 v11, v4, v11, vcc_lo
	v_add_co_u32 v12, vcc_lo, v15, v14
	v_add_co_ci_u32_e64 v13, null, v16, v13, vcc_lo
	v_mov_b32_e32 v15, 0
	v_add_co_u32 v19, vcc_lo, v12, v11
	v_mov_b32_e32 v12, 0
	v_add_co_ci_u32_e64 v20, null, v13, v17, vcc_lo
	v_and_b32_e32 v11, 0xc0, v19
	v_mov_b32_e32 v17, 0
	v_mov_b32_e32 v13, 0
	;; [unrolled: 1-line block ×4, first 2 shown]
	v_cmp_ne_u64_e32 vcc_lo, 0xc0, v[11:12]
	v_mov_b32_e32 v11, 0
	v_mov_b32_e32 v14, 0
	;; [unrolled: 1-line block ×3, first 2 shown]
	s_and_saveexec_b32 s3, vcc_lo
	s_cbranch_execz .LBB29_31
; %bb.28:
	v_lshrrev_b32_e32 v11, 6, v19
	v_lshlrev_b64 v[21:22], 2, v[0:1]
	v_mov_b32_e32 v13, 0
	v_mov_b32_e32 v15, 0
	;; [unrolled: 1-line block ×3, first 2 shown]
	v_add_nc_u32_e32 v23, 1, v11
	v_mov_b32_e32 v11, 0
	v_add_co_u32 v21, vcc_lo, s12, v21
	v_mov_b32_e32 v12, 0
	v_and_b32_e32 v23, 3, v23
	v_mov_b32_e32 v14, 0
	v_mov_b32_e32 v16, 0
	;; [unrolled: 1-line block ×3, first 2 shown]
	v_add_co_ci_u32_e64 v22, null, s13, v22, vcc_lo
	v_sub_co_u32 v23, s0, 0, v23
	v_sub_co_ci_u32_e64 v24, null, 0, 0, s0
	s_mov_b32 s8, 0
.LBB29_29:                              ; =>This Inner Loop Header: Depth=1
	global_load_dword v29, v[21:22], off
	global_load_dwordx4 v[25:28], v[6:7], off offset:16
	v_add_co_u32 v21, s0, 0x100, v21
	v_add_co_ci_u32_e64 v22, null, 0, v22, s0
	s_waitcnt vmcnt(1)
	v_subrev_nc_u32_e32 v29, s2, v29
	v_lshlrev_b32_e32 v29, 2, v29
	v_ashrrev_i32_e32 v30, 31, v29
	v_lshlrev_b64 v[29:30], 3, v[29:30]
	v_add_co_u32 v29, vcc_lo, s6, v29
	v_add_co_ci_u32_e64 v30, null, s7, v30, vcc_lo
	global_load_dwordx4 v[32:35], v[6:7], off
	s_clause 0x1
	global_load_dwordx4 v[36:39], v[29:30], off
	global_load_dwordx4 v[40:43], v[29:30], off offset:16
	s_clause 0x5
	global_load_dwordx4 v[44:47], v[6:7], off offset:32
	global_load_dwordx4 v[48:51], v[6:7], off offset:48
	;; [unrolled: 1-line block ×6, first 2 shown]
	v_add_co_u32 v6, vcc_lo, 0x2000, v6
	v_add_co_ci_u32_e64 v7, null, 0, v7, vcc_lo
	v_add_co_u32 v23, vcc_lo, v23, 1
	v_add_co_ci_u32_e64 v24, null, 0, v24, vcc_lo
	;; [unrolled: 2-line block ×3, first 2 shown]
	v_cmp_eq_u64_e32 vcc_lo, 0, v[23:24]
	s_or_b32 s8, vcc_lo, s8
	s_waitcnt vmcnt(7)
	v_fma_f64 v[17:18], v[32:33], v[36:37], v[17:18]
	v_fma_f64 v[15:16], v[34:35], v[36:37], v[15:16]
	;; [unrolled: 1-line block ×4, first 2 shown]
	s_waitcnt vmcnt(5)
	v_fma_f64 v[17:18], v[44:45], v[38:39], v[17:18]
	v_fma_f64 v[15:16], v[46:47], v[38:39], v[15:16]
	s_waitcnt vmcnt(4)
	v_fma_f64 v[13:14], v[48:49], v[38:39], v[13:14]
	v_fma_f64 v[11:12], v[50:51], v[38:39], v[11:12]
	;; [unrolled: 3-line block ×6, first 2 shown]
	s_andn2_b32 exec_lo, exec_lo, s8
	s_cbranch_execnz .LBB29_29
; %bb.30:
	s_or_b32 exec_lo, exec_lo, s8
.LBB29_31:
	s_or_b32 exec_lo, exec_lo, s3
	s_mov_b32 s3, exec_lo
	v_cmpx_lt_u64_e32 0xbf, v[19:20]
	s_cbranch_execz .LBB29_35
; %bb.32:
	v_lshlrev_b64 v[19:20], 2, v[0:1]
	s_mov_b32 s8, 0
	v_add_co_u32 v19, vcc_lo, s12, v19
	v_add_co_ci_u32_e64 v20, null, s13, v20, vcc_lo
	v_add_co_u32 v19, vcc_lo, 0x200, v19
	v_add_co_ci_u32_e64 v20, null, 0, v20, vcc_lo
.LBB29_33:                              ; =>This Inner Loop Header: Depth=1
	s_clause 0x1
	global_load_dword v80, v[19:20], off offset:-512
	global_load_dword v81, v[19:20], off offset:-256
	s_clause 0x7
	global_load_dwordx4 v[21:24], v[6:7], off offset:48
	global_load_dwordx4 v[25:28], v[6:7], off offset:32
	;; [unrolled: 1-line block ×3, first 2 shown]
	global_load_dwordx4 v[36:39], v[6:7], off
	global_load_dwordx4 v[40:43], v[6:7], off offset:112
	global_load_dwordx4 v[44:47], v[6:7], off offset:96
	;; [unrolled: 1-line block ×4, first 2 shown]
	v_add_co_u32 v29, vcc_lo, 0x2000, v6
	v_add_co_ci_u32_e64 v30, null, 0, v7, vcc_lo
	s_clause 0x1
	global_load_dword v114, v[19:20], off
	global_load_dword v116, v[19:20], off offset:256
	s_clause 0x5
	global_load_dwordx4 v[56:59], v[29:30], off offset:48
	global_load_dwordx4 v[60:63], v[29:30], off offset:32
	global_load_dwordx4 v[64:67], v[29:30], off
	global_load_dwordx4 v[68:71], v[29:30], off offset:16
	global_load_dwordx4 v[72:75], v[29:30], off offset:80
	global_load_dwordx4 v[76:79], v[29:30], off offset:64
	v_add_co_u32 v112, vcc_lo, 0x4000, v6
	v_add_co_ci_u32_e64 v113, null, 0, v7, vcc_lo
	s_waitcnt vmcnt(17)
	v_subrev_nc_u32_e32 v80, s2, v80
	s_waitcnt vmcnt(16)
	v_subrev_nc_u32_e32 v81, s2, v81
	v_lshlrev_b32_e32 v80, 2, v80
	v_lshlrev_b32_e32 v82, 2, v81
	v_ashrrev_i32_e32 v81, 31, v80
	v_ashrrev_i32_e32 v83, 31, v82
	v_lshlrev_b64 v[80:81], 3, v[80:81]
	v_lshlrev_b64 v[82:83], 3, v[82:83]
	v_add_co_u32 v84, s0, s6, v80
	v_add_co_ci_u32_e64 v85, null, s7, v81, s0
	v_add_co_u32 v92, s0, s6, v82
	v_add_co_ci_u32_e64 v93, null, s7, v83, s0
	s_clause 0x3
	global_load_dwordx4 v[80:83], v[84:85], off
	global_load_dwordx4 v[84:87], v[84:85], off offset:16
	global_load_dwordx4 v[88:91], v[92:93], off
	global_load_dwordx4 v[92:95], v[92:93], off offset:16
	s_clause 0x3
	global_load_dwordx4 v[96:99], v[29:30], off offset:112
	global_load_dwordx4 v[100:103], v[29:30], off offset:96
	global_load_dwordx4 v[104:107], v[112:113], off
	global_load_dwordx4 v[108:111], v[112:113], off offset:16
	s_waitcnt vmcnt(15)
	v_subrev_nc_u32_e32 v29, s2, v114
	v_lshlrev_b32_e32 v29, 2, v29
	v_ashrrev_i32_e32 v30, 31, v29
	v_lshlrev_b64 v[29:30], 3, v[29:30]
	v_add_co_u32 v29, vcc_lo, s6, v29
	v_add_co_ci_u32_e64 v30, null, s7, v30, vcc_lo
	s_waitcnt vmcnt(7)
	v_fma_f64 v[17:18], v[36:37], v[80:81], v[17:18]
	v_fma_f64 v[15:16], v[38:39], v[80:81], v[15:16]
	;; [unrolled: 1-line block ×4, first 2 shown]
	global_load_dwordx4 v[11:14], v[29:30], off
	v_fma_f64 v[36:37], v[25:26], v[82:83], v[17:18]
	v_fma_f64 v[38:39], v[27:28], v[82:83], v[15:16]
	global_load_dwordx4 v[15:18], v[112:113], off offset:32
	v_fma_f64 v[80:81], v[21:22], v[82:83], v[32:33]
	v_fma_f64 v[82:83], v[23:24], v[82:83], v[34:35]
	s_clause 0x1
	global_load_dwordx4 v[21:24], v[112:113], off offset:48
	global_load_dwordx4 v[25:28], v[112:113], off offset:80
	s_waitcnt vmcnt(10)
	v_fma_f64 v[52:53], v[52:53], v[84:85], v[36:37]
	v_fma_f64 v[54:55], v[54:55], v[84:85], v[38:39]
	global_load_dwordx4 v[32:35], v[112:113], off offset:64
	global_load_dwordx4 v[36:39], v[29:30], off offset:16
	v_fma_f64 v[29:30], v[48:49], v[84:85], v[80:81]
	v_fma_f64 v[80:81], v[50:51], v[84:85], v[82:83]
	v_add_co_u32 v84, vcc_lo, 0x6000, v6
	v_add_co_ci_u32_e64 v85, null, 0, v7, vcc_lo
	v_add_co_u32 v6, s0, 0x8000, v6
	v_add_co_ci_u32_e64 v7, null, 0, v7, s0
	v_fma_f64 v[82:83], v[44:45], v[86:87], v[52:53]
	v_subrev_nc_u32_e32 v52, s2, v116
	v_fma_f64 v[114:115], v[46:47], v[86:87], v[54:55]
	s_clause 0x1
	global_load_dwordx4 v[44:47], v[112:113], off offset:112
	global_load_dwordx4 v[48:51], v[112:113], off offset:96
	v_fma_f64 v[29:30], v[40:41], v[86:87], v[29:30]
	v_fma_f64 v[80:81], v[42:43], v[86:87], v[80:81]
	v_lshlrev_b32_e32 v52, 2, v52
	global_load_dwordx4 v[40:43], v[84:85], off
	v_ashrrev_i32_e32 v53, 31, v52
	v_lshlrev_b64 v[52:53], 3, v[52:53]
	v_add_co_u32 v86, vcc_lo, s6, v52
	v_add_co_ci_u32_e64 v87, null, s7, v53, vcc_lo
	global_load_dwordx4 v[52:55], v[84:85], off offset:16
	s_waitcnt vmcnt(15)
	v_fma_f64 v[82:83], v[64:65], v[88:89], v[82:83]
	v_fma_f64 v[112:113], v[66:67], v[88:89], v[114:115]
	global_load_dwordx4 v[64:67], v[86:87], off
	v_fma_f64 v[29:30], v[68:69], v[88:89], v[29:30]
	v_fma_f64 v[80:81], v[70:71], v[88:89], v[80:81]
	global_load_dwordx4 v[68:71], v[84:85], off offset:32
	v_add_co_u32 v0, vcc_lo, 0x100, v0
	v_add_co_ci_u32_e64 v1, null, 0, v1, vcc_lo
	v_add_co_u32 v19, vcc_lo, 0x400, v19
	v_add_co_ci_u32_e64 v20, null, 0, v20, vcc_lo
	v_cmp_ge_i64_e32 vcc_lo, v[0:1], v[4:5]
	s_or_b32 s8, vcc_lo, s8
	v_fma_f64 v[88:89], v[60:61], v[90:91], v[82:83]
	v_fma_f64 v[112:113], v[62:63], v[90:91], v[112:113]
	global_load_dwordx4 v[60:63], v[84:85], off offset:48
	v_fma_f64 v[29:30], v[56:57], v[90:91], v[29:30]
	v_fma_f64 v[90:91], v[58:59], v[90:91], v[80:81]
	s_clause 0x1
	global_load_dwordx4 v[56:59], v[84:85], off offset:64
	global_load_dwordx4 v[80:83], v[84:85], off offset:80
	s_waitcnt vmcnt(19)
	v_fma_f64 v[88:89], v[76:77], v[92:93], v[88:89]
	v_fma_f64 v[112:113], v[78:79], v[92:93], v[112:113]
	global_load_dwordx4 v[76:79], v[86:87], off offset:16
	v_fma_f64 v[29:30], v[72:73], v[92:93], v[29:30]
	v_fma_f64 v[90:91], v[74:75], v[92:93], v[90:91]
	s_clause 0x1
	global_load_dwordx4 v[72:75], v[84:85], off offset:96
	global_load_dwordx4 v[84:87], v[84:85], off offset:112
	s_waitcnt vmcnt(20)
	v_fma_f64 v[88:89], v[100:101], v[94:95], v[88:89]
	v_fma_f64 v[92:93], v[102:103], v[94:95], v[112:113]
	;; [unrolled: 1-line block ×4, first 2 shown]
	s_waitcnt vmcnt(17)
	v_fma_f64 v[88:89], v[104:105], v[11:12], v[88:89]
	v_fma_f64 v[92:93], v[106:107], v[11:12], v[92:93]
	;; [unrolled: 1-line block ×4, first 2 shown]
	s_waitcnt vmcnt(16)
	v_fma_f64 v[15:16], v[15:16], v[13:14], v[88:89]
	v_fma_f64 v[17:18], v[17:18], v[13:14], v[92:93]
	s_waitcnt vmcnt(15)
	v_fma_f64 v[21:22], v[21:22], v[13:14], v[29:30]
	v_fma_f64 v[11:12], v[23:24], v[13:14], v[11:12]
	;; [unrolled: 3-line block ×3, first 2 shown]
	v_fma_f64 v[17:18], v[25:26], v[36:37], v[21:22]
	v_fma_f64 v[11:12], v[27:28], v[36:37], v[11:12]
	s_waitcnt vmcnt(10)
	v_fma_f64 v[13:14], v[48:49], v[38:39], v[13:14]
	v_fma_f64 v[15:16], v[50:51], v[38:39], v[15:16]
	v_fma_f64 v[17:18], v[44:45], v[38:39], v[17:18]
	v_fma_f64 v[11:12], v[46:47], v[38:39], v[11:12]
	s_waitcnt vmcnt(7)
	v_fma_f64 v[13:14], v[40:41], v[64:65], v[13:14]
	v_fma_f64 v[15:16], v[42:43], v[64:65], v[15:16]
	;; [unrolled: 5-line block ×3, first 2 shown]
	s_waitcnt vmcnt(5)
	v_fma_f64 v[17:18], v[60:61], v[66:67], v[17:18]
	v_fma_f64 v[11:12], v[62:63], v[66:67], v[11:12]
	s_waitcnt vmcnt(2)
	v_fma_f64 v[13:14], v[56:57], v[76:77], v[13:14]
	v_fma_f64 v[15:16], v[58:59], v[76:77], v[15:16]
	;; [unrolled: 1-line block ×4, first 2 shown]
	s_waitcnt vmcnt(1)
	v_fma_f64 v[17:18], v[72:73], v[78:79], v[13:14]
	v_fma_f64 v[15:16], v[74:75], v[78:79], v[15:16]
	s_waitcnt vmcnt(0)
	v_fma_f64 v[13:14], v[84:85], v[78:79], v[21:22]
	v_fma_f64 v[11:12], v[86:87], v[78:79], v[11:12]
	s_andn2_b32 exec_lo, exec_lo, s8
	s_cbranch_execnz .LBB29_33
; %bb.34:
	s_or_b32 exec_lo, exec_lo, s8
.LBB29_35:
	s_or_b32 exec_lo, exec_lo, s3
.LBB29_36:
	s_or_b32 exec_lo, exec_lo, s1
.LBB29_37:
	v_mbcnt_lo_u32_b32 v23, -1, 0
	v_or_b32_e32 v0, 32, v23
	v_cmp_gt_i32_e32 vcc_lo, 32, v0
	v_cndmask_b32_e32 v0, v23, v0, vcc_lo
	v_lshlrev_b32_e32 v20, 2, v0
	ds_bpermute_b32 v0, v20, v17
	ds_bpermute_b32 v1, v20, v18
	;; [unrolled: 1-line block ×8, first 2 shown]
	s_waitcnt lgkmcnt(6)
	v_add_f64 v[0:1], v[17:18], v[0:1]
	s_waitcnt lgkmcnt(4)
	v_add_f64 v[4:5], v[15:16], v[4:5]
	;; [unrolled: 2-line block ×3, first 2 shown]
	v_xor_b32_e32 v13, 16, v23
	s_waitcnt lgkmcnt(0)
	v_add_f64 v[11:12], v[11:12], v[19:20]
	v_cmp_gt_i32_e32 vcc_lo, 32, v13
	v_cndmask_b32_e32 v13, v23, v13, vcc_lo
	v_lshlrev_b32_e32 v20, 2, v13
	ds_bpermute_b32 v13, v20, v0
	ds_bpermute_b32 v14, v20, v1
	;; [unrolled: 1-line block ×8, first 2 shown]
	s_waitcnt lgkmcnt(6)
	v_add_f64 v[0:1], v[0:1], v[13:14]
	v_xor_b32_e32 v13, 8, v23
	s_waitcnt lgkmcnt(4)
	v_add_f64 v[4:5], v[4:5], v[15:16]
	s_waitcnt lgkmcnt(2)
	v_add_f64 v[6:7], v[6:7], v[17:18]
	;; [unrolled: 2-line block ×3, first 2 shown]
	v_cmp_gt_i32_e32 vcc_lo, 32, v13
	v_cndmask_b32_e32 v13, v23, v13, vcc_lo
	v_lshlrev_b32_e32 v20, 2, v13
	ds_bpermute_b32 v13, v20, v0
	ds_bpermute_b32 v14, v20, v1
	;; [unrolled: 1-line block ×8, first 2 shown]
	s_waitcnt lgkmcnt(6)
	v_add_f64 v[0:1], v[0:1], v[13:14]
	v_xor_b32_e32 v13, 4, v23
	s_waitcnt lgkmcnt(4)
	v_add_f64 v[4:5], v[4:5], v[15:16]
	s_waitcnt lgkmcnt(2)
	v_add_f64 v[6:7], v[6:7], v[17:18]
	;; [unrolled: 2-line block ×3, first 2 shown]
	v_cmp_gt_i32_e32 vcc_lo, 32, v13
	v_cndmask_b32_e32 v13, v23, v13, vcc_lo
	v_lshlrev_b32_e32 v20, 2, v13
	ds_bpermute_b32 v13, v20, v0
	ds_bpermute_b32 v14, v20, v1
	;; [unrolled: 1-line block ×8, first 2 shown]
	s_waitcnt lgkmcnt(6)
	v_add_f64 v[0:1], v[0:1], v[13:14]
	s_waitcnt lgkmcnt(4)
	v_add_f64 v[4:5], v[4:5], v[15:16]
	;; [unrolled: 2-line block ×3, first 2 shown]
	v_xor_b32_e32 v6, 2, v23
	s_waitcnt lgkmcnt(0)
	v_add_f64 v[15:16], v[11:12], v[19:20]
	v_cmp_gt_i32_e32 vcc_lo, 32, v6
	v_cndmask_b32_e32 v6, v23, v6, vcc_lo
	v_lshlrev_b32_e32 v11, 2, v6
	ds_bpermute_b32 v6, v11, v0
	ds_bpermute_b32 v7, v11, v1
	;; [unrolled: 1-line block ×8, first 2 shown]
	s_waitcnt lgkmcnt(6)
	v_add_f64 v[11:12], v[0:1], v[6:7]
	s_waitcnt lgkmcnt(4)
	v_add_f64 v[6:7], v[4:5], v[17:18]
	;; [unrolled: 2-line block ×3, first 2 shown]
	v_xor_b32_e32 v13, 1, v23
	s_waitcnt lgkmcnt(0)
	v_add_f64 v[4:5], v[15:16], v[21:22]
	v_cmp_gt_i32_e32 vcc_lo, 32, v13
	v_cndmask_b32_e32 v13, v23, v13, vcc_lo
	v_cmp_eq_u32_e32 vcc_lo, 63, v31
	v_lshlrev_b32_e32 v14, 2, v13
	ds_bpermute_b32 v19, v14, v11
	ds_bpermute_b32 v20, v14, v12
	;; [unrolled: 1-line block ×8, first 2 shown]
	s_and_b32 exec_lo, exec_lo, vcc_lo
	s_cbranch_execz .LBB29_10
; %bb.38:
	s_waitcnt lgkmcnt(6)
	v_add_f64 v[11:12], v[11:12], v[19:20]
	s_waitcnt lgkmcnt(4)
	v_add_f64 v[6:7], v[6:7], v[17:18]
	;; [unrolled: 2-line block ×4, first 2 shown]
	s_load_dwordx2 s[0:1], s[4:5], 0x50
	v_lshlrev_b32_e32 v10, 2, v10
	s_mov_b32 s2, exec_lo
	v_mul_f64 v[4:5], v[2:3], v[11:12]
	v_mul_f64 v[6:7], v[2:3], v[6:7]
	;; [unrolled: 1-line block ×4, first 2 shown]
	v_cmpx_eq_f64_e32 0, v[8:9]
	s_xor_b32 s2, exec_lo, s2
	s_cbranch_execz .LBB29_40
; %bb.39:
	v_ashrrev_i32_e32 v11, 31, v10
	v_lshlrev_b64 v[8:9], 3, v[10:11]
                                        ; implicit-def: $vgpr10
	s_waitcnt lgkmcnt(0)
	v_add_co_u32 v8, vcc_lo, s0, v8
	v_add_co_ci_u32_e64 v9, null, s1, v9, vcc_lo
	global_store_dwordx4 v[8:9], v[4:7], off
	global_store_dwordx4 v[8:9], v[0:3], off offset:16
                                        ; implicit-def: $vgpr8_vgpr9
                                        ; implicit-def: $vgpr4_vgpr5
                                        ; implicit-def: $vgpr0_vgpr1
.LBB29_40:
	s_andn2_saveexec_b32 s2, s2
	s_cbranch_execz .LBB29_10
; %bb.41:
	v_ashrrev_i32_e32 v11, 31, v10
	v_lshlrev_b64 v[10:11], 3, v[10:11]
	s_waitcnt lgkmcnt(0)
	v_add_co_u32 v18, vcc_lo, s0, v10
	v_add_co_ci_u32_e64 v19, null, s1, v11, vcc_lo
	s_clause 0x1
	global_load_dwordx4 v[10:13], v[18:19], off
	global_load_dwordx4 v[14:17], v[18:19], off offset:16
	s_waitcnt vmcnt(1)
	v_fma_f64 v[4:5], v[8:9], v[10:11], v[4:5]
	v_fma_f64 v[6:7], v[8:9], v[12:13], v[6:7]
	s_waitcnt vmcnt(0)
	v_fma_f64 v[0:1], v[8:9], v[14:15], v[0:1]
	v_fma_f64 v[2:3], v[8:9], v[16:17], v[2:3]
	global_store_dwordx4 v[18:19], v[4:7], off
	global_store_dwordx4 v[18:19], v[0:3], off offset:16
	s_endpgm
	.section	.rodata,"a",@progbits
	.p2align	6, 0x0
	.amdhsa_kernel _ZN9rocsparseL18bsrxmvn_4x4_kernelILj128ELj64EdlidddEEvT3_20rocsparse_direction_NS_24const_host_device_scalarIT1_EES1_PKS1_PKT2_SA_S7_PKT4_PKT5_S5_PT6_21rocsparse_index_base_b
		.amdhsa_group_segment_fixed_size 0
		.amdhsa_private_segment_fixed_size 0
		.amdhsa_kernarg_size 96
		.amdhsa_user_sgpr_count 6
		.amdhsa_user_sgpr_private_segment_buffer 1
		.amdhsa_user_sgpr_dispatch_ptr 0
		.amdhsa_user_sgpr_queue_ptr 0
		.amdhsa_user_sgpr_kernarg_segment_ptr 1
		.amdhsa_user_sgpr_dispatch_id 0
		.amdhsa_user_sgpr_flat_scratch_init 0
		.amdhsa_user_sgpr_private_segment_size 0
		.amdhsa_wavefront_size32 1
		.amdhsa_uses_dynamic_stack 0
		.amdhsa_system_sgpr_private_segment_wavefront_offset 0
		.amdhsa_system_sgpr_workgroup_id_x 1
		.amdhsa_system_sgpr_workgroup_id_y 0
		.amdhsa_system_sgpr_workgroup_id_z 0
		.amdhsa_system_sgpr_workgroup_info 0
		.amdhsa_system_vgpr_workitem_id 0
		.amdhsa_next_free_vgpr 139
		.amdhsa_next_free_sgpr 16
		.amdhsa_reserve_vcc 1
		.amdhsa_reserve_flat_scratch 0
		.amdhsa_float_round_mode_32 0
		.amdhsa_float_round_mode_16_64 0
		.amdhsa_float_denorm_mode_32 3
		.amdhsa_float_denorm_mode_16_64 3
		.amdhsa_dx10_clamp 1
		.amdhsa_ieee_mode 1
		.amdhsa_fp16_overflow 0
		.amdhsa_workgroup_processor_mode 1
		.amdhsa_memory_ordered 1
		.amdhsa_forward_progress 1
		.amdhsa_shared_vgpr_count 0
		.amdhsa_exception_fp_ieee_invalid_op 0
		.amdhsa_exception_fp_denorm_src 0
		.amdhsa_exception_fp_ieee_div_zero 0
		.amdhsa_exception_fp_ieee_overflow 0
		.amdhsa_exception_fp_ieee_underflow 0
		.amdhsa_exception_fp_ieee_inexact 0
		.amdhsa_exception_int_div_zero 0
	.end_amdhsa_kernel
	.section	.text._ZN9rocsparseL18bsrxmvn_4x4_kernelILj128ELj64EdlidddEEvT3_20rocsparse_direction_NS_24const_host_device_scalarIT1_EES1_PKS1_PKT2_SA_S7_PKT4_PKT5_S5_PT6_21rocsparse_index_base_b,"axG",@progbits,_ZN9rocsparseL18bsrxmvn_4x4_kernelILj128ELj64EdlidddEEvT3_20rocsparse_direction_NS_24const_host_device_scalarIT1_EES1_PKS1_PKT2_SA_S7_PKT4_PKT5_S5_PT6_21rocsparse_index_base_b,comdat
.Lfunc_end29:
	.size	_ZN9rocsparseL18bsrxmvn_4x4_kernelILj128ELj64EdlidddEEvT3_20rocsparse_direction_NS_24const_host_device_scalarIT1_EES1_PKS1_PKT2_SA_S7_PKT4_PKT5_S5_PT6_21rocsparse_index_base_b, .Lfunc_end29-_ZN9rocsparseL18bsrxmvn_4x4_kernelILj128ELj64EdlidddEEvT3_20rocsparse_direction_NS_24const_host_device_scalarIT1_EES1_PKS1_PKT2_SA_S7_PKT4_PKT5_S5_PT6_21rocsparse_index_base_b
                                        ; -- End function
	.set _ZN9rocsparseL18bsrxmvn_4x4_kernelILj128ELj64EdlidddEEvT3_20rocsparse_direction_NS_24const_host_device_scalarIT1_EES1_PKS1_PKT2_SA_S7_PKT4_PKT5_S5_PT6_21rocsparse_index_base_b.num_vgpr, 139
	.set _ZN9rocsparseL18bsrxmvn_4x4_kernelILj128ELj64EdlidddEEvT3_20rocsparse_direction_NS_24const_host_device_scalarIT1_EES1_PKS1_PKT2_SA_S7_PKT4_PKT5_S5_PT6_21rocsparse_index_base_b.num_agpr, 0
	.set _ZN9rocsparseL18bsrxmvn_4x4_kernelILj128ELj64EdlidddEEvT3_20rocsparse_direction_NS_24const_host_device_scalarIT1_EES1_PKS1_PKT2_SA_S7_PKT4_PKT5_S5_PT6_21rocsparse_index_base_b.numbered_sgpr, 16
	.set _ZN9rocsparseL18bsrxmvn_4x4_kernelILj128ELj64EdlidddEEvT3_20rocsparse_direction_NS_24const_host_device_scalarIT1_EES1_PKS1_PKT2_SA_S7_PKT4_PKT5_S5_PT6_21rocsparse_index_base_b.num_named_barrier, 0
	.set _ZN9rocsparseL18bsrxmvn_4x4_kernelILj128ELj64EdlidddEEvT3_20rocsparse_direction_NS_24const_host_device_scalarIT1_EES1_PKS1_PKT2_SA_S7_PKT4_PKT5_S5_PT6_21rocsparse_index_base_b.private_seg_size, 0
	.set _ZN9rocsparseL18bsrxmvn_4x4_kernelILj128ELj64EdlidddEEvT3_20rocsparse_direction_NS_24const_host_device_scalarIT1_EES1_PKS1_PKT2_SA_S7_PKT4_PKT5_S5_PT6_21rocsparse_index_base_b.uses_vcc, 1
	.set _ZN9rocsparseL18bsrxmvn_4x4_kernelILj128ELj64EdlidddEEvT3_20rocsparse_direction_NS_24const_host_device_scalarIT1_EES1_PKS1_PKT2_SA_S7_PKT4_PKT5_S5_PT6_21rocsparse_index_base_b.uses_flat_scratch, 0
	.set _ZN9rocsparseL18bsrxmvn_4x4_kernelILj128ELj64EdlidddEEvT3_20rocsparse_direction_NS_24const_host_device_scalarIT1_EES1_PKS1_PKT2_SA_S7_PKT4_PKT5_S5_PT6_21rocsparse_index_base_b.has_dyn_sized_stack, 0
	.set _ZN9rocsparseL18bsrxmvn_4x4_kernelILj128ELj64EdlidddEEvT3_20rocsparse_direction_NS_24const_host_device_scalarIT1_EES1_PKS1_PKT2_SA_S7_PKT4_PKT5_S5_PT6_21rocsparse_index_base_b.has_recursion, 0
	.set _ZN9rocsparseL18bsrxmvn_4x4_kernelILj128ELj64EdlidddEEvT3_20rocsparse_direction_NS_24const_host_device_scalarIT1_EES1_PKS1_PKT2_SA_S7_PKT4_PKT5_S5_PT6_21rocsparse_index_base_b.has_indirect_call, 0
	.section	.AMDGPU.csdata,"",@progbits
; Kernel info:
; codeLenInByte = 5548
; TotalNumSgprs: 18
; NumVgprs: 139
; ScratchSize: 0
; MemoryBound: 1
; FloatMode: 240
; IeeeMode: 1
; LDSByteSize: 0 bytes/workgroup (compile time only)
; SGPRBlocks: 0
; VGPRBlocks: 17
; NumSGPRsForWavesPerEU: 18
; NumVGPRsForWavesPerEU: 139
; Occupancy: 7
; WaveLimiterHint : 1
; COMPUTE_PGM_RSRC2:SCRATCH_EN: 0
; COMPUTE_PGM_RSRC2:USER_SGPR: 6
; COMPUTE_PGM_RSRC2:TRAP_HANDLER: 0
; COMPUTE_PGM_RSRC2:TGID_X_EN: 1
; COMPUTE_PGM_RSRC2:TGID_Y_EN: 0
; COMPUTE_PGM_RSRC2:TGID_Z_EN: 0
; COMPUTE_PGM_RSRC2:TIDIG_COMP_CNT: 0
	.section	.text._ZN9rocsparseL18bsrxmvn_4x4_kernelILj128ELj4E21rocsparse_complex_numIfEliS2_S2_S2_EEvT3_20rocsparse_direction_NS_24const_host_device_scalarIT1_EES3_PKS3_PKT2_SC_S9_PKT4_PKT5_S7_PT6_21rocsparse_index_base_b,"axG",@progbits,_ZN9rocsparseL18bsrxmvn_4x4_kernelILj128ELj4E21rocsparse_complex_numIfEliS2_S2_S2_EEvT3_20rocsparse_direction_NS_24const_host_device_scalarIT1_EES3_PKS3_PKT2_SC_S9_PKT4_PKT5_S7_PT6_21rocsparse_index_base_b,comdat
	.globl	_ZN9rocsparseL18bsrxmvn_4x4_kernelILj128ELj4E21rocsparse_complex_numIfEliS2_S2_S2_EEvT3_20rocsparse_direction_NS_24const_host_device_scalarIT1_EES3_PKS3_PKT2_SC_S9_PKT4_PKT5_S7_PT6_21rocsparse_index_base_b ; -- Begin function _ZN9rocsparseL18bsrxmvn_4x4_kernelILj128ELj4E21rocsparse_complex_numIfEliS2_S2_S2_EEvT3_20rocsparse_direction_NS_24const_host_device_scalarIT1_EES3_PKS3_PKT2_SC_S9_PKT4_PKT5_S7_PT6_21rocsparse_index_base_b
	.p2align	8
	.type	_ZN9rocsparseL18bsrxmvn_4x4_kernelILj128ELj4E21rocsparse_complex_numIfEliS2_S2_S2_EEvT3_20rocsparse_direction_NS_24const_host_device_scalarIT1_EES3_PKS3_PKT2_SC_S9_PKT4_PKT5_S7_PT6_21rocsparse_index_base_b,@function
_ZN9rocsparseL18bsrxmvn_4x4_kernelILj128ELj4E21rocsparse_complex_numIfEliS2_S2_S2_EEvT3_20rocsparse_direction_NS_24const_host_device_scalarIT1_EES3_PKS3_PKT2_SC_S9_PKT4_PKT5_S7_PT6_21rocsparse_index_base_b: ; @_ZN9rocsparseL18bsrxmvn_4x4_kernelILj128ELj4E21rocsparse_complex_numIfEliS2_S2_S2_EEvT3_20rocsparse_direction_NS_24const_host_device_scalarIT1_EES3_PKS3_PKT2_SC_S9_PKT4_PKT5_S7_PT6_21rocsparse_index_base_b
; %bb.0:
	s_clause 0x2
	s_load_dwordx2 s[2:3], s[4:5], 0x58
	s_load_dwordx2 s[0:1], s[4:5], 0x8
	s_load_dwordx2 s[8:9], s[4:5], 0x48
	s_add_u32 s7, s4, 8
	s_addc_u32 s10, s5, 0
	s_add_u32 s11, s4, 0x48
	s_addc_u32 s12, s5, 0
	s_waitcnt lgkmcnt(0)
	s_bitcmp1_b32 s3, 0
	s_cselect_b32 s0, s7, s0
	s_cselect_b32 s1, s10, s1
	v_mov_b32_e32 v1, s0
	v_mov_b32_e32 v2, s1
	s_cselect_b32 s0, s11, s8
	s_cselect_b32 s1, s12, s9
	flat_load_dwordx2 v[74:75], v[1:2]
	v_mov_b32_e32 v1, s0
	v_mov_b32_e32 v2, s1
	flat_load_dwordx2 v[72:73], v[1:2]
	s_waitcnt vmcnt(1) lgkmcnt(1)
	v_cmp_eq_f32_e32 vcc_lo, 0, v74
	v_cmp_eq_f32_e64 s0, 0, v75
	s_and_b32 s3, vcc_lo, s0
	s_mov_b32 s0, -1
	s_and_saveexec_b32 s1, s3
	s_cbranch_execz .LBB30_2
; %bb.1:
	s_waitcnt vmcnt(0) lgkmcnt(0)
	v_cmp_neq_f32_e32 vcc_lo, 1.0, v72
	v_cmp_neq_f32_e64 s0, 0, v73
	s_or_b32 s0, vcc_lo, s0
	s_orn2_b32 s0, s0, exec_lo
.LBB30_2:
	s_or_b32 exec_lo, exec_lo, s1
	s_and_saveexec_b32 s1, s0
	s_cbranch_execz .LBB30_8
; %bb.3:
	s_clause 0x1
	s_load_dwordx2 s[8:9], s[4:5], 0x18
	s_load_dwordx2 s[0:1], s[4:5], 0x0
	v_lshrrev_b32_e32 v1, 2, v0
	v_lshl_or_b32 v76, s6, 5, v1
	s_waitcnt lgkmcnt(0)
	s_cmp_lg_u64 s[8:9], 0
	s_cbranch_scc0 .LBB30_9
; %bb.4:
	s_load_dword s3, s[4:5], 0x10
	s_mov_b32 s6, 0
                                        ; implicit-def: $vgpr1
	s_waitcnt lgkmcnt(0)
	v_cmp_gt_i32_e32 vcc_lo, s3, v76
	s_mov_b32 s3, 0
	s_and_saveexec_b32 s7, vcc_lo
	s_xor_b32 s7, exec_lo, s7
	s_cbranch_execz .LBB30_6
; %bb.5:
	v_ashrrev_i32_e32 v77, 31, v76
	s_mov_b32 s3, exec_lo
	v_lshlrev_b64 v[1:2], 2, v[76:77]
	v_add_co_u32 v1, vcc_lo, s8, v1
	v_add_co_ci_u32_e64 v2, null, s9, v2, vcc_lo
	global_load_dword v1, v[1:2], off
	s_waitcnt vmcnt(0)
	v_subrev_nc_u32_e32 v1, s2, v1
.LBB30_6:
	s_or_b32 exec_lo, exec_lo, s7
	s_and_b32 vcc_lo, exec_lo, s6
	s_cbranch_vccz .LBB30_10
.LBB30_7:
	v_cmp_gt_i32_e32 vcc_lo, s0, v76
	s_andn2_b32 s0, s3, exec_lo
	s_and_b32 s3, vcc_lo, exec_lo
	s_or_b32 s3, s0, s3
	s_and_b32 exec_lo, exec_lo, s3
	s_cbranch_execnz .LBB30_11
.LBB30_8:
	s_endpgm
.LBB30_9:
	s_mov_b32 s3, 0
                                        ; implicit-def: $vgpr1
	s_cbranch_execnz .LBB30_7
.LBB30_10:
	v_mov_b32_e32 v76, v1
	s_and_b32 exec_lo, exec_lo, s3
	s_cbranch_execz .LBB30_8
.LBB30_11:
	s_load_dwordx8 s[8:15], s[4:5], 0x20
	v_ashrrev_i32_e32 v77, 31, v76
	v_and_b32_e32 v93, 3, v0
	s_load_dwordx2 s[6:7], s[4:5], 0x40
	v_mov_b32_e32 v94, 0
	v_lshlrev_b64 v[1:2], 3, v[76:77]
	s_waitcnt lgkmcnt(0)
	v_add_co_u32 v3, vcc_lo, s8, v1
	v_add_co_ci_u32_e64 v4, null, s9, v2, vcc_lo
	v_add_co_u32 v1, vcc_lo, s10, v1
	v_add_co_ci_u32_e64 v2, null, s11, v2, vcc_lo
	v_add_co_u32 v5, vcc_lo, v3, 8
	global_load_dwordx2 v[85:86], v[3:4], off
	v_add_co_ci_u32_e64 v6, null, 0, v4, vcc_lo
	s_cmp_eq_u64 s[10:11], 0
	s_cselect_b32 vcc_lo, -1, 0
	s_cmp_eq_u32 s1, 1
	v_cndmask_b32_e32 v2, v2, v6, vcc_lo
	v_cndmask_b32_e32 v1, v1, v5, vcc_lo
	global_load_dwordx2 v[1:2], v[1:2], off
	s_waitcnt vmcnt(1)
	v_sub_co_u32 v0, vcc_lo, v85, s2
	v_subrev_co_ci_u32_e64 v3, null, 0, v86, vcc_lo
	v_add_co_u32 v77, vcc_lo, v0, v93
	v_add_co_ci_u32_e64 v78, null, 0, v3, vcc_lo
	s_waitcnt vmcnt(0)
	v_sub_co_u32 v79, vcc_lo, v1, s2
	v_lshlrev_b64 v[0:1], 7, v[77:78]
	v_subrev_co_ci_u32_e64 v80, null, 0, v2, vcc_lo
	v_add_co_u32 v81, vcc_lo, s14, v0
	v_cmp_lt_i64_e64 s0, v[77:78], v[79:80]
	v_add_co_ci_u32_e64 v82, null, s15, v1, vcc_lo
	s_cbranch_scc1 .LBB30_23
; %bb.12:
	v_mov_b32_e32 v100, 0
	v_mov_b32_e32 v97, 0
	;; [unrolled: 1-line block ×7, first 2 shown]
	s_and_saveexec_b32 s1, s0
	s_cbranch_execz .LBB30_22
; %bb.13:
	v_or_b32_e32 v0, 4, v93
	v_not_b32_e32 v3, v85
	v_not_b32_e32 v2, v86
	v_mov_b32_e32 v84, 0
	v_mov_b32_e32 v88, v82
	v_sub_co_u32 v0, s3, v0, s2
	v_sub_co_ci_u32_e64 v1, null, 0, 0, s3
	v_sub_co_u32 v4, s3, s2, v93
	v_add_co_u32 v0, vcc_lo, v0, v85
	v_add_co_ci_u32_e64 v1, null, v1, v86, vcc_lo
	v_sub_co_ci_u32_e64 v5, null, 0, 0, s3
	v_mov_b32_e32 v90, v78
	v_cmp_gt_i64_e32 vcc_lo, v[0:1], v[79:80]
	v_mov_b32_e32 v99, v84
	v_mov_b32_e32 v96, v84
	;; [unrolled: 1-line block ×5, first 2 shown]
	v_cndmask_b32_e32 v1, v80, v1, vcc_lo
	v_cndmask_b32_e32 v0, v79, v0, vcc_lo
	v_add_co_u32 v3, vcc_lo, v4, v3
	v_add_co_ci_u32_e64 v2, null, v5, v2, vcc_lo
	v_mov_b32_e32 v100, v84
	v_add_co_u32 v0, vcc_lo, v3, v0
	v_add_co_ci_u32_e64 v1, null, v2, v1, vcc_lo
	v_mov_b32_e32 v94, v84
	v_and_b32_e32 v83, 12, v0
	v_mov_b32_e32 v87, v81
	v_mov_b32_e32 v89, v77
	s_mov_b32 s3, exec_lo
	v_cmpx_ne_u64_e32 12, v[83:84]
	s_cbranch_execz .LBB30_17
; %bb.14:
	v_lshrrev_b32_e32 v2, 2, v0
	v_mov_b32_e32 v90, v78
	v_mov_b32_e32 v88, v82
	;; [unrolled: 1-line block ×4, first 2 shown]
	v_add_nc_u32_e32 v4, 1, v2
	v_lshlrev_b64 v[2:3], 2, v[77:78]
	v_mov_b32_e32 v87, v81
	v_mov_b32_e32 v100, 0
	;; [unrolled: 1-line block ×3, first 2 shown]
	v_and_b32_e32 v4, 3, v4
	v_mov_b32_e32 v95, 0
	v_add_co_u32 v2, vcc_lo, s12, v2
	v_add_co_ci_u32_e64 v3, null, s13, v3, vcc_lo
	v_sub_co_u32 v4, s8, 0, v4
	v_sub_co_ci_u32_e64 v5, null, 0, 0, s8
	v_mov_b32_e32 v98, 0
	v_mov_b32_e32 v96, 0
	;; [unrolled: 1-line block ×4, first 2 shown]
	s_mov_b32 s8, 0
.LBB30_15:                              ; =>This Inner Loop Header: Depth=1
	global_load_dword v38, v[2:3], off
	s_clause 0x7
	global_load_dwordx4 v[6:9], v[87:88], off offset:48
	global_load_dwordx4 v[10:13], v[87:88], off offset:32
	global_load_dwordx4 v[14:17], v[87:88], off offset:16
	global_load_dwordx4 v[18:21], v[87:88], off
	global_load_dwordx4 v[22:25], v[87:88], off offset:112
	global_load_dwordx4 v[26:29], v[87:88], off offset:96
	;; [unrolled: 1-line block ×4, first 2 shown]
	s_waitcnt vmcnt(8)
	v_subrev_nc_u32_e32 v38, s2, v38
	v_lshlrev_b32_e32 v38, 2, v38
	v_ashrrev_i32_e32 v39, 31, v38
	v_lshlrev_b64 v[38:39], 3, v[38:39]
	v_add_co_u32 v42, vcc_lo, s6, v38
	v_add_co_ci_u32_e64 v43, null, s7, v39, vcc_lo
	v_add_co_u32 v87, vcc_lo, 0x200, v87
	v_add_co_ci_u32_e64 v88, null, 0, v88, vcc_lo
	s_clause 0x1
	global_load_dwordx4 v[38:41], v[42:43], off
	global_load_dwordx4 v[42:45], v[42:43], off offset:16
	v_add_co_u32 v89, vcc_lo, v89, 4
	v_add_co_ci_u32_e64 v90, null, 0, v90, vcc_lo
	v_add_co_u32 v4, vcc_lo, v4, 1
	v_add_co_ci_u32_e64 v5, null, 0, v5, vcc_lo
	;; [unrolled: 2-line block ×3, first 2 shown]
	v_cmp_eq_u64_e32 vcc_lo, 0, v[4:5]
	s_or_b32 s8, vcc_lo, s8
	s_waitcnt vmcnt(1)
	v_fmac_f32_e32 v100, v18, v38
	v_fmac_f32_e32 v94, v19, v38
	;; [unrolled: 1-line block ×8, first 2 shown]
	v_fma_f32 v19, -v19, v39, v100
	v_fmac_f32_e32 v94, v18, v39
	v_fma_f32 v11, -v11, v39, v99
	v_fmac_f32_e32 v84, v10, v39
	;; [unrolled: 2-line block ×4, first 2 shown]
	v_fmac_f32_e32 v19, v20, v40
	v_fmac_f32_e32 v94, v21, v40
	;; [unrolled: 1-line block ×8, first 2 shown]
	v_fma_f32 v19, -v21, v41, v19
	v_fmac_f32_e32 v94, v20, v41
	v_fma_f32 v11, -v13, v41, v11
	v_fmac_f32_e32 v84, v12, v41
	;; [unrolled: 2-line block ×4, first 2 shown]
	s_waitcnt vmcnt(0)
	v_fmac_f32_e32 v19, v14, v42
	v_fmac_f32_e32 v94, v15, v42
	;; [unrolled: 1-line block ×8, first 2 shown]
	v_fma_f32 v13, -v15, v43, v19
	v_fmac_f32_e32 v94, v14, v43
	v_fma_f32 v7, -v7, v43, v11
	v_fmac_f32_e32 v84, v6, v43
	;; [unrolled: 2-line block ×4, first 2 shown]
	v_fmac_f32_e32 v13, v16, v44
	v_fmac_f32_e32 v94, v17, v44
	;; [unrolled: 1-line block ×8, first 2 shown]
	v_fma_f32 v100, -v17, v45, v13
	v_fmac_f32_e32 v94, v16, v45
	v_fma_f32 v99, -v9, v45, v7
	v_fmac_f32_e32 v84, v8, v45
	;; [unrolled: 2-line block ×4, first 2 shown]
	s_andn2_b32 exec_lo, exec_lo, s8
	s_cbranch_execnz .LBB30_15
; %bb.16:
	s_or_b32 exec_lo, exec_lo, s8
.LBB30_17:
	s_or_b32 exec_lo, exec_lo, s3
	s_mov_b32 s3, exec_lo
	v_cmpx_lt_u64_e32 11, v[0:1]
	s_cbranch_execz .LBB30_21
; %bb.18:
	v_lshlrev_b64 v[0:1], 2, v[89:90]
	s_mov_b32 s8, 0
	v_add_co_u32 v0, vcc_lo, s12, v0
	v_add_co_ci_u32_e64 v1, null, s13, v1, vcc_lo
	v_add_co_u32 v91, vcc_lo, v0, 32
	v_add_co_ci_u32_e64 v92, null, 0, v1, vcc_lo
.LBB30_19:                              ; =>This Inner Loop Header: Depth=1
	global_load_dword v83, v[91:92], off offset:-32
	s_clause 0xf
	global_load_dwordx4 v[28:31], v[87:88], off offset:48
	global_load_dwordx4 v[52:55], v[87:88], off offset:32
	;; [unrolled: 1-line block ×3, first 2 shown]
	global_load_dwordx4 v[60:63], v[87:88], off
	global_load_dwordx4 v[8:11], v[87:88], off offset:112
	global_load_dwordx4 v[101:104], v[87:88], off offset:96
	;; [unrolled: 1-line block ×12, first 2 shown]
	s_clause 0x2
	global_load_dword v133, v[91:92], off offset:-16
	global_load_dword v134, v[91:92], off
	global_load_dword v135, v[91:92], off offset:16
	s_clause 0x7
	global_load_dwordx4 v[44:47], v[87:88], off offset:1072
	global_load_dwordx4 v[64:67], v[87:88], off offset:1056
	;; [unrolled: 1-line block ×8, first 2 shown]
	s_waitcnt vmcnt(27)
	v_subrev_nc_u32_e32 v83, s2, v83
	v_lshlrev_b32_e32 v125, 2, v83
	v_ashrrev_i32_e32 v126, 31, v125
	v_lshlrev_b64 v[125:126], 3, v[125:126]
	v_add_co_u32 v129, vcc_lo, s6, v125
	v_add_co_ci_u32_e64 v130, null, s7, v126, vcc_lo
	s_clause 0x1
	global_load_dwordx4 v[125:128], v[129:130], off
	global_load_dwordx4 v[129:132], v[129:130], off offset:16
	s_waitcnt vmcnt(1)
	v_fmac_f32_e32 v97, v101, v125
	v_fmac_f32_e32 v100, v60, v125
	;; [unrolled: 1-line block ×8, first 2 shown]
	v_fma_f32 v97, -v102, v126, v97
	v_fma_f32 v61, -v61, v126, v100
	v_fmac_f32_e32 v94, v60, v126
	v_fma_f32 v53, -v53, v126, v99
	v_fmac_f32_e32 v84, v52, v126
	;; [unrolled: 2-line block ×3, first 2 shown]
	v_fmac_f32_e32 v95, v101, v126
	v_fmac_f32_e32 v97, v103, v127
	;; [unrolled: 1-line block ×9, first 2 shown]
	v_fma_f32 v125, -v104, v128, v97
	v_fma_f32 v83, -v63, v128, v61
	v_fmac_f32_e32 v94, v62, v128
	v_fma_f32 v136, -v55, v128, v53
	v_fmac_f32_e32 v84, v54, v128
	;; [unrolled: 2-line block ×3, first 2 shown]
	v_fmac_f32_e32 v95, v103, v128
	s_waitcnt vmcnt(0)
	v_fmac_f32_e32 v125, v8, v129
	v_fmac_f32_e32 v83, v36, v129
	;; [unrolled: 1-line block ×7, first 2 shown]
	v_subrev_nc_u32_e32 v126, s2, v133
	v_fmac_f32_e32 v95, v9, v129
	v_fma_f32 v9, -v9, v130, v125
	v_fma_f32 v37, -v37, v130, v83
	v_fmac_f32_e32 v94, v36, v130
	v_fma_f32 v29, -v29, v130, v136
	v_fmac_f32_e32 v84, v28, v130
	;; [unrolled: 2-line block ×3, first 2 shown]
	v_fmac_f32_e32 v95, v8, v130
	v_fmac_f32_e32 v9, v10, v131
	v_lshlrev_b32_e32 v8, 2, v126
	v_fmac_f32_e32 v37, v38, v131
	v_fmac_f32_e32 v94, v39, v131
	;; [unrolled: 1-line block ×7, first 2 shown]
	v_fma_f32 v131, -v11, v132, v9
	v_ashrrev_i32_e32 v9, 31, v8
	v_subrev_nc_u32_e32 v127, s2, v134
	s_clause 0x2
	global_load_dwordx4 v[60:63], v[87:88], off offset:1584
	global_load_dwordx4 v[52:55], v[87:88], off offset:1568
	global_load_dwordx4 v[105:108], v[87:88], off offset:1552
	v_lshlrev_b64 v[8:9], 3, v[8:9]
	s_clause 0x1
	global_load_dwordx4 v[97:100], v[87:88], off offset:1536
	global_load_dwordx4 v[101:104], v[87:88], off offset:1648
	v_fma_f32 v83, -v39, v132, v37
	v_fmac_f32_e32 v94, v38, v132
	global_load_dwordx4 v[36:39], v[87:88], off offset:1632
	v_fma_f32 v136, -v31, v132, v29
	v_add_co_u32 v125, vcc_lo, s6, v8
	v_add_co_ci_u32_e64 v126, null, s7, v9, vcc_lo
	v_fmac_f32_e32 v84, v30, v132
	global_load_dwordx4 v[28:31], v[87:88], off offset:1600
	v_fma_f32 v137, -v43, v132, v41
	v_fmac_f32_e32 v96, v42, v132
	global_load_dwordx4 v[40:43], v[87:88], off offset:1616
	v_fmac_f32_e32 v95, v10, v132
	v_lshlrev_b32_e32 v129, 2, v127
	s_clause 0x1
	global_load_dwordx4 v[8:11], v[125:126], off
	global_load_dwordx4 v[125:128], v[125:126], off offset:16
	v_subrev_nc_u32_e32 v133, s2, v135
	v_ashrrev_i32_e32 v130, 31, v129
	s_waitcnt vmcnt(1)
	v_fmac_f32_e32 v83, v24, v8
	v_fmac_f32_e32 v94, v25, v8
	;; [unrolled: 1-line block ×5, first 2 shown]
	v_fma_f32 v25, -v25, v9, v83
	v_fmac_f32_e32 v94, v24, v9
	v_lshlrev_b32_e32 v24, 2, v133
	v_fma_f32 v13, -v13, v9, v136
	v_fmac_f32_e32 v84, v12, v9
	v_fmac_f32_e32 v25, v26, v10
	;; [unrolled: 1-line block ×6, first 2 shown]
	v_fma_f32 v83, -v27, v11, v25
	v_fmac_f32_e32 v94, v26, v11
	v_ashrrev_i32_e32 v25, 31, v24
	v_lshlrev_b64 v[26:27], 3, v[129:130]
	v_fma_f32 v132, -v15, v11, v13
	v_fmac_f32_e32 v84, v14, v11
	v_fma_f32 v110, -v110, v9, v137
	v_lshlrev_b64 v[24:25], 3, v[24:25]
	v_fmac_f32_e32 v96, v109, v9
	v_add_co_u32 v26, vcc_lo, s6, v26
	v_add_co_ci_u32_e64 v27, null, s7, v27, vcc_lo
	v_add_co_u32 v129, vcc_lo, s6, v24
	v_add_co_ci_u32_e64 v130, null, s7, v25, vcc_lo
	s_clause 0x1
	global_load_dwordx4 v[12:15], v[26:27], off
	global_load_dwordx4 v[24:27], v[26:27], off offset:16
	v_fmac_f32_e32 v110, v111, v10
	v_fmac_f32_e32 v96, v112, v10
	;; [unrolled: 1-line block ×4, first 2 shown]
	s_waitcnt vmcnt(2)
	v_fmac_f32_e32 v83, v4, v125
	v_fma_f32 v133, -v112, v11, v110
	v_fmac_f32_e32 v96, v111, v11
	global_load_dwordx4 v[109:112], v[129:130], off
	v_fma_f32 v8, -v33, v9, v131
	v_fmac_f32_e32 v95, v32, v9
	v_fmac_f32_e32 v94, v5, v125
	;; [unrolled: 1-line block ×8, first 2 shown]
	v_fma_f32 v5, -v5, v126, v83
	v_fma_f32 v32, -v35, v11, v8
	v_fmac_f32_e32 v95, v34, v11
	global_load_dwordx4 v[8:11], v[129:130], off offset:16
	v_fmac_f32_e32 v94, v4, v126
	v_fma_f32 v1, -v1, v126, v132
	v_fmac_f32_e32 v32, v16, v125
	v_fmac_f32_e32 v95, v17, v125
	;; [unrolled: 1-line block ×3, first 2 shown]
	v_fma_f32 v0, -v21, v126, v133
	v_fmac_f32_e32 v96, v20, v126
	v_fma_f32 v4, -v17, v126, v32
	v_fmac_f32_e32 v95, v16, v126
	v_fmac_f32_e32 v5, v6, v127
	;; [unrolled: 1-line block ×9, first 2 shown]
	v_fma_f32 v5, -v7, v128, v5
	v_fmac_f32_e32 v94, v6, v128
	v_fma_f32 v1, -v3, v128, v1
	v_fmac_f32_e32 v84, v2, v128
	;; [unrolled: 2-line block ×4, first 2 shown]
	v_add_co_u32 v89, vcc_lo, v89, 16
	v_add_co_ci_u32_e64 v90, null, 0, v90, vcc_lo
	v_add_co_u32 v87, vcc_lo, 0x800, v87
	v_add_co_ci_u32_e64 v88, null, 0, v88, vcc_lo
	;; [unrolled: 2-line block ×3, first 2 shown]
	v_cmp_ge_i64_e32 vcc_lo, v[89:90], v[79:80]
	s_or_b32 s8, vcc_lo, s8
	s_waitcnt vmcnt(3)
	v_fmac_f32_e32 v5, v113, v12
	v_fmac_f32_e32 v94, v114, v12
	v_fmac_f32_e32 v1, v64, v12
	v_fmac_f32_e32 v84, v65, v12
	v_fmac_f32_e32 v0, v121, v12
	v_fmac_f32_e32 v96, v122, v12
	v_fmac_f32_e32 v2, v117, v12
	v_fmac_f32_e32 v95, v118, v12
	v_fma_f32 v3, -v114, v13, v5
	v_fmac_f32_e32 v94, v113, v13
	v_fma_f32 v1, -v65, v13, v1
	v_fmac_f32_e32 v84, v64, v13
	v_fma_f32 v0, -v122, v13, v0
	v_fmac_f32_e32 v96, v121, v13
	v_fma_f32 v2, -v118, v13, v2
	v_fmac_f32_e32 v95, v117, v13
	v_fmac_f32_e32 v3, v115, v14
	v_fmac_f32_e32 v94, v116, v14
	v_fmac_f32_e32 v1, v66, v14
	v_fmac_f32_e32 v84, v67, v14
	v_fmac_f32_e32 v0, v123, v14
	v_fmac_f32_e32 v96, v124, v14
	v_fmac_f32_e32 v2, v119, v14
	v_fmac_f32_e32 v95, v120, v14
	v_fma_f32 v3, -v116, v15, v3
	v_fmac_f32_e32 v94, v115, v15
	v_fma_f32 v1, -v67, v15, v1
	v_fmac_f32_e32 v84, v66, v15
	v_fma_f32 v0, -v124, v15, v0
	v_fmac_f32_e32 v96, v123, v15
	v_fma_f32 v2, -v120, v15, v2
	v_fmac_f32_e32 v95, v119, v15
	s_waitcnt vmcnt(2)
	v_fmac_f32_e32 v3, v48, v24
	v_fmac_f32_e32 v94, v49, v24
	v_fmac_f32_e32 v1, v44, v24
	v_fmac_f32_e32 v84, v45, v24
	v_fmac_f32_e32 v0, v68, v24
	v_fmac_f32_e32 v96, v69, v24
	v_fmac_f32_e32 v2, v56, v24
	v_fmac_f32_e32 v95, v57, v24
	v_fma_f32 v3, -v49, v25, v3
	v_fmac_f32_e32 v94, v48, v25
	v_fma_f32 v1, -v45, v25, v1
	v_fmac_f32_e32 v84, v44, v25
	v_fma_f32 v0, -v69, v25, v0
	v_fmac_f32_e32 v96, v68, v25
	v_fma_f32 v2, -v57, v25, v2
	v_fmac_f32_e32 v95, v56, v25
	v_fmac_f32_e32 v3, v50, v26
	v_fmac_f32_e32 v94, v51, v26
	v_fmac_f32_e32 v1, v46, v26
	v_fmac_f32_e32 v84, v47, v26
	v_fmac_f32_e32 v0, v70, v26
	v_fmac_f32_e32 v96, v71, v26
	v_fmac_f32_e32 v2, v58, v26
	v_fmac_f32_e32 v95, v59, v26
	v_fma_f32 v3, -v51, v27, v3
	v_fmac_f32_e32 v94, v50, v27
	v_fma_f32 v1, -v47, v27, v1
	v_fmac_f32_e32 v84, v46, v27
	v_fma_f32 v0, -v71, v27, v0
	v_fmac_f32_e32 v96, v70, v27
	v_fma_f32 v2, -v59, v27, v2
	v_fmac_f32_e32 v95, v58, v27
	s_waitcnt vmcnt(1)
	v_fmac_f32_e32 v3, v97, v109
	v_fmac_f32_e32 v94, v98, v109
	v_fmac_f32_e32 v1, v52, v109
	v_fmac_f32_e32 v84, v53, v109
	v_fmac_f32_e32 v0, v28, v109
	v_fmac_f32_e32 v96, v29, v109
	v_fmac_f32_e32 v2, v36, v109
	v_fmac_f32_e32 v95, v37, v109
	v_fma_f32 v3, -v98, v110, v3
	v_fmac_f32_e32 v94, v97, v110
	v_fma_f32 v1, -v53, v110, v1
	v_fmac_f32_e32 v84, v52, v110
	v_fma_f32 v0, -v29, v110, v0
	v_fmac_f32_e32 v96, v28, v110
	v_fma_f32 v2, -v37, v110, v2
	v_fmac_f32_e32 v95, v36, v110
	v_fmac_f32_e32 v3, v99, v111
	v_fmac_f32_e32 v94, v100, v111
	v_fmac_f32_e32 v1, v54, v111
	v_fmac_f32_e32 v84, v55, v111
	v_fmac_f32_e32 v0, v30, v111
	v_fmac_f32_e32 v96, v31, v111
	v_fmac_f32_e32 v2, v38, v111
	v_fmac_f32_e32 v95, v39, v111
	v_fma_f32 v3, -v100, v112, v3
	v_fmac_f32_e32 v94, v99, v112
	v_fma_f32 v1, -v55, v112, v1
	v_fmac_f32_e32 v84, v54, v112
	v_fma_f32 v0, -v31, v112, v0
	v_fmac_f32_e32 v96, v30, v112
	v_fma_f32 v2, -v39, v112, v2
	v_fmac_f32_e32 v95, v38, v112
	s_waitcnt vmcnt(0)
	v_fmac_f32_e32 v3, v105, v8
	v_fmac_f32_e32 v94, v106, v8
	v_fmac_f32_e32 v1, v60, v8
	v_fmac_f32_e32 v84, v61, v8
	v_fmac_f32_e32 v0, v40, v8
	v_fmac_f32_e32 v96, v41, v8
	v_fmac_f32_e32 v2, v101, v8
	v_fmac_f32_e32 v95, v102, v8
	v_fma_f32 v3, -v106, v9, v3
	v_fmac_f32_e32 v94, v105, v9
	v_fma_f32 v1, -v61, v9, v1
	v_fmac_f32_e32 v84, v60, v9
	v_fma_f32 v0, -v41, v9, v0
	v_fmac_f32_e32 v96, v40, v9
	v_fma_f32 v2, -v102, v9, v2
	v_fmac_f32_e32 v95, v101, v9
	v_fmac_f32_e32 v3, v107, v10
	v_fmac_f32_e32 v94, v108, v10
	v_fmac_f32_e32 v1, v62, v10
	v_fmac_f32_e32 v84, v63, v10
	v_fmac_f32_e32 v0, v42, v10
	v_fmac_f32_e32 v96, v43, v10
	v_fmac_f32_e32 v2, v103, v10
	v_fmac_f32_e32 v95, v104, v10
	v_fma_f32 v100, -v108, v11, v3
	v_fmac_f32_e32 v94, v107, v11
	v_fma_f32 v99, -v63, v11, v1
	v_fmac_f32_e32 v84, v62, v11
	v_fma_f32 v98, -v43, v11, v0
	v_fmac_f32_e32 v96, v42, v11
	v_fma_f32 v97, -v104, v11, v2
	v_fmac_f32_e32 v95, v103, v11
	s_andn2_b32 exec_lo, exec_lo, s8
	s_cbranch_execnz .LBB30_19
; %bb.20:
	s_or_b32 exec_lo, exec_lo, s8
.LBB30_21:
	s_or_b32 exec_lo, exec_lo, s3
.LBB30_22:
	s_or_b32 exec_lo, exec_lo, s1
	s_cbranch_execz .LBB30_24
	s_branch .LBB30_35
.LBB30_23:
                                        ; implicit-def: $vgpr94
                                        ; implicit-def: $vgpr100
                                        ; implicit-def: $vgpr97
                                        ; implicit-def: $vgpr95
                                        ; implicit-def: $vgpr98
                                        ; implicit-def: $vgpr96
                                        ; implicit-def: $vgpr99
                                        ; implicit-def: $vgpr84
.LBB30_24:
	v_mov_b32_e32 v94, 0
	v_mov_b32_e32 v100, 0
	;; [unrolled: 1-line block ×8, first 2 shown]
	s_and_saveexec_b32 s1, s0
	s_cbranch_execz .LBB30_34
; %bb.25:
	v_or_b32_e32 v0, 4, v93
	v_not_b32_e32 v3, v85
	v_not_b32_e32 v2, v86
	v_mov_b32_e32 v84, 0
	v_sub_co_u32 v0, s0, v0, s2
	v_sub_co_ci_u32_e64 v1, null, 0, 0, s0
	v_sub_co_u32 v4, s0, s2, v93
	v_add_co_u32 v0, vcc_lo, v0, v85
	v_add_co_ci_u32_e64 v1, null, v1, v86, vcc_lo
	v_sub_co_ci_u32_e64 v5, null, 0, 0, s0
	v_add_co_u32 v3, s0, v4, v3
	v_cmp_gt_i64_e32 vcc_lo, v[0:1], v[79:80]
	v_add_co_ci_u32_e64 v2, null, v5, v2, s0
	v_mov_b32_e32 v99, v84
	v_mov_b32_e32 v96, v84
	;; [unrolled: 1-line block ×3, first 2 shown]
	v_cndmask_b32_e32 v0, v79, v0, vcc_lo
	v_cndmask_b32_e32 v1, v80, v1, vcc_lo
	v_mov_b32_e32 v95, v84
	v_mov_b32_e32 v97, v84
	;; [unrolled: 1-line block ×3, first 2 shown]
	v_add_co_u32 v0, vcc_lo, v3, v0
	v_add_co_ci_u32_e64 v1, null, v2, v1, vcc_lo
	v_mov_b32_e32 v94, v84
	v_and_b32_e32 v83, 12, v0
	s_mov_b32 s0, exec_lo
	v_cmpx_ne_u64_e32 12, v[83:84]
	s_cbranch_execz .LBB30_29
; %bb.26:
	v_lshrrev_b32_e32 v2, 2, v0
	v_mov_b32_e32 v94, 0
	v_mov_b32_e32 v100, 0
	;; [unrolled: 1-line block ×4, first 2 shown]
	v_add_nc_u32_e32 v4, 1, v2
	v_lshlrev_b64 v[2:3], 2, v[77:78]
	v_mov_b32_e32 v98, 0
	v_mov_b32_e32 v96, 0
	;; [unrolled: 1-line block ×3, first 2 shown]
	v_and_b32_e32 v4, 3, v4
	v_mov_b32_e32 v84, 0
	v_add_co_u32 v2, vcc_lo, s12, v2
	v_add_co_ci_u32_e64 v3, null, s13, v3, vcc_lo
	v_sub_co_u32 v4, s3, 0, v4
	v_sub_co_ci_u32_e64 v5, null, 0, 0, s3
	s_mov_b32 s3, 0
.LBB30_27:                              ; =>This Inner Loop Header: Depth=1
	global_load_dword v18, v[2:3], off
	s_clause 0x2
	global_load_dwordx4 v[6:9], v[81:82], off offset:32
	global_load_dwordx4 v[10:13], v[81:82], off offset:16
	global_load_dwordx4 v[14:17], v[81:82], off
	s_waitcnt vmcnt(3)
	v_subrev_nc_u32_e32 v18, s2, v18
	v_lshlrev_b32_e32 v18, 2, v18
	v_ashrrev_i32_e32 v19, 31, v18
	v_lshlrev_b64 v[18:19], 3, v[18:19]
	v_add_co_u32 v22, vcc_lo, s6, v18
	v_add_co_ci_u32_e64 v23, null, s7, v19, vcc_lo
	s_clause 0x1
	global_load_dwordx4 v[18:21], v[22:23], off
	global_load_dwordx4 v[22:25], v[22:23], off offset:16
	s_clause 0x4
	global_load_dwordx4 v[26:29], v[81:82], off offset:48
	global_load_dwordx4 v[30:33], v[81:82], off offset:64
	;; [unrolled: 1-line block ×5, first 2 shown]
	v_add_co_u32 v81, vcc_lo, 0x200, v81
	v_add_co_ci_u32_e64 v82, null, 0, v82, vcc_lo
	v_add_co_u32 v77, vcc_lo, v77, 4
	v_add_co_ci_u32_e64 v78, null, 0, v78, vcc_lo
	;; [unrolled: 2-line block ×4, first 2 shown]
	v_cmp_eq_u64_e32 vcc_lo, 0, v[4:5]
	s_or_b32 s3, vcc_lo, s3
	s_waitcnt vmcnt(6)
	v_fmac_f32_e32 v100, v14, v18
	v_fmac_f32_e32 v94, v15, v18
	;; [unrolled: 1-line block ×8, first 2 shown]
	v_fma_f32 v15, -v15, v19, v100
	v_fmac_f32_e32 v94, v14, v19
	v_fma_f32 v14, -v17, v19, v99
	v_fmac_f32_e32 v84, v16, v19
	;; [unrolled: 2-line block ×4, first 2 shown]
	v_fmac_f32_e32 v15, v6, v20
	v_fmac_f32_e32 v94, v7, v20
	v_fmac_f32_e32 v14, v8, v20
	v_fmac_f32_e32 v84, v9, v20
	s_waitcnt vmcnt(4)
	v_fmac_f32_e32 v11, v26, v20
	v_fmac_f32_e32 v96, v27, v20
	;; [unrolled: 1-line block ×4, first 2 shown]
	v_fma_f32 v7, -v7, v21, v15
	v_fmac_f32_e32 v94, v6, v21
	v_fma_f32 v6, -v9, v21, v14
	v_fmac_f32_e32 v84, v8, v21
	;; [unrolled: 2-line block ×4, first 2 shown]
	s_waitcnt vmcnt(3)
	v_fmac_f32_e32 v7, v30, v22
	v_fmac_f32_e32 v94, v31, v22
	;; [unrolled: 1-line block ×4, first 2 shown]
	s_waitcnt vmcnt(2)
	v_fmac_f32_e32 v8, v34, v22
	v_fmac_f32_e32 v96, v35, v22
	;; [unrolled: 1-line block ×4, first 2 shown]
	v_fma_f32 v7, -v31, v23, v7
	v_fmac_f32_e32 v94, v30, v23
	v_fma_f32 v6, -v33, v23, v6
	v_fmac_f32_e32 v84, v32, v23
	v_fma_f32 v8, -v35, v23, v8
	v_fmac_f32_e32 v96, v34, v23
	v_fma_f32 v9, -v37, v23, v9
	v_fmac_f32_e32 v95, v36, v23
	s_waitcnt vmcnt(1)
	v_fmac_f32_e32 v7, v38, v24
	v_fmac_f32_e32 v94, v39, v24
	;; [unrolled: 1-line block ×4, first 2 shown]
	s_waitcnt vmcnt(0)
	v_fmac_f32_e32 v8, v42, v24
	v_fmac_f32_e32 v96, v43, v24
	;; [unrolled: 1-line block ×4, first 2 shown]
	v_fma_f32 v100, -v39, v25, v7
	v_fmac_f32_e32 v94, v38, v25
	v_fma_f32 v99, -v41, v25, v6
	v_fmac_f32_e32 v84, v40, v25
	;; [unrolled: 2-line block ×4, first 2 shown]
	s_andn2_b32 exec_lo, exec_lo, s3
	s_cbranch_execnz .LBB30_27
; %bb.28:
	s_or_b32 exec_lo, exec_lo, s3
.LBB30_29:
	s_or_b32 exec_lo, exec_lo, s0
	s_mov_b32 s0, exec_lo
	v_cmpx_lt_u64_e32 11, v[0:1]
	s_cbranch_execz .LBB30_33
; %bb.30:
	v_lshlrev_b64 v[0:1], 2, v[77:78]
	s_mov_b32 s3, 0
	v_add_co_u32 v0, vcc_lo, s12, v0
	v_add_co_ci_u32_e64 v1, null, s13, v1, vcc_lo
	v_add_co_u32 v36, vcc_lo, v0, 32
	v_add_co_ci_u32_e64 v37, null, 0, v1, vcc_lo
.LBB30_31:                              ; =>This Inner Loop Header: Depth=1
	global_load_dword v71, v[36:37], off offset:-32
	s_clause 0xb
	global_load_dwordx4 v[16:19], v[81:82], off offset:48
	global_load_dwordx4 v[24:27], v[81:82], off offset:32
	global_load_dwordx4 v[32:35], v[81:82], off offset:16
	global_load_dwordx4 v[39:42], v[81:82], off
	global_load_dwordx4 v[12:15], v[81:82], off offset:112
	global_load_dwordx4 v[20:23], v[81:82], off offset:96
	;; [unrolled: 1-line block ×8, first 2 shown]
	s_clause 0x2
	global_load_dword v83, v[36:37], off offset:-16
	global_load_dword v38, v[36:37], off
	global_load_dword v113, v[36:37], off offset:16
	s_clause 0x7
	global_load_dwordx4 v[51:54], v[81:82], off offset:624
	global_load_dwordx4 v[55:58], v[81:82], off offset:608
	global_load_dwordx4 v[59:62], v[81:82], off offset:592
	global_load_dwordx4 v[63:66], v[81:82], off offset:576
	global_load_dwordx4 v[67:70], v[81:82], off offset:1072
	global_load_dwordx4 v[85:88], v[81:82], off offset:1056
	global_load_dwordx4 v[89:92], v[81:82], off offset:1040
	global_load_dwordx4 v[101:104], v[81:82], off offset:1024
	s_waitcnt vmcnt(23)
	v_subrev_nc_u32_e32 v71, s2, v71
	v_lshlrev_b32_e32 v105, 2, v71
	v_ashrrev_i32_e32 v106, 31, v105
	s_waitcnt vmcnt(10)
	v_subrev_nc_u32_e32 v83, s2, v83
	v_lshlrev_b64 v[105:106], 3, v[105:106]
	v_add_co_u32 v109, vcc_lo, s6, v105
	v_add_co_ci_u32_e64 v110, null, s7, v106, vcc_lo
	s_clause 0x1
	global_load_dwordx4 v[105:108], v[109:110], off
	global_load_dwordx4 v[109:112], v[109:110], off offset:16
	s_waitcnt vmcnt(1)
	v_fmac_f32_e32 v96, v33, v105
	v_fmac_f32_e32 v98, v32, v105
	;; [unrolled: 1-line block ×6, first 2 shown]
	v_fma_f32 v98, -v33, v106, v98
	v_fmac_f32_e32 v84, v42, v105
	v_fmac_f32_e32 v97, v34, v105
	;; [unrolled: 1-line block ×5, first 2 shown]
	v_fma_f32 v71, -v40, v106, v100
	v_fmac_f32_e32 v94, v39, v106
	v_fma_f32 v99, -v42, v106, v99
	v_fmac_f32_e32 v96, v16, v108
	v_fmac_f32_e32 v84, v41, v106
	v_fma_f32 v97, -v35, v106, v97
	v_fmac_f32_e32 v95, v34, v106
	v_fma_f32 v106, -v17, v108, v98
	s_waitcnt vmcnt(0)
	v_fmac_f32_e32 v96, v29, v109
	v_fmac_f32_e32 v71, v24, v107
	v_fmac_f32_e32 v94, v25, v107
	v_fmac_f32_e32 v99, v26, v107
	v_fmac_f32_e32 v84, v27, v107
	v_fmac_f32_e32 v97, v18, v107
	v_fmac_f32_e32 v95, v19, v107
	v_fmac_f32_e32 v106, v28, v109
	v_fmac_f32_e32 v96, v28, v110
	v_fma_f32 v71, -v25, v108, v71
	v_fmac_f32_e32 v94, v24, v108
	v_fma_f32 v105, -v27, v108, v99
	v_fmac_f32_e32 v84, v26, v108
	v_fma_f32 v107, -v19, v108, v97
	v_fmac_f32_e32 v95, v18, v108
	v_fma_f32 v106, -v29, v110, v106
	v_fmac_f32_e32 v96, v13, v111
	v_fmac_f32_e32 v71, v43, v109
	v_fmac_f32_e32 v94, v44, v109
	;; [unrolled: 1-line block ×8, first 2 shown]
	v_lshlrev_b32_e32 v12, 2, v83
	v_fma_f32 v71, -v44, v110, v71
	v_fmac_f32_e32 v94, v43, v110
	v_fma_f32 v105, -v46, v110, v105
	v_fmac_f32_e32 v84, v45, v110
	;; [unrolled: 2-line block ×3, first 2 shown]
	v_fma_f32 v110, -v13, v112, v106
	v_ashrrev_i32_e32 v13, 31, v12
	v_fmac_f32_e32 v105, v22, v111
	v_fmac_f32_e32 v71, v20, v111
	;; [unrolled: 1-line block ×4, first 2 shown]
	v_lshlrev_b64 v[12:13], 3, v[12:13]
	v_fma_f32 v109, -v23, v112, v105
	v_fmac_f32_e32 v107, v14, v111
	v_fmac_f32_e32 v95, v15, v111
	s_clause 0x2
	global_load_dwordx4 v[39:42], v[81:82], off offset:1136
	global_load_dwordx4 v[32:35], v[81:82], off offset:1120
	;; [unrolled: 1-line block ×3, first 2 shown]
	v_add_co_u32 v105, vcc_lo, s6, v12
	v_add_co_ci_u32_e64 v106, null, s7, v13, vcc_lo
	s_clause 0x3
	global_load_dwordx4 v[16:19], v[81:82], off offset:1088
	global_load_dwordx4 v[97:100], v[81:82], off offset:1584
	;; [unrolled: 1-line block ×4, first 2 shown]
	v_fma_f32 v71, -v21, v112, v71
	v_fmac_f32_e32 v94, v20, v112
	v_fmac_f32_e32 v84, v22, v112
	global_load_dwordx4 v[20:23], v[81:82], off offset:1536
	v_fma_f32 v111, -v15, v112, v107
	v_fmac_f32_e32 v95, v14, v112
	s_clause 0x1
	global_load_dwordx4 v[12:15], v[105:106], off
	global_load_dwordx4 v[105:108], v[105:106], off offset:16
	s_waitcnt vmcnt(1)
	v_fmac_f32_e32 v96, v9, v12
	v_fmac_f32_e32 v71, v47, v12
	;; [unrolled: 1-line block ×9, first 2 shown]
	v_subrev_nc_u32_e32 v12, s2, v38
	v_fma_f32 v71, -v48, v13, v71
	v_fmac_f32_e32 v94, v47, v13
	v_fma_f32 v83, -v50, v13, v109
	v_fmac_f32_e32 v84, v49, v13
	v_fma_f32 v109, -v9, v13, v110
	v_fma_f32 v110, -v11, v13, v111
	v_fmac_f32_e32 v95, v10, v13
	v_subrev_nc_u32_e32 v13, s2, v113
	v_lshlrev_b32_e32 v12, 2, v12
	v_fmac_f32_e32 v96, v1, v14
	v_fmac_f32_e32 v109, v0, v14
	;; [unrolled: 1-line block ×6, first 2 shown]
	v_lshlrev_b32_e32 v0, 2, v13
	v_ashrrev_i32_e32 v13, 31, v12
	v_fma_f32 v38, -v1, v15, v109
	v_fma_f32 v111, -v3, v15, v110
	v_fmac_f32_e32 v95, v2, v15
	v_ashrrev_i32_e32 v1, 31, v0
	v_lshlrev_b64 v[2:3], 3, v[12:13]
	v_fmac_f32_e32 v94, v5, v14
	v_fmac_f32_e32 v83, v6, v14
	;; [unrolled: 1-line block ×3, first 2 shown]
	v_lshlrev_b64 v[0:1], 3, v[0:1]
	s_clause 0x1
	global_load_dwordx4 v[47:50], v[81:82], off offset:1600
	global_load_dwordx4 v[8:11], v[81:82], off offset:1616
	v_add_co_u32 v12, vcc_lo, s6, v2
	v_add_co_ci_u32_e64 v13, null, s7, v3, vcc_lo
	v_add_co_u32 v109, vcc_lo, s6, v0
	v_fma_f32 v71, -v5, v15, v71
	v_fmac_f32_e32 v94, v4, v15
	v_fma_f32 v83, -v7, v15, v83
	v_fmac_f32_e32 v84, v6, v15
	global_load_dwordx4 v[4:7], v[81:82], off offset:1632
	v_add_co_ci_u32_e64 v110, null, s7, v1, vcc_lo
	s_clause 0x1
	global_load_dwordx4 v[0:3], v[12:13], off
	global_load_dwordx4 v[12:15], v[12:13], off offset:16
	s_waitcnt vmcnt(5)
	v_fmac_f32_e32 v71, v63, v105
	v_fmac_f32_e32 v94, v64, v105
	;; [unrolled: 1-line block ×5, first 2 shown]
	v_fma_f32 v71, -v64, v106, v71
	v_fmac_f32_e32 v94, v63, v106
	v_fma_f32 v83, -v66, v106, v83
	v_fmac_f32_e32 v84, v65, v106
	global_load_dwordx4 v[63:66], v[109:110], off
	v_fmac_f32_e32 v96, v60, v105
	v_fmac_f32_e32 v111, v61, v105
	;; [unrolled: 1-line block ×3, first 2 shown]
	v_fma_f32 v38, -v60, v106, v38
	v_fmac_f32_e32 v71, v55, v107
	v_fmac_f32_e32 v96, v59, v106
	v_fma_f32 v105, -v62, v106, v111
	v_fmac_f32_e32 v95, v61, v106
	global_load_dwordx4 v[59:62], v[109:110], off offset:16
	v_fmac_f32_e32 v94, v56, v107
	v_fmac_f32_e32 v83, v57, v107
	;; [unrolled: 1-line block ×3, first 2 shown]
	v_fma_f32 v71, -v56, v108, v71
	v_fmac_f32_e32 v38, v51, v107
	v_fmac_f32_e32 v94, v55, v108
	v_fma_f32 v83, -v58, v108, v83
	v_fmac_f32_e32 v84, v57, v108
	global_load_dwordx4 v[55:58], v[81:82], off offset:1648
	v_fmac_f32_e32 v96, v52, v107
	v_fmac_f32_e32 v105, v53, v107
	;; [unrolled: 1-line block ×3, first 2 shown]
	v_fma_f32 v38, -v52, v108, v38
	v_add_co_u32 v81, vcc_lo, 0x800, v81
	v_fmac_f32_e32 v96, v51, v108
	v_fma_f32 v51, -v54, v108, v105
	v_fmac_f32_e32 v95, v53, v108
	v_add_co_ci_u32_e64 v82, null, 0, v82, vcc_lo
	v_add_co_u32 v77, vcc_lo, v77, 16
	v_add_co_ci_u32_e64 v78, null, 0, v78, vcc_lo
	v_add_co_u32 v36, vcc_lo, v36, 64
	v_add_co_ci_u32_e64 v37, null, 0, v37, vcc_lo
	v_cmp_ge_i64_e32 vcc_lo, v[77:78], v[79:80]
	s_or_b32 s3, vcc_lo, s3
	s_waitcnt vmcnt(4)
	v_fmac_f32_e32 v71, v101, v0
	v_fmac_f32_e32 v94, v102, v0
	v_fmac_f32_e32 v83, v103, v0
	v_fmac_f32_e32 v84, v104, v0
	v_fmac_f32_e32 v38, v89, v0
	v_fmac_f32_e32 v96, v90, v0
	v_fmac_f32_e32 v51, v91, v0
	v_fmac_f32_e32 v95, v92, v0
	v_fma_f32 v0, -v102, v1, v71
	v_fmac_f32_e32 v94, v101, v1
	v_fma_f32 v52, -v104, v1, v83
	v_fmac_f32_e32 v84, v103, v1
	v_fma_f32 v38, -v90, v1, v38
	v_fmac_f32_e32 v96, v89, v1
	v_fma_f32 v51, -v92, v1, v51
	v_fmac_f32_e32 v95, v91, v1
	v_fmac_f32_e32 v0, v85, v2
	v_fmac_f32_e32 v94, v86, v2
	v_fmac_f32_e32 v52, v87, v2
	v_fmac_f32_e32 v84, v88, v2
	v_fmac_f32_e32 v38, v67, v2
	v_fmac_f32_e32 v96, v68, v2
	v_fmac_f32_e32 v51, v69, v2
	v_fmac_f32_e32 v95, v70, v2
	v_fma_f32 v0, -v86, v3, v0
	v_fmac_f32_e32 v94, v85, v3
	v_fma_f32 v1, -v88, v3, v52
	v_fmac_f32_e32 v84, v87, v3
	v_fma_f32 v2, -v68, v3, v38
	v_fmac_f32_e32 v96, v67, v3
	v_fma_f32 v38, -v70, v3, v51
	v_fmac_f32_e32 v95, v69, v3
	s_waitcnt vmcnt(3)
	v_fmac_f32_e32 v0, v16, v12
	v_fmac_f32_e32 v94, v17, v12
	v_fmac_f32_e32 v1, v18, v12
	v_fmac_f32_e32 v84, v19, v12
	v_fmac_f32_e32 v2, v24, v12
	v_fmac_f32_e32 v96, v25, v12
	v_fmac_f32_e32 v38, v26, v12
	v_fmac_f32_e32 v95, v27, v12
	v_fma_f32 v0, -v17, v13, v0
	v_fmac_f32_e32 v94, v16, v13
	v_fma_f32 v1, -v19, v13, v1
	v_fmac_f32_e32 v84, v18, v13
	v_fma_f32 v2, -v25, v13, v2
	v_fmac_f32_e32 v96, v24, v13
	v_fma_f32 v3, -v27, v13, v38
	v_fmac_f32_e32 v95, v26, v13
	v_fmac_f32_e32 v0, v32, v14
	v_fmac_f32_e32 v94, v33, v14
	v_fmac_f32_e32 v1, v34, v14
	v_fmac_f32_e32 v84, v35, v14
	v_fmac_f32_e32 v2, v39, v14
	v_fmac_f32_e32 v96, v40, v14
	v_fmac_f32_e32 v3, v41, v14
	v_fmac_f32_e32 v95, v42, v14
	v_fma_f32 v0, -v33, v15, v0
	v_fmac_f32_e32 v94, v32, v15
	v_fma_f32 v1, -v35, v15, v1
	v_fmac_f32_e32 v84, v34, v15
	v_fma_f32 v2, -v40, v15, v2
	v_fmac_f32_e32 v96, v39, v15
	v_fma_f32 v3, -v42, v15, v3
	v_fmac_f32_e32 v95, v41, v15
	;; [unrolled: 33-line block ×3, first 2 shown]
	s_waitcnt vmcnt(1)
	v_fmac_f32_e32 v0, v47, v59
	v_fmac_f32_e32 v94, v48, v59
	v_fmac_f32_e32 v1, v49, v59
	v_fmac_f32_e32 v84, v50, v59
	v_fmac_f32_e32 v2, v8, v59
	v_fmac_f32_e32 v96, v9, v59
	v_fmac_f32_e32 v3, v10, v59
	v_fmac_f32_e32 v95, v11, v59
	v_fma_f32 v0, -v48, v60, v0
	v_fmac_f32_e32 v94, v47, v60
	v_fma_f32 v1, -v50, v60, v1
	v_fmac_f32_e32 v84, v49, v60
	;; [unrolled: 2-line block ×4, first 2 shown]
	v_fmac_f32_e32 v0, v4, v61
	v_fmac_f32_e32 v94, v5, v61
	;; [unrolled: 1-line block ×4, first 2 shown]
	s_waitcnt vmcnt(0)
	v_fmac_f32_e32 v2, v55, v61
	v_fmac_f32_e32 v96, v56, v61
	;; [unrolled: 1-line block ×4, first 2 shown]
	v_fma_f32 v100, -v5, v62, v0
	v_fmac_f32_e32 v94, v4, v62
	v_fma_f32 v99, -v7, v62, v1
	v_fmac_f32_e32 v84, v6, v62
	;; [unrolled: 2-line block ×4, first 2 shown]
	s_andn2_b32 exec_lo, exec_lo, s3
	s_cbranch_execnz .LBB30_31
; %bb.32:
	s_or_b32 exec_lo, exec_lo, s3
.LBB30_33:
	s_or_b32 exec_lo, exec_lo, s0
.LBB30_34:
	s_or_b32 exec_lo, exec_lo, s1
.LBB30_35:
	v_mbcnt_lo_u32_b32 v0, -1, 0
	v_xor_b32_e32 v1, 2, v0
	v_cmp_gt_i32_e32 vcc_lo, 32, v1
	v_cndmask_b32_e32 v1, v0, v1, vcc_lo
	v_lshlrev_b32_e32 v1, 2, v1
	ds_bpermute_b32 v2, v1, v100
	ds_bpermute_b32 v3, v1, v94
	;; [unrolled: 1-line block ×8, first 2 shown]
	v_xor_b32_e32 v1, 1, v0
	v_cmp_gt_i32_e32 vcc_lo, 32, v1
	v_cndmask_b32_e32 v0, v0, v1, vcc_lo
	v_cmp_eq_u32_e32 vcc_lo, 3, v93
	s_waitcnt lgkmcnt(6)
	v_add_f32_e32 v1, v94, v3
	v_lshlrev_b32_e32 v15, 2, v0
	v_add_f32_e32 v0, v100, v2
	s_waitcnt lgkmcnt(5)
	v_add_f32_e32 v2, v99, v4
	s_waitcnt lgkmcnt(4)
	;; [unrolled: 2-line block ×6, first 2 shown]
	v_add_f32_e32 v7, v95, v9
	ds_bpermute_b32 v8, v15, v0
	ds_bpermute_b32 v9, v15, v1
	;; [unrolled: 1-line block ×8, first 2 shown]
	s_and_b32 exec_lo, exec_lo, vcc_lo
	s_cbranch_execz .LBB30_8
; %bb.36:
	s_load_dwordx2 s[2:3], s[4:5], 0x50
	s_waitcnt lgkmcnt(0)
	v_add_f32_e32 v8, v0, v8
	v_add_f32_e32 v0, v1, v9
	;; [unrolled: 1-line block ×8, first 2 shown]
	v_mul_f32_e64 v4, v0, -v75
	v_mul_f32_e32 v5, v74, v0
	v_mul_f32_e64 v6, v1, -v75
	v_mul_f32_e32 v7, v74, v1
	v_mul_f32_e64 v0, v2, -v75
	v_mul_f32_e32 v1, v74, v2
	v_mul_f32_e64 v2, v3, -v75
	v_mul_f32_e32 v3, v74, v3
	v_cmp_eq_f32_e32 vcc_lo, 0, v72
	v_cmp_eq_f32_e64 s0, 0, v73
	v_fmac_f32_e32 v4, v74, v8
	v_fmac_f32_e32 v5, v75, v8
	v_lshlrev_b32_e32 v8, 2, v76
	v_fmac_f32_e32 v6, v74, v9
	v_fmac_f32_e32 v7, v75, v9
	;; [unrolled: 1-line block ×6, first 2 shown]
	s_and_b32 s0, vcc_lo, s0
	s_and_saveexec_b32 s1, s0
	s_xor_b32 s0, exec_lo, s1
	s_cbranch_execz .LBB30_38
; %bb.37:
	v_ashrrev_i32_e32 v9, 31, v8
                                        ; implicit-def: $vgpr72_vgpr73
	v_lshlrev_b64 v[8:9], 3, v[8:9]
	v_add_co_u32 v8, vcc_lo, s2, v8
	v_add_co_ci_u32_e64 v9, null, s3, v9, vcc_lo
	global_store_dwordx4 v[8:9], v[4:7], off
	global_store_dwordx4 v[8:9], v[0:3], off offset:16
                                        ; implicit-def: $vgpr4
                                        ; implicit-def: $vgpr8
                                        ; implicit-def: $vgpr0
.LBB30_38:
	s_andn2_saveexec_b32 s0, s0
	s_cbranch_execz .LBB30_8
; %bb.39:
	v_ashrrev_i32_e32 v9, 31, v8
	v_lshlrev_b64 v[8:9], 3, v[8:9]
	v_add_co_u32 v16, vcc_lo, s2, v8
	v_add_co_ci_u32_e64 v17, null, s3, v9, vcc_lo
	s_clause 0x1
	global_load_dwordx4 v[8:11], v[16:17], off
	global_load_dwordx4 v[12:15], v[16:17], off offset:16
	s_waitcnt vmcnt(1)
	v_fmac_f32_e32 v4, v72, v8
	v_fmac_f32_e32 v5, v73, v8
	;; [unrolled: 1-line block ×4, first 2 shown]
	s_waitcnt vmcnt(0)
	v_fmac_f32_e32 v0, v72, v12
	v_fmac_f32_e32 v1, v73, v12
	;; [unrolled: 1-line block ×4, first 2 shown]
	v_fma_f32 v4, -v73, v9, v4
	v_fmac_f32_e32 v5, v72, v9
	v_fma_f32 v6, -v73, v11, v6
	v_fmac_f32_e32 v7, v72, v11
	;; [unrolled: 2-line block ×4, first 2 shown]
	global_store_dwordx4 v[16:17], v[4:7], off
	global_store_dwordx4 v[16:17], v[0:3], off offset:16
	s_endpgm
	.section	.rodata,"a",@progbits
	.p2align	6, 0x0
	.amdhsa_kernel _ZN9rocsparseL18bsrxmvn_4x4_kernelILj128ELj4E21rocsparse_complex_numIfEliS2_S2_S2_EEvT3_20rocsparse_direction_NS_24const_host_device_scalarIT1_EES3_PKS3_PKT2_SC_S9_PKT4_PKT5_S7_PT6_21rocsparse_index_base_b
		.amdhsa_group_segment_fixed_size 0
		.amdhsa_private_segment_fixed_size 0
		.amdhsa_kernarg_size 96
		.amdhsa_user_sgpr_count 6
		.amdhsa_user_sgpr_private_segment_buffer 1
		.amdhsa_user_sgpr_dispatch_ptr 0
		.amdhsa_user_sgpr_queue_ptr 0
		.amdhsa_user_sgpr_kernarg_segment_ptr 1
		.amdhsa_user_sgpr_dispatch_id 0
		.amdhsa_user_sgpr_flat_scratch_init 0
		.amdhsa_user_sgpr_private_segment_size 0
		.amdhsa_wavefront_size32 1
		.amdhsa_uses_dynamic_stack 0
		.amdhsa_system_sgpr_private_segment_wavefront_offset 0
		.amdhsa_system_sgpr_workgroup_id_x 1
		.amdhsa_system_sgpr_workgroup_id_y 0
		.amdhsa_system_sgpr_workgroup_id_z 0
		.amdhsa_system_sgpr_workgroup_info 0
		.amdhsa_system_vgpr_workitem_id 0
		.amdhsa_next_free_vgpr 138
		.amdhsa_next_free_sgpr 16
		.amdhsa_reserve_vcc 1
		.amdhsa_reserve_flat_scratch 0
		.amdhsa_float_round_mode_32 0
		.amdhsa_float_round_mode_16_64 0
		.amdhsa_float_denorm_mode_32 3
		.amdhsa_float_denorm_mode_16_64 3
		.amdhsa_dx10_clamp 1
		.amdhsa_ieee_mode 1
		.amdhsa_fp16_overflow 0
		.amdhsa_workgroup_processor_mode 1
		.amdhsa_memory_ordered 1
		.amdhsa_forward_progress 1
		.amdhsa_shared_vgpr_count 0
		.amdhsa_exception_fp_ieee_invalid_op 0
		.amdhsa_exception_fp_denorm_src 0
		.amdhsa_exception_fp_ieee_div_zero 0
		.amdhsa_exception_fp_ieee_overflow 0
		.amdhsa_exception_fp_ieee_underflow 0
		.amdhsa_exception_fp_ieee_inexact 0
		.amdhsa_exception_int_div_zero 0
	.end_amdhsa_kernel
	.section	.text._ZN9rocsparseL18bsrxmvn_4x4_kernelILj128ELj4E21rocsparse_complex_numIfEliS2_S2_S2_EEvT3_20rocsparse_direction_NS_24const_host_device_scalarIT1_EES3_PKS3_PKT2_SC_S9_PKT4_PKT5_S7_PT6_21rocsparse_index_base_b,"axG",@progbits,_ZN9rocsparseL18bsrxmvn_4x4_kernelILj128ELj4E21rocsparse_complex_numIfEliS2_S2_S2_EEvT3_20rocsparse_direction_NS_24const_host_device_scalarIT1_EES3_PKS3_PKT2_SC_S9_PKT4_PKT5_S7_PT6_21rocsparse_index_base_b,comdat
.Lfunc_end30:
	.size	_ZN9rocsparseL18bsrxmvn_4x4_kernelILj128ELj4E21rocsparse_complex_numIfEliS2_S2_S2_EEvT3_20rocsparse_direction_NS_24const_host_device_scalarIT1_EES3_PKS3_PKT2_SC_S9_PKT4_PKT5_S7_PT6_21rocsparse_index_base_b, .Lfunc_end30-_ZN9rocsparseL18bsrxmvn_4x4_kernelILj128ELj4E21rocsparse_complex_numIfEliS2_S2_S2_EEvT3_20rocsparse_direction_NS_24const_host_device_scalarIT1_EES3_PKS3_PKT2_SC_S9_PKT4_PKT5_S7_PT6_21rocsparse_index_base_b
                                        ; -- End function
	.set _ZN9rocsparseL18bsrxmvn_4x4_kernelILj128ELj4E21rocsparse_complex_numIfEliS2_S2_S2_EEvT3_20rocsparse_direction_NS_24const_host_device_scalarIT1_EES3_PKS3_PKT2_SC_S9_PKT4_PKT5_S7_PT6_21rocsparse_index_base_b.num_vgpr, 138
	.set _ZN9rocsparseL18bsrxmvn_4x4_kernelILj128ELj4E21rocsparse_complex_numIfEliS2_S2_S2_EEvT3_20rocsparse_direction_NS_24const_host_device_scalarIT1_EES3_PKS3_PKT2_SC_S9_PKT4_PKT5_S7_PT6_21rocsparse_index_base_b.num_agpr, 0
	.set _ZN9rocsparseL18bsrxmvn_4x4_kernelILj128ELj4E21rocsparse_complex_numIfEliS2_S2_S2_EEvT3_20rocsparse_direction_NS_24const_host_device_scalarIT1_EES3_PKS3_PKT2_SC_S9_PKT4_PKT5_S7_PT6_21rocsparse_index_base_b.numbered_sgpr, 16
	.set _ZN9rocsparseL18bsrxmvn_4x4_kernelILj128ELj4E21rocsparse_complex_numIfEliS2_S2_S2_EEvT3_20rocsparse_direction_NS_24const_host_device_scalarIT1_EES3_PKS3_PKT2_SC_S9_PKT4_PKT5_S7_PT6_21rocsparse_index_base_b.num_named_barrier, 0
	.set _ZN9rocsparseL18bsrxmvn_4x4_kernelILj128ELj4E21rocsparse_complex_numIfEliS2_S2_S2_EEvT3_20rocsparse_direction_NS_24const_host_device_scalarIT1_EES3_PKS3_PKT2_SC_S9_PKT4_PKT5_S7_PT6_21rocsparse_index_base_b.private_seg_size, 0
	.set _ZN9rocsparseL18bsrxmvn_4x4_kernelILj128ELj4E21rocsparse_complex_numIfEliS2_S2_S2_EEvT3_20rocsparse_direction_NS_24const_host_device_scalarIT1_EES3_PKS3_PKT2_SC_S9_PKT4_PKT5_S7_PT6_21rocsparse_index_base_b.uses_vcc, 1
	.set _ZN9rocsparseL18bsrxmvn_4x4_kernelILj128ELj4E21rocsparse_complex_numIfEliS2_S2_S2_EEvT3_20rocsparse_direction_NS_24const_host_device_scalarIT1_EES3_PKS3_PKT2_SC_S9_PKT4_PKT5_S7_PT6_21rocsparse_index_base_b.uses_flat_scratch, 0
	.set _ZN9rocsparseL18bsrxmvn_4x4_kernelILj128ELj4E21rocsparse_complex_numIfEliS2_S2_S2_EEvT3_20rocsparse_direction_NS_24const_host_device_scalarIT1_EES3_PKS3_PKT2_SC_S9_PKT4_PKT5_S7_PT6_21rocsparse_index_base_b.has_dyn_sized_stack, 0
	.set _ZN9rocsparseL18bsrxmvn_4x4_kernelILj128ELj4E21rocsparse_complex_numIfEliS2_S2_S2_EEvT3_20rocsparse_direction_NS_24const_host_device_scalarIT1_EES3_PKS3_PKT2_SC_S9_PKT4_PKT5_S7_PT6_21rocsparse_index_base_b.has_recursion, 0
	.set _ZN9rocsparseL18bsrxmvn_4x4_kernelILj128ELj4E21rocsparse_complex_numIfEliS2_S2_S2_EEvT3_20rocsparse_direction_NS_24const_host_device_scalarIT1_EES3_PKS3_PKT2_SC_S9_PKT4_PKT5_S7_PT6_21rocsparse_index_base_b.has_indirect_call, 0
	.section	.AMDGPU.csdata,"",@progbits
; Kernel info:
; codeLenInByte = 6880
; TotalNumSgprs: 18
; NumVgprs: 138
; ScratchSize: 0
; MemoryBound: 0
; FloatMode: 240
; IeeeMode: 1
; LDSByteSize: 0 bytes/workgroup (compile time only)
; SGPRBlocks: 0
; VGPRBlocks: 17
; NumSGPRsForWavesPerEU: 18
; NumVGPRsForWavesPerEU: 138
; Occupancy: 7
; WaveLimiterHint : 1
; COMPUTE_PGM_RSRC2:SCRATCH_EN: 0
; COMPUTE_PGM_RSRC2:USER_SGPR: 6
; COMPUTE_PGM_RSRC2:TRAP_HANDLER: 0
; COMPUTE_PGM_RSRC2:TGID_X_EN: 1
; COMPUTE_PGM_RSRC2:TGID_Y_EN: 0
; COMPUTE_PGM_RSRC2:TGID_Z_EN: 0
; COMPUTE_PGM_RSRC2:TIDIG_COMP_CNT: 0
	.section	.text._ZN9rocsparseL18bsrxmvn_4x4_kernelILj128ELj8E21rocsparse_complex_numIfEliS2_S2_S2_EEvT3_20rocsparse_direction_NS_24const_host_device_scalarIT1_EES3_PKS3_PKT2_SC_S9_PKT4_PKT5_S7_PT6_21rocsparse_index_base_b,"axG",@progbits,_ZN9rocsparseL18bsrxmvn_4x4_kernelILj128ELj8E21rocsparse_complex_numIfEliS2_S2_S2_EEvT3_20rocsparse_direction_NS_24const_host_device_scalarIT1_EES3_PKS3_PKT2_SC_S9_PKT4_PKT5_S7_PT6_21rocsparse_index_base_b,comdat
	.globl	_ZN9rocsparseL18bsrxmvn_4x4_kernelILj128ELj8E21rocsparse_complex_numIfEliS2_S2_S2_EEvT3_20rocsparse_direction_NS_24const_host_device_scalarIT1_EES3_PKS3_PKT2_SC_S9_PKT4_PKT5_S7_PT6_21rocsparse_index_base_b ; -- Begin function _ZN9rocsparseL18bsrxmvn_4x4_kernelILj128ELj8E21rocsparse_complex_numIfEliS2_S2_S2_EEvT3_20rocsparse_direction_NS_24const_host_device_scalarIT1_EES3_PKS3_PKT2_SC_S9_PKT4_PKT5_S7_PT6_21rocsparse_index_base_b
	.p2align	8
	.type	_ZN9rocsparseL18bsrxmvn_4x4_kernelILj128ELj8E21rocsparse_complex_numIfEliS2_S2_S2_EEvT3_20rocsparse_direction_NS_24const_host_device_scalarIT1_EES3_PKS3_PKT2_SC_S9_PKT4_PKT5_S7_PT6_21rocsparse_index_base_b,@function
_ZN9rocsparseL18bsrxmvn_4x4_kernelILj128ELj8E21rocsparse_complex_numIfEliS2_S2_S2_EEvT3_20rocsparse_direction_NS_24const_host_device_scalarIT1_EES3_PKS3_PKT2_SC_S9_PKT4_PKT5_S7_PT6_21rocsparse_index_base_b: ; @_ZN9rocsparseL18bsrxmvn_4x4_kernelILj128ELj8E21rocsparse_complex_numIfEliS2_S2_S2_EEvT3_20rocsparse_direction_NS_24const_host_device_scalarIT1_EES3_PKS3_PKT2_SC_S9_PKT4_PKT5_S7_PT6_21rocsparse_index_base_b
; %bb.0:
	s_clause 0x2
	s_load_dwordx2 s[2:3], s[4:5], 0x58
	s_load_dwordx2 s[0:1], s[4:5], 0x8
	s_load_dwordx2 s[8:9], s[4:5], 0x48
	s_add_u32 s7, s4, 8
	s_addc_u32 s10, s5, 0
	s_add_u32 s11, s4, 0x48
	s_addc_u32 s12, s5, 0
	s_waitcnt lgkmcnt(0)
	s_bitcmp1_b32 s3, 0
	s_cselect_b32 s0, s7, s0
	s_cselect_b32 s1, s10, s1
	v_mov_b32_e32 v1, s0
	v_mov_b32_e32 v2, s1
	s_cselect_b32 s0, s11, s8
	s_cselect_b32 s1, s12, s9
	flat_load_dwordx2 v[78:79], v[1:2]
	v_mov_b32_e32 v1, s0
	v_mov_b32_e32 v2, s1
	flat_load_dwordx2 v[76:77], v[1:2]
	s_waitcnt vmcnt(1) lgkmcnt(1)
	v_cmp_eq_f32_e32 vcc_lo, 0, v78
	v_cmp_eq_f32_e64 s0, 0, v79
	s_and_b32 s3, vcc_lo, s0
	s_mov_b32 s0, -1
	s_and_saveexec_b32 s1, s3
	s_cbranch_execz .LBB31_2
; %bb.1:
	s_waitcnt vmcnt(0) lgkmcnt(0)
	v_cmp_neq_f32_e32 vcc_lo, 1.0, v76
	v_cmp_neq_f32_e64 s0, 0, v77
	s_or_b32 s0, vcc_lo, s0
	s_orn2_b32 s0, s0, exec_lo
.LBB31_2:
	s_or_b32 exec_lo, exec_lo, s1
	s_and_saveexec_b32 s1, s0
	s_cbranch_execz .LBB31_8
; %bb.3:
	s_clause 0x1
	s_load_dwordx2 s[8:9], s[4:5], 0x18
	s_load_dwordx2 s[0:1], s[4:5], 0x0
	v_lshrrev_b32_e32 v1, 3, v0
	v_lshl_or_b32 v80, s6, 4, v1
	s_waitcnt lgkmcnt(0)
	s_cmp_lg_u64 s[8:9], 0
	s_cbranch_scc0 .LBB31_9
; %bb.4:
	s_load_dword s3, s[4:5], 0x10
	s_mov_b32 s6, 0
                                        ; implicit-def: $vgpr1
	s_waitcnt lgkmcnt(0)
	v_cmp_gt_i32_e32 vcc_lo, s3, v80
	s_mov_b32 s3, 0
	s_and_saveexec_b32 s7, vcc_lo
	s_xor_b32 s7, exec_lo, s7
	s_cbranch_execz .LBB31_6
; %bb.5:
	v_ashrrev_i32_e32 v81, 31, v80
	s_mov_b32 s3, exec_lo
	v_lshlrev_b64 v[1:2], 2, v[80:81]
	v_add_co_u32 v1, vcc_lo, s8, v1
	v_add_co_ci_u32_e64 v2, null, s9, v2, vcc_lo
	global_load_dword v1, v[1:2], off
	s_waitcnt vmcnt(0)
	v_subrev_nc_u32_e32 v1, s2, v1
.LBB31_6:
	s_or_b32 exec_lo, exec_lo, s7
	s_and_b32 vcc_lo, exec_lo, s6
	s_cbranch_vccz .LBB31_10
.LBB31_7:
	v_cmp_gt_i32_e32 vcc_lo, s0, v80
	s_andn2_b32 s0, s3, exec_lo
	s_and_b32 s3, vcc_lo, exec_lo
	s_or_b32 s3, s0, s3
	s_and_b32 exec_lo, exec_lo, s3
	s_cbranch_execnz .LBB31_11
.LBB31_8:
	s_endpgm
.LBB31_9:
	s_mov_b32 s3, 0
                                        ; implicit-def: $vgpr1
	s_cbranch_execnz .LBB31_7
.LBB31_10:
	v_mov_b32_e32 v80, v1
	s_and_b32 exec_lo, exec_lo, s3
	s_cbranch_execz .LBB31_8
.LBB31_11:
	s_load_dwordx8 s[8:15], s[4:5], 0x20
	v_ashrrev_i32_e32 v81, 31, v80
	v_and_b32_e32 v97, 7, v0
	s_load_dwordx2 s[6:7], s[4:5], 0x40
	v_mov_b32_e32 v98, 0
	v_lshlrev_b64 v[1:2], 3, v[80:81]
	s_waitcnt lgkmcnt(0)
	v_add_co_u32 v3, vcc_lo, s8, v1
	v_add_co_ci_u32_e64 v4, null, s9, v2, vcc_lo
	v_add_co_u32 v1, vcc_lo, s10, v1
	v_add_co_ci_u32_e64 v2, null, s11, v2, vcc_lo
	v_add_co_u32 v5, vcc_lo, v3, 8
	global_load_dwordx2 v[89:90], v[3:4], off
	v_add_co_ci_u32_e64 v6, null, 0, v4, vcc_lo
	s_cmp_eq_u64 s[10:11], 0
	s_cselect_b32 vcc_lo, -1, 0
	s_cmp_eq_u32 s1, 1
	v_cndmask_b32_e32 v2, v2, v6, vcc_lo
	v_cndmask_b32_e32 v1, v1, v5, vcc_lo
	global_load_dwordx2 v[1:2], v[1:2], off
	s_waitcnt vmcnt(1)
	v_sub_co_u32 v0, vcc_lo, v89, s2
	v_subrev_co_ci_u32_e64 v3, null, 0, v90, vcc_lo
	v_add_co_u32 v81, vcc_lo, v0, v97
	v_add_co_ci_u32_e64 v82, null, 0, v3, vcc_lo
	s_waitcnt vmcnt(0)
	v_sub_co_u32 v83, vcc_lo, v1, s2
	v_lshlrev_b64 v[0:1], 7, v[81:82]
	v_subrev_co_ci_u32_e64 v84, null, 0, v2, vcc_lo
	v_add_co_u32 v85, vcc_lo, s14, v0
	v_cmp_lt_i64_e64 s0, v[81:82], v[83:84]
	v_add_co_ci_u32_e64 v86, null, s15, v1, vcc_lo
	s_cbranch_scc1 .LBB31_23
; %bb.12:
	v_mov_b32_e32 v104, 0
	v_mov_b32_e32 v101, 0
	;; [unrolled: 1-line block ×7, first 2 shown]
	s_and_saveexec_b32 s1, s0
	s_cbranch_execz .LBB31_22
; %bb.13:
	v_or_b32_e32 v0, 8, v97
	v_not_b32_e32 v3, v89
	v_not_b32_e32 v2, v90
	v_mov_b32_e32 v88, 0
	v_mov_b32_e32 v92, v86
	v_sub_co_u32 v0, s3, v0, s2
	v_sub_co_ci_u32_e64 v1, null, 0, 0, s3
	v_sub_co_u32 v4, s3, s2, v97
	v_add_co_u32 v0, vcc_lo, v0, v89
	v_add_co_ci_u32_e64 v1, null, v1, v90, vcc_lo
	v_sub_co_ci_u32_e64 v5, null, 0, 0, s3
	v_mov_b32_e32 v94, v82
	v_cmp_gt_i64_e32 vcc_lo, v[0:1], v[83:84]
	v_mov_b32_e32 v103, v88
	v_mov_b32_e32 v100, v88
	;; [unrolled: 1-line block ×5, first 2 shown]
	v_cndmask_b32_e32 v1, v84, v1, vcc_lo
	v_cndmask_b32_e32 v0, v83, v0, vcc_lo
	v_add_co_u32 v3, vcc_lo, v4, v3
	v_add_co_ci_u32_e64 v2, null, v5, v2, vcc_lo
	v_mov_b32_e32 v104, v88
	v_add_co_u32 v0, vcc_lo, v3, v0
	v_add_co_ci_u32_e64 v1, null, v2, v1, vcc_lo
	v_mov_b32_e32 v98, v88
	v_and_b32_e32 v87, 24, v0
	v_mov_b32_e32 v91, v85
	v_mov_b32_e32 v93, v81
	s_mov_b32 s3, exec_lo
	v_cmpx_ne_u64_e32 24, v[87:88]
	s_cbranch_execz .LBB31_17
; %bb.14:
	v_lshrrev_b32_e32 v2, 3, v0
	v_mov_b32_e32 v94, v82
	v_mov_b32_e32 v92, v86
	;; [unrolled: 1-line block ×4, first 2 shown]
	v_add_nc_u32_e32 v4, 1, v2
	v_lshlrev_b64 v[2:3], 2, v[81:82]
	v_mov_b32_e32 v91, v85
	v_mov_b32_e32 v104, 0
	;; [unrolled: 1-line block ×3, first 2 shown]
	v_and_b32_e32 v4, 3, v4
	v_mov_b32_e32 v99, 0
	v_add_co_u32 v2, vcc_lo, s12, v2
	v_add_co_ci_u32_e64 v3, null, s13, v3, vcc_lo
	v_sub_co_u32 v4, s8, 0, v4
	v_sub_co_ci_u32_e64 v5, null, 0, 0, s8
	v_mov_b32_e32 v102, 0
	v_mov_b32_e32 v100, 0
	;; [unrolled: 1-line block ×4, first 2 shown]
	s_mov_b32 s8, 0
.LBB31_15:                              ; =>This Inner Loop Header: Depth=1
	global_load_dword v38, v[2:3], off
	s_clause 0x7
	global_load_dwordx4 v[6:9], v[91:92], off offset:48
	global_load_dwordx4 v[10:13], v[91:92], off offset:32
	global_load_dwordx4 v[14:17], v[91:92], off offset:16
	global_load_dwordx4 v[18:21], v[91:92], off
	global_load_dwordx4 v[22:25], v[91:92], off offset:112
	global_load_dwordx4 v[26:29], v[91:92], off offset:96
	;; [unrolled: 1-line block ×4, first 2 shown]
	s_waitcnt vmcnt(8)
	v_subrev_nc_u32_e32 v38, s2, v38
	v_lshlrev_b32_e32 v38, 2, v38
	v_ashrrev_i32_e32 v39, 31, v38
	v_lshlrev_b64 v[38:39], 3, v[38:39]
	v_add_co_u32 v42, vcc_lo, s6, v38
	v_add_co_ci_u32_e64 v43, null, s7, v39, vcc_lo
	v_add_co_u32 v91, vcc_lo, 0x400, v91
	v_add_co_ci_u32_e64 v92, null, 0, v92, vcc_lo
	s_clause 0x1
	global_load_dwordx4 v[38:41], v[42:43], off
	global_load_dwordx4 v[42:45], v[42:43], off offset:16
	v_add_co_u32 v93, vcc_lo, v93, 8
	v_add_co_ci_u32_e64 v94, null, 0, v94, vcc_lo
	v_add_co_u32 v4, vcc_lo, v4, 1
	v_add_co_ci_u32_e64 v5, null, 0, v5, vcc_lo
	;; [unrolled: 2-line block ×3, first 2 shown]
	v_cmp_eq_u64_e32 vcc_lo, 0, v[4:5]
	s_or_b32 s8, vcc_lo, s8
	s_waitcnt vmcnt(1)
	v_fmac_f32_e32 v104, v18, v38
	v_fmac_f32_e32 v98, v19, v38
	;; [unrolled: 1-line block ×8, first 2 shown]
	v_fma_f32 v19, -v19, v39, v104
	v_fmac_f32_e32 v98, v18, v39
	v_fma_f32 v11, -v11, v39, v103
	v_fmac_f32_e32 v88, v10, v39
	;; [unrolled: 2-line block ×4, first 2 shown]
	v_fmac_f32_e32 v19, v20, v40
	v_fmac_f32_e32 v98, v21, v40
	;; [unrolled: 1-line block ×8, first 2 shown]
	v_fma_f32 v19, -v21, v41, v19
	v_fmac_f32_e32 v98, v20, v41
	v_fma_f32 v11, -v13, v41, v11
	v_fmac_f32_e32 v88, v12, v41
	;; [unrolled: 2-line block ×4, first 2 shown]
	s_waitcnt vmcnt(0)
	v_fmac_f32_e32 v19, v14, v42
	v_fmac_f32_e32 v98, v15, v42
	;; [unrolled: 1-line block ×8, first 2 shown]
	v_fma_f32 v13, -v15, v43, v19
	v_fmac_f32_e32 v98, v14, v43
	v_fma_f32 v7, -v7, v43, v11
	v_fmac_f32_e32 v88, v6, v43
	;; [unrolled: 2-line block ×4, first 2 shown]
	v_fmac_f32_e32 v13, v16, v44
	v_fmac_f32_e32 v98, v17, v44
	;; [unrolled: 1-line block ×8, first 2 shown]
	v_fma_f32 v104, -v17, v45, v13
	v_fmac_f32_e32 v98, v16, v45
	v_fma_f32 v103, -v9, v45, v7
	v_fmac_f32_e32 v88, v8, v45
	;; [unrolled: 2-line block ×4, first 2 shown]
	s_andn2_b32 exec_lo, exec_lo, s8
	s_cbranch_execnz .LBB31_15
; %bb.16:
	s_or_b32 exec_lo, exec_lo, s8
.LBB31_17:
	s_or_b32 exec_lo, exec_lo, s3
	s_mov_b32 s3, exec_lo
	v_cmpx_lt_u64_e32 23, v[0:1]
	s_cbranch_execz .LBB31_21
; %bb.18:
	v_lshlrev_b64 v[0:1], 2, v[93:94]
	s_mov_b32 s8, 0
	v_add_co_u32 v0, vcc_lo, s12, v0
	v_add_co_ci_u32_e64 v1, null, s13, v1, vcc_lo
	v_add_co_u32 v95, vcc_lo, v0, 64
	v_add_co_ci_u32_e64 v96, null, 0, v1, vcc_lo
.LBB31_19:                              ; =>This Inner Loop Header: Depth=1
	global_load_dword v87, v[95:96], off offset:-64
	s_clause 0xd
	global_load_dwordx4 v[28:31], v[91:92], off offset:48
	global_load_dwordx4 v[44:47], v[91:92], off offset:32
	;; [unrolled: 1-line block ×3, first 2 shown]
	global_load_dwordx4 v[48:51], v[91:92], off
	global_load_dwordx4 v[8:11], v[91:92], off offset:112
	global_load_dwordx4 v[60:63], v[91:92], off offset:96
	global_load_dwordx4 v[32:35], v[91:92], off offset:80
	global_load_dwordx4 v[105:108], v[91:92], off offset:64
	global_load_dwordx4 v[0:3], v[91:92], off offset:1072
	global_load_dwordx4 v[12:15], v[91:92], off offset:1056
	global_load_dwordx4 v[4:7], v[91:92], off offset:1040
	global_load_dwordx4 v[20:23], v[91:92], off offset:1024
	global_load_dwordx4 v[16:19], v[91:92], off offset:1136
	global_load_dwordx4 v[24:27], v[91:92], off offset:1120
	v_add_co_u32 v129, vcc_lo, 0x800, v91
	v_add_co_ci_u32_e64 v130, null, 0, v92, vcc_lo
	s_clause 0x1
	global_load_dwordx4 v[64:67], v[91:92], off offset:1104
	global_load_dwordx4 v[109:112], v[91:92], off offset:1088
	s_clause 0x2
	global_load_dword v133, v[95:96], off offset:-32
	global_load_dword v134, v[95:96], off
	global_load_dword v135, v[95:96], off offset:32
	s_clause 0x6
	global_load_dwordx4 v[40:43], v[129:130], off offset:48
	global_load_dwordx4 v[68:71], v[129:130], off offset:32
	global_load_dwordx4 v[72:75], v[129:130], off
	global_load_dwordx4 v[52:55], v[129:130], off offset:16
	global_load_dwordx4 v[56:59], v[129:130], off offset:112
	;; [unrolled: 1-line block ×4, first 2 shown]
	s_waitcnt vmcnt(26)
	v_subrev_nc_u32_e32 v87, s2, v87
	v_lshlrev_b32_e32 v121, 2, v87
	v_ashrrev_i32_e32 v122, 31, v121
	v_lshlrev_b64 v[121:122], 3, v[121:122]
	v_add_co_u32 v125, vcc_lo, s6, v121
	v_add_co_ci_u32_e64 v126, null, s7, v122, vcc_lo
	s_clause 0x1
	global_load_dwordx4 v[121:124], v[125:126], off
	global_load_dwordx4 v[125:128], v[125:126], off offset:16
	s_waitcnt vmcnt(1)
	v_fmac_f32_e32 v102, v105, v121
	v_fmac_f32_e32 v101, v60, v121
	;; [unrolled: 1-line block ×5, first 2 shown]
	v_fma_f32 v102, -v106, v122, v102
	v_fma_f32 v61, -v61, v122, v101
	v_fmac_f32_e32 v100, v105, v122
	v_fmac_f32_e32 v99, v60, v122
	;; [unrolled: 1-line block ×8, first 2 shown]
	v_fma_f32 v106, -v108, v124, v102
	v_fma_f32 v101, -v63, v124, v61
	v_fmac_f32_e32 v88, v45, v121
	v_fmac_f32_e32 v100, v107, v124
	;; [unrolled: 1-line block ×3, first 2 shown]
	s_waitcnt vmcnt(0)
	v_fmac_f32_e32 v106, v32, v125
	v_fmac_f32_e32 v101, v8, v125
	v_fma_f32 v49, -v49, v122, v104
	v_fmac_f32_e32 v98, v48, v122
	v_fma_f32 v45, -v45, v122, v103
	v_fmac_f32_e32 v88, v44, v122
	v_fmac_f32_e32 v100, v33, v125
	v_fma_f32 v33, -v33, v126, v106
	v_subrev_nc_u32_e32 v106, s2, v133
	v_fmac_f32_e32 v99, v9, v125
	v_fma_f32 v9, -v9, v126, v101
	v_fmac_f32_e32 v49, v50, v123
	v_fmac_f32_e32 v98, v51, v123
	v_fmac_f32_e32 v45, v46, v123
	v_fmac_f32_e32 v88, v47, v123
	v_fmac_f32_e32 v99, v8, v126
	v_fmac_f32_e32 v9, v10, v127
	v_lshlrev_b32_e32 v8, 2, v106
	v_fma_f32 v87, -v51, v124, v49
	v_fmac_f32_e32 v98, v50, v124
	v_fma_f32 v131, -v47, v124, v45
	v_fmac_f32_e32 v88, v46, v124
	v_fma_f32 v101, -v11, v128, v9
	v_ashrrev_i32_e32 v9, 31, v8
	v_fmac_f32_e32 v87, v36, v125
	v_fmac_f32_e32 v98, v37, v125
	;; [unrolled: 1-line block ×4, first 2 shown]
	v_lshlrev_b64 v[8:9], 3, v[8:9]
	v_subrev_nc_u32_e32 v107, s2, v134
	v_fma_f32 v37, -v37, v126, v87
	v_fmac_f32_e32 v98, v36, v126
	v_fma_f32 v29, -v29, v126, v131
	v_fmac_f32_e32 v88, v28, v126
	v_fmac_f32_e32 v100, v32, v126
	v_lshlrev_b32_e32 v106, 2, v107
	v_add_co_u32 v107, vcc_lo, s6, v8
	v_fmac_f32_e32 v37, v38, v127
	v_fmac_f32_e32 v98, v39, v127
	;; [unrolled: 1-line block ×7, first 2 shown]
	v_add_co_ci_u32_e64 v108, null, s7, v9, vcc_lo
	s_clause 0x4
	global_load_dwordx4 v[48:51], v[129:130], off offset:64
	global_load_dwordx4 v[102:105], v[129:130], off offset:1056
	global_load_dwordx4 v[44:47], v[129:130], off offset:1072
	global_load_dwordx4 v[60:63], v[129:130], off offset:1040
	global_load_dwordx4 v[121:124], v[129:130], off offset:1024
	v_fma_f32 v87, -v39, v128, v37
	v_fmac_f32_e32 v98, v38, v128
	global_load_dwordx4 v[36:39], v[129:130], off offset:1136
	v_fma_f32 v136, -v31, v128, v29
	v_fmac_f32_e32 v88, v30, v128
	global_load_dwordx4 v[28:31], v[129:130], off offset:1120
	v_fma_f32 v137, -v35, v128, v33
	v_fmac_f32_e32 v100, v34, v128
	s_clause 0x1
	global_load_dwordx4 v[32:35], v[129:130], off offset:1088
	global_load_dwordx4 v[129:132], v[129:130], off offset:1104
	v_fmac_f32_e32 v99, v10, v128
	s_clause 0x1
	global_load_dwordx4 v[8:11], v[107:108], off
	global_load_dwordx4 v[125:128], v[107:108], off offset:16
	v_subrev_nc_u32_e32 v133, s2, v135
	v_ashrrev_i32_e32 v107, 31, v106
	s_waitcnt vmcnt(1)
	v_fmac_f32_e32 v87, v20, v8
	v_fmac_f32_e32 v98, v21, v8
	;; [unrolled: 1-line block ×5, first 2 shown]
	v_fma_f32 v21, -v21, v9, v87
	v_fmac_f32_e32 v98, v20, v9
	v_lshlrev_b32_e32 v20, 2, v133
	v_fma_f32 v13, -v13, v9, v136
	v_fmac_f32_e32 v88, v12, v9
	v_fmac_f32_e32 v21, v22, v10
	;; [unrolled: 1-line block ×6, first 2 shown]
	v_fma_f32 v87, -v23, v11, v21
	v_fmac_f32_e32 v98, v22, v11
	v_ashrrev_i32_e32 v21, 31, v20
	v_lshlrev_b64 v[22:23], 3, v[106:107]
	v_fma_f32 v135, -v15, v11, v13
	v_fmac_f32_e32 v88, v14, v11
	v_fma_f32 v106, -v110, v9, v137
	v_lshlrev_b64 v[20:21], 3, v[20:21]
	v_fmac_f32_e32 v100, v109, v9
	v_add_co_u32 v22, vcc_lo, s6, v22
	v_add_co_ci_u32_e64 v23, null, s7, v23, vcc_lo
	v_add_co_u32 v133, vcc_lo, s6, v20
	v_add_co_ci_u32_e64 v134, null, s7, v21, vcc_lo
	s_clause 0x1
	global_load_dwordx4 v[12:15], v[22:23], off
	global_load_dwordx4 v[20:23], v[22:23], off offset:16
	v_fmac_f32_e32 v106, v111, v10
	v_fmac_f32_e32 v101, v24, v8
	;; [unrolled: 1-line block ×4, first 2 shown]
	s_waitcnt vmcnt(2)
	v_fmac_f32_e32 v87, v4, v125
	v_fma_f32 v110, -v112, v11, v106
	global_load_dwordx4 v[106:109], v[133:134], off
	v_fma_f32 v8, -v25, v9, v101
	v_fmac_f32_e32 v99, v24, v9
	v_fmac_f32_e32 v100, v111, v11
	v_fmac_f32_e32 v98, v5, v125
	v_fmac_f32_e32 v135, v0, v125
	v_fmac_f32_e32 v8, v26, v10
	v_fmac_f32_e32 v99, v27, v10
	v_fmac_f32_e32 v88, v1, v125
	v_fmac_f32_e32 v110, v64, v125
	v_fmac_f32_e32 v100, v65, v125
	v_fma_f32 v24, -v27, v11, v8
	v_fmac_f32_e32 v99, v26, v11
	global_load_dwordx4 v[8:11], v[133:134], off offset:16
	v_fma_f32 v5, -v5, v126, v87
	v_fmac_f32_e32 v98, v4, v126
	v_fmac_f32_e32 v24, v16, v125
	;; [unrolled: 1-line block ×3, first 2 shown]
	v_fma_f32 v1, -v1, v126, v135
	v_fmac_f32_e32 v88, v0, v126
	v_fma_f32 v0, -v65, v126, v110
	v_fmac_f32_e32 v100, v64, v126
	;; [unrolled: 2-line block ×3, first 2 shown]
	v_fmac_f32_e32 v5, v6, v127
	v_fmac_f32_e32 v98, v7, v127
	;; [unrolled: 1-line block ×8, first 2 shown]
	v_fma_f32 v5, -v7, v128, v5
	v_fmac_f32_e32 v98, v6, v128
	v_fma_f32 v1, -v3, v128, v1
	v_fmac_f32_e32 v88, v2, v128
	v_fma_f32 v0, -v67, v128, v0
	v_fmac_f32_e32 v100, v66, v128
	v_fma_f32 v2, -v19, v128, v4
	v_fmac_f32_e32 v99, v18, v128
	v_add_co_u32 v93, vcc_lo, v93, 32
	v_add_co_ci_u32_e64 v94, null, 0, v94, vcc_lo
	v_add_co_u32 v95, vcc_lo, 0x80, v95
	v_add_co_ci_u32_e64 v96, null, 0, v96, vcc_lo
	;; [unrolled: 2-line block ×3, first 2 shown]
	v_cmp_ge_i64_e32 vcc_lo, v[93:94], v[83:84]
	s_or_b32 s8, vcc_lo, s8
	s_waitcnt vmcnt(3)
	v_fmac_f32_e32 v5, v72, v12
	v_fmac_f32_e32 v98, v73, v12
	v_fmac_f32_e32 v1, v68, v12
	v_fmac_f32_e32 v88, v69, v12
	v_fmac_f32_e32 v0, v48, v12
	v_fmac_f32_e32 v100, v49, v12
	v_fmac_f32_e32 v2, v113, v12
	v_fmac_f32_e32 v99, v114, v12
	v_fma_f32 v3, -v73, v13, v5
	v_fmac_f32_e32 v98, v72, v13
	v_fma_f32 v1, -v69, v13, v1
	v_fmac_f32_e32 v88, v68, v13
	v_fma_f32 v0, -v49, v13, v0
	v_fmac_f32_e32 v100, v48, v13
	v_fma_f32 v2, -v114, v13, v2
	v_fmac_f32_e32 v99, v113, v13
	v_fmac_f32_e32 v3, v74, v14
	v_fmac_f32_e32 v98, v75, v14
	v_fmac_f32_e32 v1, v70, v14
	v_fmac_f32_e32 v88, v71, v14
	v_fmac_f32_e32 v0, v50, v14
	v_fmac_f32_e32 v100, v51, v14
	v_fmac_f32_e32 v2, v115, v14
	v_fmac_f32_e32 v99, v116, v14
	v_fma_f32 v3, -v75, v15, v3
	v_fmac_f32_e32 v98, v74, v15
	v_fma_f32 v1, -v71, v15, v1
	v_fmac_f32_e32 v88, v70, v15
	v_fma_f32 v0, -v51, v15, v0
	v_fmac_f32_e32 v100, v50, v15
	v_fma_f32 v2, -v116, v15, v2
	v_fmac_f32_e32 v99, v115, v15
	s_waitcnt vmcnt(2)
	v_fmac_f32_e32 v3, v52, v20
	v_fmac_f32_e32 v98, v53, v20
	v_fmac_f32_e32 v1, v40, v20
	v_fmac_f32_e32 v88, v41, v20
	v_fmac_f32_e32 v0, v117, v20
	v_fmac_f32_e32 v100, v118, v20
	v_fmac_f32_e32 v2, v56, v20
	v_fmac_f32_e32 v99, v57, v20
	v_fma_f32 v3, -v53, v21, v3
	v_fmac_f32_e32 v98, v52, v21
	v_fma_f32 v1, -v41, v21, v1
	v_fmac_f32_e32 v88, v40, v21
	v_fma_f32 v0, -v118, v21, v0
	v_fmac_f32_e32 v100, v117, v21
	v_fma_f32 v2, -v57, v21, v2
	v_fmac_f32_e32 v99, v56, v21
	v_fmac_f32_e32 v3, v54, v22
	v_fmac_f32_e32 v98, v55, v22
	v_fmac_f32_e32 v1, v42, v22
	v_fmac_f32_e32 v88, v43, v22
	v_fmac_f32_e32 v0, v119, v22
	v_fmac_f32_e32 v100, v120, v22
	v_fmac_f32_e32 v2, v58, v22
	v_fmac_f32_e32 v99, v59, v22
	v_fma_f32 v3, -v55, v23, v3
	v_fmac_f32_e32 v98, v54, v23
	v_fma_f32 v1, -v43, v23, v1
	v_fmac_f32_e32 v88, v42, v23
	v_fma_f32 v0, -v120, v23, v0
	v_fmac_f32_e32 v100, v119, v23
	v_fma_f32 v2, -v59, v23, v2
	v_fmac_f32_e32 v99, v58, v23
	;; [unrolled: 33-line block ×4, first 2 shown]
	s_andn2_b32 exec_lo, exec_lo, s8
	s_cbranch_execnz .LBB31_19
; %bb.20:
	s_or_b32 exec_lo, exec_lo, s8
.LBB31_21:
	s_or_b32 exec_lo, exec_lo, s3
.LBB31_22:
	s_or_b32 exec_lo, exec_lo, s1
	s_cbranch_execz .LBB31_24
	s_branch .LBB31_35
.LBB31_23:
                                        ; implicit-def: $vgpr98
                                        ; implicit-def: $vgpr104
                                        ; implicit-def: $vgpr101
                                        ; implicit-def: $vgpr99
                                        ; implicit-def: $vgpr102
                                        ; implicit-def: $vgpr100
                                        ; implicit-def: $vgpr103
                                        ; implicit-def: $vgpr88
.LBB31_24:
	v_mov_b32_e32 v98, 0
	v_mov_b32_e32 v104, 0
	;; [unrolled: 1-line block ×8, first 2 shown]
	s_and_saveexec_b32 s1, s0
	s_cbranch_execz .LBB31_34
; %bb.25:
	v_or_b32_e32 v0, 8, v97
	v_not_b32_e32 v3, v89
	v_not_b32_e32 v2, v90
	v_mov_b32_e32 v88, 0
	v_sub_co_u32 v0, s0, v0, s2
	v_sub_co_ci_u32_e64 v1, null, 0, 0, s0
	v_sub_co_u32 v4, s0, s2, v97
	v_add_co_u32 v0, vcc_lo, v0, v89
	v_add_co_ci_u32_e64 v1, null, v1, v90, vcc_lo
	v_sub_co_ci_u32_e64 v5, null, 0, 0, s0
	v_add_co_u32 v3, s0, v4, v3
	v_cmp_gt_i64_e32 vcc_lo, v[0:1], v[83:84]
	v_add_co_ci_u32_e64 v2, null, v5, v2, s0
	v_mov_b32_e32 v103, v88
	v_mov_b32_e32 v100, v88
	;; [unrolled: 1-line block ×3, first 2 shown]
	v_cndmask_b32_e32 v0, v83, v0, vcc_lo
	v_cndmask_b32_e32 v1, v84, v1, vcc_lo
	v_mov_b32_e32 v99, v88
	v_mov_b32_e32 v101, v88
	;; [unrolled: 1-line block ×3, first 2 shown]
	v_add_co_u32 v0, vcc_lo, v3, v0
	v_add_co_ci_u32_e64 v1, null, v2, v1, vcc_lo
	v_mov_b32_e32 v98, v88
	v_and_b32_e32 v87, 24, v0
	s_mov_b32 s0, exec_lo
	v_cmpx_ne_u64_e32 24, v[87:88]
	s_cbranch_execz .LBB31_29
; %bb.26:
	v_lshrrev_b32_e32 v2, 3, v0
	v_mov_b32_e32 v98, 0
	v_mov_b32_e32 v104, 0
	;; [unrolled: 1-line block ×4, first 2 shown]
	v_add_nc_u32_e32 v4, 1, v2
	v_lshlrev_b64 v[2:3], 2, v[81:82]
	v_mov_b32_e32 v102, 0
	v_mov_b32_e32 v100, 0
	;; [unrolled: 1-line block ×3, first 2 shown]
	v_and_b32_e32 v4, 3, v4
	v_mov_b32_e32 v88, 0
	v_add_co_u32 v2, vcc_lo, s12, v2
	v_add_co_ci_u32_e64 v3, null, s13, v3, vcc_lo
	v_sub_co_u32 v4, s3, 0, v4
	v_sub_co_ci_u32_e64 v5, null, 0, 0, s3
	s_mov_b32 s3, 0
.LBB31_27:                              ; =>This Inner Loop Header: Depth=1
	global_load_dword v18, v[2:3], off
	s_clause 0x2
	global_load_dwordx4 v[6:9], v[85:86], off offset:32
	global_load_dwordx4 v[10:13], v[85:86], off offset:16
	global_load_dwordx4 v[14:17], v[85:86], off
	s_waitcnt vmcnt(3)
	v_subrev_nc_u32_e32 v18, s2, v18
	v_lshlrev_b32_e32 v18, 2, v18
	v_ashrrev_i32_e32 v19, 31, v18
	v_lshlrev_b64 v[18:19], 3, v[18:19]
	v_add_co_u32 v22, vcc_lo, s6, v18
	v_add_co_ci_u32_e64 v23, null, s7, v19, vcc_lo
	s_clause 0x1
	global_load_dwordx4 v[18:21], v[22:23], off
	global_load_dwordx4 v[22:25], v[22:23], off offset:16
	s_clause 0x4
	global_load_dwordx4 v[26:29], v[85:86], off offset:48
	global_load_dwordx4 v[30:33], v[85:86], off offset:64
	;; [unrolled: 1-line block ×5, first 2 shown]
	v_add_co_u32 v85, vcc_lo, 0x400, v85
	v_add_co_ci_u32_e64 v86, null, 0, v86, vcc_lo
	v_add_co_u32 v81, vcc_lo, v81, 8
	v_add_co_ci_u32_e64 v82, null, 0, v82, vcc_lo
	;; [unrolled: 2-line block ×4, first 2 shown]
	v_cmp_eq_u64_e32 vcc_lo, 0, v[4:5]
	s_or_b32 s3, vcc_lo, s3
	s_waitcnt vmcnt(6)
	v_fmac_f32_e32 v104, v14, v18
	v_fmac_f32_e32 v98, v15, v18
	v_fmac_f32_e32 v103, v16, v18
	v_fmac_f32_e32 v88, v17, v18
	v_fmac_f32_e32 v102, v10, v18
	v_fmac_f32_e32 v100, v11, v18
	v_fmac_f32_e32 v101, v12, v18
	v_fmac_f32_e32 v99, v13, v18
	v_fma_f32 v15, -v15, v19, v104
	v_fmac_f32_e32 v98, v14, v19
	v_fma_f32 v14, -v17, v19, v103
	v_fmac_f32_e32 v88, v16, v19
	;; [unrolled: 2-line block ×4, first 2 shown]
	v_fmac_f32_e32 v15, v6, v20
	v_fmac_f32_e32 v98, v7, v20
	;; [unrolled: 1-line block ×4, first 2 shown]
	s_waitcnt vmcnt(4)
	v_fmac_f32_e32 v11, v26, v20
	v_fmac_f32_e32 v100, v27, v20
	;; [unrolled: 1-line block ×4, first 2 shown]
	v_fma_f32 v7, -v7, v21, v15
	v_fmac_f32_e32 v98, v6, v21
	v_fma_f32 v6, -v9, v21, v14
	v_fmac_f32_e32 v88, v8, v21
	;; [unrolled: 2-line block ×4, first 2 shown]
	s_waitcnt vmcnt(3)
	v_fmac_f32_e32 v7, v30, v22
	v_fmac_f32_e32 v98, v31, v22
	;; [unrolled: 1-line block ×4, first 2 shown]
	s_waitcnt vmcnt(2)
	v_fmac_f32_e32 v8, v34, v22
	v_fmac_f32_e32 v100, v35, v22
	;; [unrolled: 1-line block ×4, first 2 shown]
	v_fma_f32 v7, -v31, v23, v7
	v_fmac_f32_e32 v98, v30, v23
	v_fma_f32 v6, -v33, v23, v6
	v_fmac_f32_e32 v88, v32, v23
	;; [unrolled: 2-line block ×4, first 2 shown]
	s_waitcnt vmcnt(1)
	v_fmac_f32_e32 v7, v38, v24
	v_fmac_f32_e32 v98, v39, v24
	;; [unrolled: 1-line block ×4, first 2 shown]
	s_waitcnt vmcnt(0)
	v_fmac_f32_e32 v8, v42, v24
	v_fmac_f32_e32 v100, v43, v24
	;; [unrolled: 1-line block ×4, first 2 shown]
	v_fma_f32 v104, -v39, v25, v7
	v_fmac_f32_e32 v98, v38, v25
	v_fma_f32 v103, -v41, v25, v6
	v_fmac_f32_e32 v88, v40, v25
	v_fma_f32 v102, -v43, v25, v8
	v_fmac_f32_e32 v100, v42, v25
	v_fma_f32 v101, -v45, v25, v9
	v_fmac_f32_e32 v99, v44, v25
	s_andn2_b32 exec_lo, exec_lo, s3
	s_cbranch_execnz .LBB31_27
; %bb.28:
	s_or_b32 exec_lo, exec_lo, s3
.LBB31_29:
	s_or_b32 exec_lo, exec_lo, s0
	s_mov_b32 s0, exec_lo
	v_cmpx_lt_u64_e32 23, v[0:1]
	s_cbranch_execz .LBB31_33
; %bb.30:
	v_lshlrev_b64 v[0:1], 2, v[81:82]
	s_mov_b32 s3, 0
	v_add_co_u32 v0, vcc_lo, s12, v0
	v_add_co_ci_u32_e64 v1, null, s13, v1, vcc_lo
	v_add_co_u32 v40, vcc_lo, v0, 64
	v_add_co_ci_u32_e64 v41, null, 0, v1, vcc_lo
.LBB31_31:                              ; =>This Inner Loop Header: Depth=1
	global_load_dword v87, v[40:41], off offset:-64
	s_clause 0xb
	global_load_dwordx4 v[20:23], v[85:86], off offset:48
	global_load_dwordx4 v[28:31], v[85:86], off offset:32
	;; [unrolled: 1-line block ×3, first 2 shown]
	global_load_dwordx4 v[42:45], v[85:86], off
	global_load_dwordx4 v[4:7], v[85:86], off offset:112
	global_load_dwordx4 v[24:27], v[85:86], off offset:96
	;; [unrolled: 1-line block ×8, first 2 shown]
	s_clause 0x2
	global_load_dword v109, v[40:41], off offset:-32
	global_load_dword v110, v[40:41], off
	global_load_dword v111, v[40:41], off offset:32
	v_add_co_u32 v74, vcc_lo, 0x800, v85
	v_add_co_ci_u32_e64 v75, null, 0, v86, vcc_lo
	s_clause 0x6
	global_load_dwordx4 v[50:53], v[85:86], off offset:1136
	global_load_dwordx4 v[54:57], v[85:86], off offset:1120
	;; [unrolled: 1-line block ×4, first 2 shown]
	global_load_dwordx4 v[66:69], v[74:75], off
	global_load_dwordx4 v[70:73], v[74:75], off offset:48
	global_load_dwordx4 v[89:92], v[74:75], off offset:32
	s_waitcnt vmcnt(22)
	v_subrev_nc_u32_e32 v87, s2, v87
	v_lshlrev_b32_e32 v93, 2, v87
	v_ashrrev_i32_e32 v94, 31, v93
	v_lshlrev_b64 v[93:94], 3, v[93:94]
	v_add_co_u32 v105, vcc_lo, s6, v93
	v_add_co_ci_u32_e64 v106, null, s7, v94, vcc_lo
	s_clause 0x1
	global_load_dwordx4 v[93:96], v[105:106], off
	global_load_dwordx4 v[105:108], v[105:106], off offset:16
	s_waitcnt vmcnt(1)
	v_fmac_f32_e32 v103, v44, v93
	v_fmac_f32_e32 v100, v37, v93
	;; [unrolled: 1-line block ×5, first 2 shown]
	v_fma_f32 v103, -v45, v94, v103
	v_fmac_f32_e32 v98, v43, v93
	v_fmac_f32_e32 v88, v45, v93
	;; [unrolled: 1-line block ×5, first 2 shown]
	v_fma_f32 v101, -v39, v94, v101
	v_fma_f32 v93, -v37, v94, v102
	;; [unrolled: 1-line block ×3, first 2 shown]
	v_fmac_f32_e32 v98, v42, v94
	v_fma_f32 v102, -v31, v96, v103
	v_fmac_f32_e32 v88, v44, v94
	v_fmac_f32_e32 v99, v38, v94
	;; [unrolled: 1-line block ×5, first 2 shown]
	s_waitcnt vmcnt(0)
	v_fmac_f32_e32 v102, v48, v105
	v_fmac_f32_e32 v87, v28, v95
	;; [unrolled: 1-line block ×6, first 2 shown]
	v_fma_f32 v101, -v23, v96, v101
	v_fma_f32 v103, -v21, v96, v93
	;; [unrolled: 1-line block ×4, first 2 shown]
	v_fmac_f32_e32 v98, v28, v96
	v_fmac_f32_e32 v88, v30, v96
	;; [unrolled: 1-line block ×12, first 2 shown]
	v_fma_f32 v105, -v35, v106, v101
	v_subrev_nc_u32_e32 v101, s2, v109
	v_fma_f32 v104, -v33, v106, v103
	v_fma_f32 v112, -v27, v108, v102
	v_subrev_nc_u32_e32 v102, s2, v110
	v_fma_f32 v87, -v47, v106, v87
	v_fmac_f32_e32 v98, v46, v106
	v_fmac_f32_e32 v88, v48, v106
	;; [unrolled: 1-line block ×3, first 2 shown]
	v_subrev_nc_u32_e32 v106, s2, v111
	v_lshlrev_b32_e32 v101, 2, v101
	v_fmac_f32_e32 v100, v5, v107
	v_lshlrev_b32_e32 v103, 2, v102
	v_fmac_f32_e32 v104, v4, v107
	v_fmac_f32_e32 v105, v6, v107
	;; [unrolled: 1-line block ×4, first 2 shown]
	v_lshlrev_b32_e32 v4, 2, v106
	v_ashrrev_i32_e32 v102, 31, v101
	v_fma_f32 v109, -v5, v108, v104
	v_ashrrev_i32_e32 v104, 31, v103
	v_fma_f32 v110, -v7, v108, v105
	v_fmac_f32_e32 v99, v6, v108
	v_ashrrev_i32_e32 v5, 31, v4
	v_lshlrev_b64 v[6:7], 3, v[101:102]
	v_lshlrev_b64 v[101:102], 3, v[103:104]
	v_fmac_f32_e32 v87, v24, v107
	v_fmac_f32_e32 v98, v25, v107
	v_lshlrev_b64 v[4:5], 3, v[4:5]
	v_fmac_f32_e32 v88, v27, v107
	v_add_co_u32 v103, vcc_lo, s6, v6
	v_add_co_ci_u32_e64 v104, null, s7, v7, vcc_lo
	v_add_co_u32 v105, vcc_lo, s6, v101
	v_add_co_ci_u32_e64 v106, null, s7, v102, vcc_lo
	v_add_co_u32 v107, vcc_lo, s6, v4
	s_clause 0x6
	global_load_dwordx4 v[42:45], v[74:75], off offset:16
	global_load_dwordx4 v[28:31], v[74:75], off offset:96
	;; [unrolled: 1-line block ×7, first 2 shown]
	v_fma_f32 v87, -v25, v108, v87
	v_fmac_f32_e32 v98, v24, v108
	v_fmac_f32_e32 v88, v26, v108
	global_load_dwordx4 v[24:27], v[74:75], off offset:1040
	v_add_co_ci_u32_e64 v108, null, s7, v5, vcc_lo
	s_clause 0x1
	global_load_dwordx4 v[4:7], v[103:104], off
	global_load_dwordx4 v[101:104], v[103:104], off offset:16
	v_add_co_u32 v81, vcc_lo, v81, 32
	v_add_co_ci_u32_e64 v82, null, 0, v82, vcc_lo
	v_add_co_u32 v40, vcc_lo, 0x80, v40
	v_add_co_ci_u32_e64 v41, null, 0, v41, vcc_lo
	;; [unrolled: 2-line block ×3, first 2 shown]
	v_cmp_ge_i64_e32 vcc_lo, v[81:82], v[83:84]
	s_or_b32 s3, vcc_lo, s3
	s_waitcnt vmcnt(1)
	v_fmac_f32_e32 v87, v16, v4
	v_fmac_f32_e32 v98, v17, v4
	;; [unrolled: 1-line block ×8, first 2 shown]
	v_fma_f32 v87, -v17, v5, v87
	v_fmac_f32_e32 v98, v16, v5
	v_fma_f32 v111, -v19, v5, v112
	v_fmac_f32_e32 v88, v18, v5
	;; [unrolled: 2-line block ×4, first 2 shown]
	v_fmac_f32_e32 v87, v8, v6
	v_fmac_f32_e32 v98, v9, v6
	;; [unrolled: 1-line block ×8, first 2 shown]
	s_clause 0x1
	global_load_dwordx4 v[16:19], v[74:75], off offset:1024
	global_load_dwordx4 v[12:15], v[74:75], off offset:1088
	v_fma_f32 v87, -v9, v7, v87
	v_fmac_f32_e32 v98, v8, v7
	v_fma_f32 v110, -v11, v7, v111
	v_fmac_f32_e32 v88, v10, v7
	global_load_dwordx4 v[8:11], v[74:75], off offset:1104
	v_fma_f32 v111, -v1, v7, v4
	v_fmac_f32_e32 v100, v0, v7
	v_fma_f32 v109, -v3, v7, v109
	v_fmac_f32_e32 v99, v2, v7
	s_clause 0x1
	global_load_dwordx4 v[0:3], v[105:106], off
	global_load_dwordx4 v[4:7], v[105:106], off offset:16
	s_waitcnt vmcnt(5)
	v_fmac_f32_e32 v87, v62, v101
	v_fmac_f32_e32 v98, v63, v101
	;; [unrolled: 1-line block ×5, first 2 shown]
	v_fma_f32 v87, -v63, v102, v87
	v_fmac_f32_e32 v98, v62, v102
	v_fma_f32 v110, -v65, v102, v110
	v_fmac_f32_e32 v88, v64, v102
	global_load_dwordx4 v[62:65], v[107:108], off
	v_fmac_f32_e32 v100, v59, v101
	v_fmac_f32_e32 v109, v60, v101
	;; [unrolled: 1-line block ×3, first 2 shown]
	v_fma_f32 v101, -v59, v102, v111
	v_fmac_f32_e32 v87, v54, v103
	v_fmac_f32_e32 v100, v58, v102
	v_fma_f32 v109, -v61, v102, v109
	v_fmac_f32_e32 v99, v60, v102
	global_load_dwordx4 v[58:61], v[74:75], off offset:1120
	global_load_dwordx4 v[105:108], v[107:108], off offset:16
	v_fmac_f32_e32 v98, v55, v103
	v_fmac_f32_e32 v110, v56, v103
	;; [unrolled: 1-line block ×3, first 2 shown]
	v_fma_f32 v87, -v55, v104, v87
	v_fmac_f32_e32 v101, v50, v103
	v_fmac_f32_e32 v98, v54, v104
	v_fma_f32 v102, -v57, v104, v110
	v_fmac_f32_e32 v88, v56, v104
	global_load_dwordx4 v[54:57], v[74:75], off offset:1136
	v_fmac_f32_e32 v100, v51, v103
	v_fmac_f32_e32 v109, v52, v103
	;; [unrolled: 1-line block ×3, first 2 shown]
	v_fma_f32 v51, -v51, v104, v101
	v_fmac_f32_e32 v100, v50, v104
	v_fma_f32 v50, -v53, v104, v109
	v_fmac_f32_e32 v99, v52, v104
	s_waitcnt vmcnt(5)
	v_fmac_f32_e32 v87, v66, v0
	v_fmac_f32_e32 v98, v67, v0
	v_fmac_f32_e32 v102, v68, v0
	v_fmac_f32_e32 v88, v69, v0
	v_fmac_f32_e32 v51, v42, v0
	v_fmac_f32_e32 v100, v43, v0
	v_fmac_f32_e32 v50, v44, v0
	v_fmac_f32_e32 v99, v45, v0
	v_fma_f32 v0, -v67, v1, v87
	v_fmac_f32_e32 v98, v66, v1
	v_fma_f32 v52, -v69, v1, v102
	v_fmac_f32_e32 v88, v68, v1
	v_fma_f32 v43, -v43, v1, v51
	v_fmac_f32_e32 v100, v42, v1
	v_fma_f32 v42, -v45, v1, v50
	v_fmac_f32_e32 v99, v44, v1
	v_fmac_f32_e32 v0, v89, v2
	v_fmac_f32_e32 v98, v90, v2
	v_fmac_f32_e32 v52, v91, v2
	v_fmac_f32_e32 v88, v92, v2
	v_fmac_f32_e32 v43, v70, v2
	v_fmac_f32_e32 v100, v71, v2
	v_fmac_f32_e32 v42, v72, v2
	v_fmac_f32_e32 v99, v73, v2
	v_fma_f32 v0, -v90, v3, v0
	v_fmac_f32_e32 v98, v89, v3
	v_fma_f32 v1, -v92, v3, v52
	v_fmac_f32_e32 v88, v91, v3
	v_fma_f32 v2, -v71, v3, v43
	v_fmac_f32_e32 v100, v70, v3
	v_fma_f32 v42, -v73, v3, v42
	v_fmac_f32_e32 v99, v72, v3
	s_waitcnt vmcnt(4)
	v_fmac_f32_e32 v0, v93, v4
	v_fmac_f32_e32 v98, v94, v4
	v_fmac_f32_e32 v1, v95, v4
	v_fmac_f32_e32 v88, v96, v4
	v_fmac_f32_e32 v2, v20, v4
	v_fmac_f32_e32 v100, v21, v4
	v_fmac_f32_e32 v42, v22, v4
	v_fmac_f32_e32 v99, v23, v4
	v_fma_f32 v0, -v94, v5, v0
	v_fmac_f32_e32 v98, v93, v5
	v_fma_f32 v1, -v96, v5, v1
	v_fmac_f32_e32 v88, v95, v5
	v_fma_f32 v2, -v21, v5, v2
	v_fmac_f32_e32 v100, v20, v5
	v_fma_f32 v3, -v23, v5, v42
	v_fmac_f32_e32 v99, v22, v5
	v_fmac_f32_e32 v0, v28, v6
	v_fmac_f32_e32 v98, v29, v6
	v_fmac_f32_e32 v1, v30, v6
	v_fmac_f32_e32 v88, v31, v6
	v_fmac_f32_e32 v2, v36, v6
	v_fmac_f32_e32 v100, v37, v6
	v_fmac_f32_e32 v3, v38, v6
	v_fmac_f32_e32 v99, v39, v6
	v_fma_f32 v0, -v29, v7, v0
	v_fmac_f32_e32 v98, v28, v7
	v_fma_f32 v1, -v31, v7, v1
	v_fmac_f32_e32 v88, v30, v7
	;; [unrolled: 33-line block ×3, first 2 shown]
	v_fma_f32 v2, -v47, v65, v2
	v_fmac_f32_e32 v100, v46, v65
	v_fma_f32 v3, -v49, v65, v3
	v_fmac_f32_e32 v99, v48, v65
	s_waitcnt vmcnt(1)
	v_fmac_f32_e32 v0, v12, v105
	v_fmac_f32_e32 v98, v13, v105
	;; [unrolled: 1-line block ×8, first 2 shown]
	v_fma_f32 v0, -v13, v106, v0
	v_fmac_f32_e32 v98, v12, v106
	v_fma_f32 v1, -v15, v106, v1
	v_fmac_f32_e32 v88, v14, v106
	;; [unrolled: 2-line block ×4, first 2 shown]
	v_fmac_f32_e32 v0, v58, v107
	v_fmac_f32_e32 v98, v59, v107
	;; [unrolled: 1-line block ×4, first 2 shown]
	s_waitcnt vmcnt(0)
	v_fmac_f32_e32 v2, v54, v107
	v_fmac_f32_e32 v100, v55, v107
	;; [unrolled: 1-line block ×4, first 2 shown]
	v_fma_f32 v104, -v59, v108, v0
	v_fmac_f32_e32 v98, v58, v108
	v_fma_f32 v103, -v61, v108, v1
	v_fmac_f32_e32 v88, v60, v108
	;; [unrolled: 2-line block ×4, first 2 shown]
	s_andn2_b32 exec_lo, exec_lo, s3
	s_cbranch_execnz .LBB31_31
; %bb.32:
	s_or_b32 exec_lo, exec_lo, s3
.LBB31_33:
	s_or_b32 exec_lo, exec_lo, s0
.LBB31_34:
	s_or_b32 exec_lo, exec_lo, s1
.LBB31_35:
	v_mbcnt_lo_u32_b32 v0, -1, 0
	v_xor_b32_e32 v1, 4, v0
	v_xor_b32_e32 v9, 2, v0
	;; [unrolled: 1-line block ×3, first 2 shown]
	v_cmp_gt_i32_e32 vcc_lo, 32, v1
	v_cndmask_b32_e32 v1, v0, v1, vcc_lo
	v_cmp_gt_i32_e32 vcc_lo, 32, v9
	v_lshlrev_b32_e32 v1, 2, v1
	v_cndmask_b32_e32 v9, v0, v9, vcc_lo
	v_cmp_gt_i32_e32 vcc_lo, 32, v17
	ds_bpermute_b32 v2, v1, v104
	ds_bpermute_b32 v3, v1, v98
	ds_bpermute_b32 v4, v1, v103
	ds_bpermute_b32 v5, v1, v88
	ds_bpermute_b32 v6, v1, v102
	ds_bpermute_b32 v7, v1, v100
	ds_bpermute_b32 v8, v1, v101
	ds_bpermute_b32 v1, v1, v99
	v_lshlrev_b32_e32 v9, 2, v9
	v_cndmask_b32_e32 v0, v0, v17, vcc_lo
	v_cmp_eq_u32_e32 vcc_lo, 7, v97
	v_lshlrev_b32_e32 v17, 2, v0
	s_waitcnt lgkmcnt(7)
	v_add_f32_e32 v2, v104, v2
	s_waitcnt lgkmcnt(6)
	v_add_f32_e32 v3, v98, v3
	s_waitcnt lgkmcnt(5)
	v_add_f32_e32 v4, v103, v4
	s_waitcnt lgkmcnt(4)
	v_add_f32_e32 v5, v88, v5
	s_waitcnt lgkmcnt(3)
	v_add_f32_e32 v6, v102, v6
	s_waitcnt lgkmcnt(2)
	v_add_f32_e32 v7, v100, v7
	s_waitcnt lgkmcnt(1)
	v_add_f32_e32 v8, v101, v8
	s_waitcnt lgkmcnt(0)
	v_add_f32_e32 v10, v99, v1
	ds_bpermute_b32 v1, v9, v2
	ds_bpermute_b32 v11, v9, v3
	ds_bpermute_b32 v12, v9, v4
	ds_bpermute_b32 v13, v9, v5
	ds_bpermute_b32 v14, v9, v6
	ds_bpermute_b32 v15, v9, v7
	ds_bpermute_b32 v16, v9, v8
	ds_bpermute_b32 v9, v9, v10
	s_waitcnt lgkmcnt(7)
	v_add_f32_e32 v0, v2, v1
	s_waitcnt lgkmcnt(6)
	v_add_f32_e32 v1, v3, v11
	;; [unrolled: 2-line block ×8, first 2 shown]
	ds_bpermute_b32 v8, v17, v0
	ds_bpermute_b32 v9, v17, v1
	;; [unrolled: 1-line block ×8, first 2 shown]
	s_and_b32 exec_lo, exec_lo, vcc_lo
	s_cbranch_execz .LBB31_8
; %bb.36:
	s_load_dwordx2 s[2:3], s[4:5], 0x50
	s_waitcnt lgkmcnt(0)
	v_add_f32_e32 v8, v0, v8
	v_add_f32_e32 v0, v1, v9
	;; [unrolled: 1-line block ×8, first 2 shown]
	v_mul_f32_e64 v4, v0, -v79
	v_mul_f32_e32 v5, v78, v0
	v_mul_f32_e64 v6, v1, -v79
	v_mul_f32_e32 v7, v78, v1
	;; [unrolled: 2-line block ×4, first 2 shown]
	v_cmp_eq_f32_e32 vcc_lo, 0, v76
	v_cmp_eq_f32_e64 s0, 0, v77
	v_fmac_f32_e32 v4, v78, v8
	v_fmac_f32_e32 v5, v79, v8
	v_lshlrev_b32_e32 v8, 2, v80
	v_fmac_f32_e32 v6, v78, v9
	v_fmac_f32_e32 v7, v79, v9
	;; [unrolled: 1-line block ×6, first 2 shown]
	s_and_b32 s0, vcc_lo, s0
	s_and_saveexec_b32 s1, s0
	s_xor_b32 s0, exec_lo, s1
	s_cbranch_execz .LBB31_38
; %bb.37:
	v_ashrrev_i32_e32 v9, 31, v8
                                        ; implicit-def: $vgpr76_vgpr77
	v_lshlrev_b64 v[8:9], 3, v[8:9]
	v_add_co_u32 v8, vcc_lo, s2, v8
	v_add_co_ci_u32_e64 v9, null, s3, v9, vcc_lo
	global_store_dwordx4 v[8:9], v[4:7], off
	global_store_dwordx4 v[8:9], v[0:3], off offset:16
                                        ; implicit-def: $vgpr4
                                        ; implicit-def: $vgpr8
                                        ; implicit-def: $vgpr0
.LBB31_38:
	s_andn2_saveexec_b32 s0, s0
	s_cbranch_execz .LBB31_8
; %bb.39:
	v_ashrrev_i32_e32 v9, 31, v8
	v_lshlrev_b64 v[8:9], 3, v[8:9]
	v_add_co_u32 v16, vcc_lo, s2, v8
	v_add_co_ci_u32_e64 v17, null, s3, v9, vcc_lo
	s_clause 0x1
	global_load_dwordx4 v[8:11], v[16:17], off
	global_load_dwordx4 v[12:15], v[16:17], off offset:16
	s_waitcnt vmcnt(1)
	v_fmac_f32_e32 v4, v76, v8
	v_fmac_f32_e32 v5, v77, v8
	;; [unrolled: 1-line block ×4, first 2 shown]
	s_waitcnt vmcnt(0)
	v_fmac_f32_e32 v0, v76, v12
	v_fmac_f32_e32 v1, v77, v12
	;; [unrolled: 1-line block ×4, first 2 shown]
	v_fma_f32 v4, -v77, v9, v4
	v_fmac_f32_e32 v5, v76, v9
	v_fma_f32 v6, -v77, v11, v6
	v_fmac_f32_e32 v7, v76, v11
	;; [unrolled: 2-line block ×4, first 2 shown]
	global_store_dwordx4 v[16:17], v[4:7], off
	global_store_dwordx4 v[16:17], v[0:3], off offset:16
	s_endpgm
	.section	.rodata,"a",@progbits
	.p2align	6, 0x0
	.amdhsa_kernel _ZN9rocsparseL18bsrxmvn_4x4_kernelILj128ELj8E21rocsparse_complex_numIfEliS2_S2_S2_EEvT3_20rocsparse_direction_NS_24const_host_device_scalarIT1_EES3_PKS3_PKT2_SC_S9_PKT4_PKT5_S7_PT6_21rocsparse_index_base_b
		.amdhsa_group_segment_fixed_size 0
		.amdhsa_private_segment_fixed_size 0
		.amdhsa_kernarg_size 96
		.amdhsa_user_sgpr_count 6
		.amdhsa_user_sgpr_private_segment_buffer 1
		.amdhsa_user_sgpr_dispatch_ptr 0
		.amdhsa_user_sgpr_queue_ptr 0
		.amdhsa_user_sgpr_kernarg_segment_ptr 1
		.amdhsa_user_sgpr_dispatch_id 0
		.amdhsa_user_sgpr_flat_scratch_init 0
		.amdhsa_user_sgpr_private_segment_size 0
		.amdhsa_wavefront_size32 1
		.amdhsa_uses_dynamic_stack 0
		.amdhsa_system_sgpr_private_segment_wavefront_offset 0
		.amdhsa_system_sgpr_workgroup_id_x 1
		.amdhsa_system_sgpr_workgroup_id_y 0
		.amdhsa_system_sgpr_workgroup_id_z 0
		.amdhsa_system_sgpr_workgroup_info 0
		.amdhsa_system_vgpr_workitem_id 0
		.amdhsa_next_free_vgpr 138
		.amdhsa_next_free_sgpr 16
		.amdhsa_reserve_vcc 1
		.amdhsa_reserve_flat_scratch 0
		.amdhsa_float_round_mode_32 0
		.amdhsa_float_round_mode_16_64 0
		.amdhsa_float_denorm_mode_32 3
		.amdhsa_float_denorm_mode_16_64 3
		.amdhsa_dx10_clamp 1
		.amdhsa_ieee_mode 1
		.amdhsa_fp16_overflow 0
		.amdhsa_workgroup_processor_mode 1
		.amdhsa_memory_ordered 1
		.amdhsa_forward_progress 1
		.amdhsa_shared_vgpr_count 0
		.amdhsa_exception_fp_ieee_invalid_op 0
		.amdhsa_exception_fp_denorm_src 0
		.amdhsa_exception_fp_ieee_div_zero 0
		.amdhsa_exception_fp_ieee_overflow 0
		.amdhsa_exception_fp_ieee_underflow 0
		.amdhsa_exception_fp_ieee_inexact 0
		.amdhsa_exception_int_div_zero 0
	.end_amdhsa_kernel
	.section	.text._ZN9rocsparseL18bsrxmvn_4x4_kernelILj128ELj8E21rocsparse_complex_numIfEliS2_S2_S2_EEvT3_20rocsparse_direction_NS_24const_host_device_scalarIT1_EES3_PKS3_PKT2_SC_S9_PKT4_PKT5_S7_PT6_21rocsparse_index_base_b,"axG",@progbits,_ZN9rocsparseL18bsrxmvn_4x4_kernelILj128ELj8E21rocsparse_complex_numIfEliS2_S2_S2_EEvT3_20rocsparse_direction_NS_24const_host_device_scalarIT1_EES3_PKS3_PKT2_SC_S9_PKT4_PKT5_S7_PT6_21rocsparse_index_base_b,comdat
.Lfunc_end31:
	.size	_ZN9rocsparseL18bsrxmvn_4x4_kernelILj128ELj8E21rocsparse_complex_numIfEliS2_S2_S2_EEvT3_20rocsparse_direction_NS_24const_host_device_scalarIT1_EES3_PKS3_PKT2_SC_S9_PKT4_PKT5_S7_PT6_21rocsparse_index_base_b, .Lfunc_end31-_ZN9rocsparseL18bsrxmvn_4x4_kernelILj128ELj8E21rocsparse_complex_numIfEliS2_S2_S2_EEvT3_20rocsparse_direction_NS_24const_host_device_scalarIT1_EES3_PKS3_PKT2_SC_S9_PKT4_PKT5_S7_PT6_21rocsparse_index_base_b
                                        ; -- End function
	.set _ZN9rocsparseL18bsrxmvn_4x4_kernelILj128ELj8E21rocsparse_complex_numIfEliS2_S2_S2_EEvT3_20rocsparse_direction_NS_24const_host_device_scalarIT1_EES3_PKS3_PKT2_SC_S9_PKT4_PKT5_S7_PT6_21rocsparse_index_base_b.num_vgpr, 138
	.set _ZN9rocsparseL18bsrxmvn_4x4_kernelILj128ELj8E21rocsparse_complex_numIfEliS2_S2_S2_EEvT3_20rocsparse_direction_NS_24const_host_device_scalarIT1_EES3_PKS3_PKT2_SC_S9_PKT4_PKT5_S7_PT6_21rocsparse_index_base_b.num_agpr, 0
	.set _ZN9rocsparseL18bsrxmvn_4x4_kernelILj128ELj8E21rocsparse_complex_numIfEliS2_S2_S2_EEvT3_20rocsparse_direction_NS_24const_host_device_scalarIT1_EES3_PKS3_PKT2_SC_S9_PKT4_PKT5_S7_PT6_21rocsparse_index_base_b.numbered_sgpr, 16
	.set _ZN9rocsparseL18bsrxmvn_4x4_kernelILj128ELj8E21rocsparse_complex_numIfEliS2_S2_S2_EEvT3_20rocsparse_direction_NS_24const_host_device_scalarIT1_EES3_PKS3_PKT2_SC_S9_PKT4_PKT5_S7_PT6_21rocsparse_index_base_b.num_named_barrier, 0
	.set _ZN9rocsparseL18bsrxmvn_4x4_kernelILj128ELj8E21rocsparse_complex_numIfEliS2_S2_S2_EEvT3_20rocsparse_direction_NS_24const_host_device_scalarIT1_EES3_PKS3_PKT2_SC_S9_PKT4_PKT5_S7_PT6_21rocsparse_index_base_b.private_seg_size, 0
	.set _ZN9rocsparseL18bsrxmvn_4x4_kernelILj128ELj8E21rocsparse_complex_numIfEliS2_S2_S2_EEvT3_20rocsparse_direction_NS_24const_host_device_scalarIT1_EES3_PKS3_PKT2_SC_S9_PKT4_PKT5_S7_PT6_21rocsparse_index_base_b.uses_vcc, 1
	.set _ZN9rocsparseL18bsrxmvn_4x4_kernelILj128ELj8E21rocsparse_complex_numIfEliS2_S2_S2_EEvT3_20rocsparse_direction_NS_24const_host_device_scalarIT1_EES3_PKS3_PKT2_SC_S9_PKT4_PKT5_S7_PT6_21rocsparse_index_base_b.uses_flat_scratch, 0
	.set _ZN9rocsparseL18bsrxmvn_4x4_kernelILj128ELj8E21rocsparse_complex_numIfEliS2_S2_S2_EEvT3_20rocsparse_direction_NS_24const_host_device_scalarIT1_EES3_PKS3_PKT2_SC_S9_PKT4_PKT5_S7_PT6_21rocsparse_index_base_b.has_dyn_sized_stack, 0
	.set _ZN9rocsparseL18bsrxmvn_4x4_kernelILj128ELj8E21rocsparse_complex_numIfEliS2_S2_S2_EEvT3_20rocsparse_direction_NS_24const_host_device_scalarIT1_EES3_PKS3_PKT2_SC_S9_PKT4_PKT5_S7_PT6_21rocsparse_index_base_b.has_recursion, 0
	.set _ZN9rocsparseL18bsrxmvn_4x4_kernelILj128ELj8E21rocsparse_complex_numIfEliS2_S2_S2_EEvT3_20rocsparse_direction_NS_24const_host_device_scalarIT1_EES3_PKS3_PKT2_SC_S9_PKT4_PKT5_S7_PT6_21rocsparse_index_base_b.has_indirect_call, 0
	.section	.AMDGPU.csdata,"",@progbits
; Kernel info:
; codeLenInByte = 7072
; TotalNumSgprs: 18
; NumVgprs: 138
; ScratchSize: 0
; MemoryBound: 0
; FloatMode: 240
; IeeeMode: 1
; LDSByteSize: 0 bytes/workgroup (compile time only)
; SGPRBlocks: 0
; VGPRBlocks: 17
; NumSGPRsForWavesPerEU: 18
; NumVGPRsForWavesPerEU: 138
; Occupancy: 7
; WaveLimiterHint : 1
; COMPUTE_PGM_RSRC2:SCRATCH_EN: 0
; COMPUTE_PGM_RSRC2:USER_SGPR: 6
; COMPUTE_PGM_RSRC2:TRAP_HANDLER: 0
; COMPUTE_PGM_RSRC2:TGID_X_EN: 1
; COMPUTE_PGM_RSRC2:TGID_Y_EN: 0
; COMPUTE_PGM_RSRC2:TGID_Z_EN: 0
; COMPUTE_PGM_RSRC2:TIDIG_COMP_CNT: 0
	.section	.text._ZN9rocsparseL18bsrxmvn_4x4_kernelILj128ELj16E21rocsparse_complex_numIfEliS2_S2_S2_EEvT3_20rocsparse_direction_NS_24const_host_device_scalarIT1_EES3_PKS3_PKT2_SC_S9_PKT4_PKT5_S7_PT6_21rocsparse_index_base_b,"axG",@progbits,_ZN9rocsparseL18bsrxmvn_4x4_kernelILj128ELj16E21rocsparse_complex_numIfEliS2_S2_S2_EEvT3_20rocsparse_direction_NS_24const_host_device_scalarIT1_EES3_PKS3_PKT2_SC_S9_PKT4_PKT5_S7_PT6_21rocsparse_index_base_b,comdat
	.globl	_ZN9rocsparseL18bsrxmvn_4x4_kernelILj128ELj16E21rocsparse_complex_numIfEliS2_S2_S2_EEvT3_20rocsparse_direction_NS_24const_host_device_scalarIT1_EES3_PKS3_PKT2_SC_S9_PKT4_PKT5_S7_PT6_21rocsparse_index_base_b ; -- Begin function _ZN9rocsparseL18bsrxmvn_4x4_kernelILj128ELj16E21rocsparse_complex_numIfEliS2_S2_S2_EEvT3_20rocsparse_direction_NS_24const_host_device_scalarIT1_EES3_PKS3_PKT2_SC_S9_PKT4_PKT5_S7_PT6_21rocsparse_index_base_b
	.p2align	8
	.type	_ZN9rocsparseL18bsrxmvn_4x4_kernelILj128ELj16E21rocsparse_complex_numIfEliS2_S2_S2_EEvT3_20rocsparse_direction_NS_24const_host_device_scalarIT1_EES3_PKS3_PKT2_SC_S9_PKT4_PKT5_S7_PT6_21rocsparse_index_base_b,@function
_ZN9rocsparseL18bsrxmvn_4x4_kernelILj128ELj16E21rocsparse_complex_numIfEliS2_S2_S2_EEvT3_20rocsparse_direction_NS_24const_host_device_scalarIT1_EES3_PKS3_PKT2_SC_S9_PKT4_PKT5_S7_PT6_21rocsparse_index_base_b: ; @_ZN9rocsparseL18bsrxmvn_4x4_kernelILj128ELj16E21rocsparse_complex_numIfEliS2_S2_S2_EEvT3_20rocsparse_direction_NS_24const_host_device_scalarIT1_EES3_PKS3_PKT2_SC_S9_PKT4_PKT5_S7_PT6_21rocsparse_index_base_b
; %bb.0:
	s_clause 0x2
	s_load_dwordx2 s[2:3], s[4:5], 0x58
	s_load_dwordx2 s[0:1], s[4:5], 0x8
	;; [unrolled: 1-line block ×3, first 2 shown]
	s_add_u32 s7, s4, 8
	s_addc_u32 s10, s5, 0
	s_add_u32 s11, s4, 0x48
	s_addc_u32 s12, s5, 0
	s_waitcnt lgkmcnt(0)
	s_bitcmp1_b32 s3, 0
	s_cselect_b32 s0, s7, s0
	s_cselect_b32 s1, s10, s1
	v_mov_b32_e32 v1, s0
	v_mov_b32_e32 v2, s1
	s_cselect_b32 s0, s11, s8
	s_cselect_b32 s1, s12, s9
	flat_load_dwordx2 v[70:71], v[1:2]
	v_mov_b32_e32 v1, s0
	v_mov_b32_e32 v2, s1
	flat_load_dwordx2 v[68:69], v[1:2]
	s_waitcnt vmcnt(1) lgkmcnt(1)
	v_cmp_eq_f32_e32 vcc_lo, 0, v70
	v_cmp_eq_f32_e64 s0, 0, v71
	s_and_b32 s3, vcc_lo, s0
	s_mov_b32 s0, -1
	s_and_saveexec_b32 s1, s3
	s_cbranch_execz .LBB32_2
; %bb.1:
	s_waitcnt vmcnt(0) lgkmcnt(0)
	v_cmp_neq_f32_e32 vcc_lo, 1.0, v68
	v_cmp_neq_f32_e64 s0, 0, v69
	s_or_b32 s0, vcc_lo, s0
	s_orn2_b32 s0, s0, exec_lo
.LBB32_2:
	s_or_b32 exec_lo, exec_lo, s1
	s_and_saveexec_b32 s1, s0
	s_cbranch_execz .LBB32_8
; %bb.3:
	s_clause 0x1
	s_load_dwordx2 s[8:9], s[4:5], 0x18
	s_load_dwordx2 s[0:1], s[4:5], 0x0
	v_lshrrev_b32_e32 v1, 4, v0
	v_lshl_or_b32 v72, s6, 3, v1
	s_waitcnt lgkmcnt(0)
	s_cmp_lg_u64 s[8:9], 0
	s_cbranch_scc0 .LBB32_9
; %bb.4:
	s_load_dword s3, s[4:5], 0x10
	s_mov_b32 s6, 0
                                        ; implicit-def: $vgpr1
	s_waitcnt lgkmcnt(0)
	v_cmp_gt_i32_e32 vcc_lo, s3, v72
	s_mov_b32 s3, 0
	s_and_saveexec_b32 s7, vcc_lo
	s_xor_b32 s7, exec_lo, s7
	s_cbranch_execz .LBB32_6
; %bb.5:
	v_ashrrev_i32_e32 v73, 31, v72
	s_mov_b32 s3, exec_lo
	v_lshlrev_b64 v[1:2], 2, v[72:73]
	v_add_co_u32 v1, vcc_lo, s8, v1
	v_add_co_ci_u32_e64 v2, null, s9, v2, vcc_lo
	global_load_dword v1, v[1:2], off
	s_waitcnt vmcnt(0)
	v_subrev_nc_u32_e32 v1, s2, v1
.LBB32_6:
	s_or_b32 exec_lo, exec_lo, s7
	s_and_b32 vcc_lo, exec_lo, s6
	s_cbranch_vccz .LBB32_10
.LBB32_7:
	v_cmp_gt_i32_e32 vcc_lo, s0, v72
	s_andn2_b32 s0, s3, exec_lo
	s_and_b32 s3, vcc_lo, exec_lo
	s_or_b32 s3, s0, s3
	s_and_b32 exec_lo, exec_lo, s3
	s_cbranch_execnz .LBB32_11
.LBB32_8:
	s_endpgm
.LBB32_9:
	s_mov_b32 s3, 0
                                        ; implicit-def: $vgpr1
	s_cbranch_execnz .LBB32_7
.LBB32_10:
	v_mov_b32_e32 v72, v1
	s_and_b32 exec_lo, exec_lo, s3
	s_cbranch_execz .LBB32_8
.LBB32_11:
	s_load_dwordx8 s[8:15], s[4:5], 0x20
	v_ashrrev_i32_e32 v73, 31, v72
	v_and_b32_e32 v89, 15, v0
	s_load_dwordx2 s[6:7], s[4:5], 0x40
	v_mov_b32_e32 v90, 0
	v_lshlrev_b64 v[1:2], 3, v[72:73]
	s_waitcnt lgkmcnt(0)
	v_add_co_u32 v3, vcc_lo, s8, v1
	v_add_co_ci_u32_e64 v4, null, s9, v2, vcc_lo
	v_add_co_u32 v1, vcc_lo, s10, v1
	v_add_co_ci_u32_e64 v2, null, s11, v2, vcc_lo
	v_add_co_u32 v5, vcc_lo, v3, 8
	global_load_dwordx2 v[81:82], v[3:4], off
	v_add_co_ci_u32_e64 v6, null, 0, v4, vcc_lo
	s_cmp_eq_u64 s[10:11], 0
	s_cselect_b32 vcc_lo, -1, 0
	s_cmp_eq_u32 s1, 1
	v_cndmask_b32_e32 v2, v2, v6, vcc_lo
	v_cndmask_b32_e32 v1, v1, v5, vcc_lo
	global_load_dwordx2 v[1:2], v[1:2], off
	s_waitcnt vmcnt(1)
	v_sub_co_u32 v0, vcc_lo, v81, s2
	v_subrev_co_ci_u32_e64 v3, null, 0, v82, vcc_lo
	v_add_co_u32 v73, vcc_lo, v0, v89
	v_add_co_ci_u32_e64 v74, null, 0, v3, vcc_lo
	s_waitcnt vmcnt(0)
	v_sub_co_u32 v75, vcc_lo, v1, s2
	v_lshlrev_b64 v[0:1], 7, v[73:74]
	v_subrev_co_ci_u32_e64 v76, null, 0, v2, vcc_lo
	v_add_co_u32 v77, vcc_lo, s14, v0
	v_cmp_lt_i64_e64 s0, v[73:74], v[75:76]
	v_add_co_ci_u32_e64 v78, null, s15, v1, vcc_lo
	s_cbranch_scc1 .LBB32_23
; %bb.12:
	v_mov_b32_e32 v96, 0
	v_mov_b32_e32 v93, 0
	;; [unrolled: 1-line block ×7, first 2 shown]
	s_and_saveexec_b32 s1, s0
	s_cbranch_execz .LBB32_22
; %bb.13:
	v_or_b32_e32 v0, 16, v89
	v_not_b32_e32 v3, v81
	v_not_b32_e32 v2, v82
	v_mov_b32_e32 v80, 0
	v_mov_b32_e32 v84, v78
	v_sub_co_u32 v0, s3, v0, s2
	v_sub_co_ci_u32_e64 v1, null, 0, 0, s3
	v_sub_co_u32 v4, s3, s2, v89
	v_add_co_u32 v0, vcc_lo, v0, v81
	v_add_co_ci_u32_e64 v1, null, v1, v82, vcc_lo
	v_sub_co_ci_u32_e64 v5, null, 0, 0, s3
	v_mov_b32_e32 v86, v74
	v_cmp_gt_i64_e32 vcc_lo, v[0:1], v[75:76]
	v_mov_b32_e32 v95, v80
	v_mov_b32_e32 v92, v80
	;; [unrolled: 1-line block ×5, first 2 shown]
	v_cndmask_b32_e32 v1, v76, v1, vcc_lo
	v_cndmask_b32_e32 v0, v75, v0, vcc_lo
	v_add_co_u32 v3, vcc_lo, v4, v3
	v_add_co_ci_u32_e64 v2, null, v5, v2, vcc_lo
	v_mov_b32_e32 v96, v80
	v_add_co_u32 v0, vcc_lo, v3, v0
	v_add_co_ci_u32_e64 v1, null, v2, v1, vcc_lo
	v_mov_b32_e32 v90, v80
	v_and_b32_e32 v79, 48, v0
	v_mov_b32_e32 v83, v77
	v_mov_b32_e32 v85, v73
	s_mov_b32 s3, exec_lo
	v_cmpx_ne_u64_e32 48, v[79:80]
	s_cbranch_execz .LBB32_17
; %bb.14:
	v_lshrrev_b32_e32 v2, 4, v0
	v_mov_b32_e32 v86, v74
	v_mov_b32_e32 v84, v78
	;; [unrolled: 1-line block ×4, first 2 shown]
	v_add_nc_u32_e32 v4, 1, v2
	v_lshlrev_b64 v[2:3], 2, v[73:74]
	v_mov_b32_e32 v83, v77
	v_mov_b32_e32 v96, 0
	;; [unrolled: 1-line block ×3, first 2 shown]
	v_and_b32_e32 v4, 3, v4
	v_mov_b32_e32 v91, 0
	v_add_co_u32 v2, vcc_lo, s12, v2
	v_add_co_ci_u32_e64 v3, null, s13, v3, vcc_lo
	v_sub_co_u32 v4, s8, 0, v4
	v_sub_co_ci_u32_e64 v5, null, 0, 0, s8
	v_mov_b32_e32 v94, 0
	v_mov_b32_e32 v92, 0
	v_mov_b32_e32 v95, 0
	v_mov_b32_e32 v80, 0
	s_mov_b32 s8, 0
.LBB32_15:                              ; =>This Inner Loop Header: Depth=1
	global_load_dword v38, v[2:3], off
	s_clause 0x7
	global_load_dwordx4 v[6:9], v[83:84], off offset:48
	global_load_dwordx4 v[10:13], v[83:84], off offset:32
	;; [unrolled: 1-line block ×3, first 2 shown]
	global_load_dwordx4 v[18:21], v[83:84], off
	global_load_dwordx4 v[22:25], v[83:84], off offset:112
	global_load_dwordx4 v[26:29], v[83:84], off offset:96
	;; [unrolled: 1-line block ×4, first 2 shown]
	s_waitcnt vmcnt(8)
	v_subrev_nc_u32_e32 v38, s2, v38
	v_lshlrev_b32_e32 v38, 2, v38
	v_ashrrev_i32_e32 v39, 31, v38
	v_lshlrev_b64 v[38:39], 3, v[38:39]
	v_add_co_u32 v42, vcc_lo, s6, v38
	v_add_co_ci_u32_e64 v43, null, s7, v39, vcc_lo
	v_add_co_u32 v83, vcc_lo, 0x800, v83
	v_add_co_ci_u32_e64 v84, null, 0, v84, vcc_lo
	s_clause 0x1
	global_load_dwordx4 v[38:41], v[42:43], off
	global_load_dwordx4 v[42:45], v[42:43], off offset:16
	v_add_co_u32 v85, vcc_lo, v85, 16
	v_add_co_ci_u32_e64 v86, null, 0, v86, vcc_lo
	v_add_co_u32 v4, vcc_lo, v4, 1
	v_add_co_ci_u32_e64 v5, null, 0, v5, vcc_lo
	;; [unrolled: 2-line block ×3, first 2 shown]
	v_cmp_eq_u64_e32 vcc_lo, 0, v[4:5]
	s_or_b32 s8, vcc_lo, s8
	s_waitcnt vmcnt(1)
	v_fmac_f32_e32 v96, v18, v38
	v_fmac_f32_e32 v90, v19, v38
	;; [unrolled: 1-line block ×8, first 2 shown]
	v_fma_f32 v19, -v19, v39, v96
	v_fmac_f32_e32 v90, v18, v39
	v_fma_f32 v11, -v11, v39, v95
	v_fmac_f32_e32 v80, v10, v39
	;; [unrolled: 2-line block ×4, first 2 shown]
	v_fmac_f32_e32 v19, v20, v40
	v_fmac_f32_e32 v90, v21, v40
	;; [unrolled: 1-line block ×8, first 2 shown]
	v_fma_f32 v19, -v21, v41, v19
	v_fmac_f32_e32 v90, v20, v41
	v_fma_f32 v11, -v13, v41, v11
	v_fmac_f32_e32 v80, v12, v41
	;; [unrolled: 2-line block ×4, first 2 shown]
	s_waitcnt vmcnt(0)
	v_fmac_f32_e32 v19, v14, v42
	v_fmac_f32_e32 v90, v15, v42
	;; [unrolled: 1-line block ×8, first 2 shown]
	v_fma_f32 v13, -v15, v43, v19
	v_fmac_f32_e32 v90, v14, v43
	v_fma_f32 v7, -v7, v43, v11
	v_fmac_f32_e32 v80, v6, v43
	;; [unrolled: 2-line block ×4, first 2 shown]
	v_fmac_f32_e32 v13, v16, v44
	v_fmac_f32_e32 v90, v17, v44
	;; [unrolled: 1-line block ×8, first 2 shown]
	v_fma_f32 v96, -v17, v45, v13
	v_fmac_f32_e32 v90, v16, v45
	v_fma_f32 v95, -v9, v45, v7
	v_fmac_f32_e32 v80, v8, v45
	v_fma_f32 v94, -v33, v45, v6
	v_fmac_f32_e32 v92, v32, v45
	v_fma_f32 v93, -v25, v45, v10
	v_fmac_f32_e32 v91, v24, v45
	s_andn2_b32 exec_lo, exec_lo, s8
	s_cbranch_execnz .LBB32_15
; %bb.16:
	s_or_b32 exec_lo, exec_lo, s8
.LBB32_17:
	s_or_b32 exec_lo, exec_lo, s3
	s_mov_b32 s3, exec_lo
	v_cmpx_lt_u64_e32 47, v[0:1]
	s_cbranch_execz .LBB32_21
; %bb.18:
	v_lshlrev_b64 v[0:1], 2, v[85:86]
	s_mov_b32 s8, 0
	v_add_co_u32 v0, vcc_lo, s12, v0
	v_add_co_ci_u32_e64 v1, null, s13, v1, vcc_lo
	v_add_co_u32 v87, vcc_lo, 0x80, v0
	v_add_co_ci_u32_e64 v88, null, 0, v1, vcc_lo
.LBB32_19:                              ; =>This Inner Loop Header: Depth=1
	global_load_dword v98, v[87:88], off offset:-128
	s_clause 0x7
	global_load_dwordx4 v[4:7], v[83:84], off offset:48
	global_load_dwordx4 v[16:19], v[83:84], off offset:32
	;; [unrolled: 1-line block ×3, first 2 shown]
	global_load_dwordx4 v[28:31], v[83:84], off
	global_load_dwordx4 v[0:3], v[83:84], off offset:112
	global_load_dwordx4 v[36:39], v[83:84], off offset:96
	;; [unrolled: 1-line block ×4, first 2 shown]
	s_clause 0x2
	global_load_dword v79, v[87:88], off offset:-64
	global_load_dword v97, v[87:88], off
	global_load_dword v135, v[87:88], off offset:64
	v_add_co_u32 v20, vcc_lo, 0x800, v83
	v_add_co_ci_u32_e64 v21, null, 0, v84, vcc_lo
	v_add_co_u32 v22, vcc_lo, v83, 0x1000
	v_add_co_ci_u32_e64 v23, null, 0, v84, vcc_lo
	v_add_co_u32 v131, vcc_lo, 0x1000, v83
	v_add_co_ci_u32_e64 v132, null, 0, v84, vcc_lo
	v_add_co_u32 v133, vcc_lo, 0x1800, v83
	v_add_co_ci_u32_e64 v134, null, 0, v84, vcc_lo
	s_clause 0xe
	global_load_dwordx4 v[99:102], v[20:21], off offset:32
	global_load_dwordx4 v[32:35], v[20:21], off offset:16
	;; [unrolled: 1-line block ×7, first 2 shown]
	global_load_dwordx4 v[111:114], v[22:23], off offset:-2048
	global_load_dwordx4 v[52:55], v[22:23], off
	global_load_dwordx4 v[20:23], v[131:132], off offset:48
	global_load_dwordx4 v[60:63], v[131:132], off offset:32
	;; [unrolled: 1-line block ×6, first 2 shown]
	s_waitcnt vmcnt(26)
	v_subrev_nc_u32_e32 v98, s2, v98
	v_lshlrev_b32_e32 v123, 2, v98
	s_waitcnt vmcnt(17)
	v_subrev_nc_u32_e32 v79, s2, v79
	v_ashrrev_i32_e32 v124, 31, v123
	s_waitcnt vmcnt(16)
	v_subrev_nc_u32_e32 v97, s2, v97
	v_lshlrev_b64 v[123:124], 3, v[123:124]
	v_lshlrev_b32_e32 v97, 2, v97
	v_add_co_u32 v127, vcc_lo, s6, v123
	v_add_co_ci_u32_e64 v128, null, s7, v124, vcc_lo
	s_clause 0x1
	global_load_dwordx4 v[123:126], v[127:128], off
	global_load_dwordx4 v[127:130], v[127:128], off offset:16
	s_waitcnt vmcnt(1)
	v_fmac_f32_e32 v96, v28, v123
	v_fmac_f32_e32 v90, v29, v123
	;; [unrolled: 1-line block ×7, first 2 shown]
	v_fma_f32 v29, -v29, v124, v96
	v_fmac_f32_e32 v90, v28, v124
	v_fma_f32 v17, -v17, v124, v95
	v_fmac_f32_e32 v80, v16, v124
	;; [unrolled: 2-line block ×3, first 2 shown]
	v_fmac_f32_e32 v91, v37, v123
	v_fma_f32 v37, -v37, v124, v93
	v_fmac_f32_e32 v29, v30, v125
	v_fmac_f32_e32 v90, v31, v125
	;; [unrolled: 1-line block ×8, first 2 shown]
	v_fma_f32 v98, -v31, v126, v29
	v_fmac_f32_e32 v90, v30, v126
	global_load_dwordx4 v[28:31], v[131:132], off offset:64
	v_fma_f32 v131, -v19, v126, v17
	v_fmac_f32_e32 v80, v18, v126
	v_fma_f32 v132, -v51, v126, v49
	v_fmac_f32_e32 v92, v50, v126
	v_fmac_f32_e32 v91, v39, v125
	v_fma_f32 v136, -v39, v126, v37
	s_waitcnt vmcnt(1)
	v_fmac_f32_e32 v98, v8, v127
	v_fmac_f32_e32 v90, v9, v127
	;; [unrolled: 1-line block ×8, first 2 shown]
	v_fma_f32 v9, -v9, v128, v98
	v_fmac_f32_e32 v90, v8, v128
	v_fma_f32 v5, -v5, v128, v131
	v_fmac_f32_e32 v80, v4, v128
	;; [unrolled: 2-line block ×3, first 2 shown]
	v_fmac_f32_e32 v91, v1, v127
	v_fma_f32 v1, -v1, v128, v136
	v_fmac_f32_e32 v9, v10, v129
	v_fmac_f32_e32 v90, v11, v129
	;; [unrolled: 1-line block ×8, first 2 shown]
	v_lshlrev_b32_e32 v0, 2, v79
	s_clause 0x3
	global_load_dwordx4 v[16:19], v[133:134], off offset:48
	global_load_dwordx4 v[48:51], v[133:134], off offset:32
	;; [unrolled: 1-line block ×4, first 2 shown]
	v_fma_f32 v98, -v11, v130, v9
	v_fmac_f32_e32 v90, v10, v130
	global_load_dwordx4 v[8:11], v[133:134], off offset:80
	v_fma_f32 v137, -v7, v130, v5
	v_fmac_f32_e32 v80, v6, v130
	global_load_dwordx4 v[4:7], v[133:134], off offset:64
	v_fma_f32 v138, -v15, v130, v13
	v_fmac_f32_e32 v92, v14, v130
	s_clause 0x1
	global_load_dwordx4 v[12:15], v[133:134], off
	global_load_dwordx4 v[123:126], v[133:134], off offset:16
	v_fma_f32 v133, -v3, v130, v1
	v_ashrrev_i32_e32 v1, 31, v0
	v_fmac_f32_e32 v91, v3, v129
	v_subrev_nc_u32_e32 v131, s2, v135
	v_lshlrev_b64 v[0:1], 3, v[0:1]
	v_fmac_f32_e32 v91, v2, v130
	v_add_co_u32 v127, vcc_lo, s6, v0
	v_add_co_ci_u32_e64 v128, null, s7, v1, vcc_lo
	s_clause 0x1
	global_load_dwordx4 v[0:3], v[127:128], off
	global_load_dwordx4 v[127:130], v[127:128], off offset:16
	s_waitcnt vmcnt(1)
	v_fmac_f32_e32 v98, v111, v0
	v_fmac_f32_e32 v90, v112, v0
	;; [unrolled: 1-line block ×5, first 2 shown]
	v_fma_f32 v79, -v112, v1, v98
	v_ashrrev_i32_e32 v98, 31, v97
	v_fmac_f32_e32 v90, v111, v1
	v_lshlrev_b32_e32 v111, 2, v131
	v_fmac_f32_e32 v80, v99, v1
	v_fmac_f32_e32 v79, v113, v2
	v_lshlrev_b64 v[97:98], 3, v[97:98]
	v_fmac_f32_e32 v90, v114, v2
	v_ashrrev_i32_e32 v112, 31, v111
	v_fmac_f32_e32 v80, v102, v2
	v_fma_f32 v79, -v114, v3, v79
	v_fmac_f32_e32 v92, v108, v0
	v_fmac_f32_e32 v90, v113, v3
	v_add_co_u32 v113, vcc_lo, s6, v97
	v_fma_f32 v97, -v100, v1, v137
	v_lshlrev_b64 v[111:112], 3, v[111:112]
	v_add_co_ci_u32_e64 v114, null, s7, v98, vcc_lo
	v_fmac_f32_e32 v80, v101, v3
	v_fmac_f32_e32 v97, v101, v2
	v_fma_f32 v101, -v108, v1, v138
	v_add_co_u32 v131, vcc_lo, s6, v111
	v_add_co_ci_u32_e64 v132, null, s7, v112, vcc_lo
	v_fma_f32 v102, -v102, v3, v97
	s_clause 0x1
	global_load_dwordx4 v[97:100], v[113:114], off
	global_load_dwordx4 v[111:114], v[113:114], off offset:16
	v_fmac_f32_e32 v92, v107, v1
	v_fmac_f32_e32 v101, v109, v2
	;; [unrolled: 1-line block ×4, first 2 shown]
	s_waitcnt vmcnt(2)
	v_fmac_f32_e32 v79, v32, v127
	v_fmac_f32_e32 v92, v110, v2
	v_fma_f32 v101, -v110, v3, v101
	v_fma_f32 v0, -v104, v1, v133
	v_fmac_f32_e32 v91, v103, v1
	v_fmac_f32_e32 v90, v33, v127
	;; [unrolled: 1-line block ×3, first 2 shown]
	global_load_dwordx4 v[107:110], v[131:132], off
	v_fmac_f32_e32 v0, v105, v2
	v_fmac_f32_e32 v91, v106, v2
	;; [unrolled: 1-line block ×5, first 2 shown]
	v_fma_f32 v103, -v106, v3, v0
	v_fmac_f32_e32 v91, v105, v3
	global_load_dwordx4 v[0:3], v[131:132], off offset:16
	v_fmac_f32_e32 v92, v57, v127
	v_fma_f32 v33, -v33, v128, v79
	v_fmac_f32_e32 v103, v24, v127
	v_fmac_f32_e32 v91, v25, v127
	;; [unrolled: 1-line block ×3, first 2 shown]
	v_fma_f32 v32, -v65, v128, v102
	v_fmac_f32_e32 v80, v64, v128
	v_fma_f32 v57, -v57, v128, v101
	v_fmac_f32_e32 v92, v56, v128
	;; [unrolled: 2-line block ×3, first 2 shown]
	v_fmac_f32_e32 v33, v34, v129
	v_fmac_f32_e32 v90, v35, v129
	;; [unrolled: 1-line block ×8, first 2 shown]
	v_fma_f32 v24, -v35, v130, v33
	v_fmac_f32_e32 v90, v34, v130
	v_fma_f32 v32, -v67, v130, v32
	v_fmac_f32_e32 v80, v66, v130
	v_fma_f32 v33, -v59, v130, v57
	v_fmac_f32_e32 v92, v58, v130
	v_fma_f32 v25, -v27, v130, v25
	v_fmac_f32_e32 v91, v26, v130
	v_add_co_u32 v85, vcc_lo, v85, 64
	v_add_co_ci_u32_e64 v86, null, 0, v86, vcc_lo
	v_add_co_u32 v87, vcc_lo, 0x100, v87
	v_add_co_ci_u32_e64 v88, null, 0, v88, vcc_lo
	;; [unrolled: 2-line block ×3, first 2 shown]
	v_cmp_ge_i64_e32 vcc_lo, v[85:86], v[75:76]
	s_or_b32 s8, vcc_lo, s8
	s_waitcnt vmcnt(3)
	v_fmac_f32_e32 v24, v52, v97
	v_fmac_f32_e32 v90, v53, v97
	v_fmac_f32_e32 v32, v60, v97
	v_fmac_f32_e32 v80, v61, v97
	v_fmac_f32_e32 v33, v28, v97
	v_fmac_f32_e32 v92, v29, v97
	v_fmac_f32_e32 v25, v115, v97
	v_fmac_f32_e32 v91, v116, v97
	v_fma_f32 v24, -v53, v98, v24
	v_fmac_f32_e32 v90, v52, v98
	v_fma_f32 v26, -v61, v98, v32
	v_fmac_f32_e32 v80, v60, v98
	v_fma_f32 v27, -v29, v98, v33
	v_fmac_f32_e32 v92, v28, v98
	v_fma_f32 v25, -v116, v98, v25
	v_fmac_f32_e32 v91, v115, v98
	v_fmac_f32_e32 v24, v54, v99
	v_fmac_f32_e32 v90, v55, v99
	v_fmac_f32_e32 v26, v62, v99
	v_fmac_f32_e32 v80, v63, v99
	v_fmac_f32_e32 v27, v30, v99
	v_fmac_f32_e32 v92, v31, v99
	v_fmac_f32_e32 v25, v117, v99
	v_fmac_f32_e32 v91, v118, v99
	v_fma_f32 v24, -v55, v100, v24
	v_fmac_f32_e32 v90, v54, v100
	v_fma_f32 v26, -v63, v100, v26
	v_fmac_f32_e32 v80, v62, v100
	v_fma_f32 v27, -v31, v100, v27
	v_fmac_f32_e32 v92, v30, v100
	v_fma_f32 v25, -v118, v100, v25
	v_fmac_f32_e32 v91, v117, v100
	s_waitcnt vmcnt(2)
	v_fmac_f32_e32 v24, v40, v111
	v_fmac_f32_e32 v90, v41, v111
	v_fmac_f32_e32 v26, v20, v111
	v_fmac_f32_e32 v80, v21, v111
	v_fmac_f32_e32 v27, v119, v111
	v_fmac_f32_e32 v92, v120, v111
	v_fmac_f32_e32 v25, v44, v111
	v_fmac_f32_e32 v91, v45, v111
	v_fma_f32 v24, -v41, v112, v24
	v_fmac_f32_e32 v90, v40, v112
	v_fma_f32 v21, -v21, v112, v26
	v_fmac_f32_e32 v80, v20, v112
	v_fma_f32 v20, -v120, v112, v27
	v_fmac_f32_e32 v92, v119, v112
	v_fma_f32 v25, -v45, v112, v25
	v_fmac_f32_e32 v91, v44, v112
	v_fmac_f32_e32 v24, v42, v113
	v_fmac_f32_e32 v90, v43, v113
	v_fmac_f32_e32 v21, v22, v113
	v_fmac_f32_e32 v80, v23, v113
	v_fmac_f32_e32 v20, v121, v113
	v_fmac_f32_e32 v92, v122, v113
	v_fmac_f32_e32 v25, v46, v113
	v_fmac_f32_e32 v91, v47, v113
	v_fma_f32 v24, -v43, v114, v24
	v_fmac_f32_e32 v90, v42, v114
	v_fma_f32 v21, -v23, v114, v21
	v_fmac_f32_e32 v80, v22, v114
	v_fma_f32 v20, -v122, v114, v20
	v_fmac_f32_e32 v92, v121, v114
	v_fma_f32 v22, -v47, v114, v25
	v_fmac_f32_e32 v91, v46, v114
	;; [unrolled: 33-line block ×4, first 2 shown]
	s_andn2_b32 exec_lo, exec_lo, s8
	s_cbranch_execnz .LBB32_19
; %bb.20:
	s_or_b32 exec_lo, exec_lo, s8
.LBB32_21:
	s_or_b32 exec_lo, exec_lo, s3
.LBB32_22:
	s_or_b32 exec_lo, exec_lo, s1
	s_cbranch_execz .LBB32_24
	s_branch .LBB32_35
.LBB32_23:
                                        ; implicit-def: $vgpr90
                                        ; implicit-def: $vgpr96
                                        ; implicit-def: $vgpr93
                                        ; implicit-def: $vgpr91
                                        ; implicit-def: $vgpr94
                                        ; implicit-def: $vgpr92
                                        ; implicit-def: $vgpr95
                                        ; implicit-def: $vgpr80
.LBB32_24:
	v_mov_b32_e32 v90, 0
	v_mov_b32_e32 v96, 0
	;; [unrolled: 1-line block ×8, first 2 shown]
	s_and_saveexec_b32 s1, s0
	s_cbranch_execz .LBB32_34
; %bb.25:
	v_or_b32_e32 v0, 16, v89
	v_not_b32_e32 v3, v81
	v_not_b32_e32 v2, v82
	v_mov_b32_e32 v80, 0
	v_sub_co_u32 v0, s0, v0, s2
	v_sub_co_ci_u32_e64 v1, null, 0, 0, s0
	v_sub_co_u32 v4, s0, s2, v89
	v_add_co_u32 v0, vcc_lo, v0, v81
	v_add_co_ci_u32_e64 v1, null, v1, v82, vcc_lo
	v_sub_co_ci_u32_e64 v5, null, 0, 0, s0
	v_add_co_u32 v3, s0, v4, v3
	v_cmp_gt_i64_e32 vcc_lo, v[0:1], v[75:76]
	v_add_co_ci_u32_e64 v2, null, v5, v2, s0
	v_mov_b32_e32 v95, v80
	v_mov_b32_e32 v92, v80
	;; [unrolled: 1-line block ×3, first 2 shown]
	v_cndmask_b32_e32 v0, v75, v0, vcc_lo
	v_cndmask_b32_e32 v1, v76, v1, vcc_lo
	v_mov_b32_e32 v91, v80
	v_mov_b32_e32 v93, v80
	;; [unrolled: 1-line block ×3, first 2 shown]
	v_add_co_u32 v0, vcc_lo, v3, v0
	v_add_co_ci_u32_e64 v1, null, v2, v1, vcc_lo
	v_mov_b32_e32 v90, v80
	v_and_b32_e32 v79, 48, v0
	s_mov_b32 s0, exec_lo
	v_cmpx_ne_u64_e32 48, v[79:80]
	s_cbranch_execz .LBB32_29
; %bb.26:
	v_lshrrev_b32_e32 v2, 4, v0
	v_mov_b32_e32 v90, 0
	v_mov_b32_e32 v96, 0
	;; [unrolled: 1-line block ×4, first 2 shown]
	v_add_nc_u32_e32 v4, 1, v2
	v_lshlrev_b64 v[2:3], 2, v[73:74]
	v_mov_b32_e32 v94, 0
	v_mov_b32_e32 v92, 0
	;; [unrolled: 1-line block ×3, first 2 shown]
	v_and_b32_e32 v4, 3, v4
	v_mov_b32_e32 v80, 0
	v_add_co_u32 v2, vcc_lo, s12, v2
	v_add_co_ci_u32_e64 v3, null, s13, v3, vcc_lo
	v_sub_co_u32 v4, s3, 0, v4
	v_sub_co_ci_u32_e64 v5, null, 0, 0, s3
	s_mov_b32 s3, 0
.LBB32_27:                              ; =>This Inner Loop Header: Depth=1
	global_load_dword v18, v[2:3], off
	s_clause 0x2
	global_load_dwordx4 v[6:9], v[77:78], off offset:32
	global_load_dwordx4 v[10:13], v[77:78], off offset:16
	global_load_dwordx4 v[14:17], v[77:78], off
	s_waitcnt vmcnt(3)
	v_subrev_nc_u32_e32 v18, s2, v18
	v_lshlrev_b32_e32 v18, 2, v18
	v_ashrrev_i32_e32 v19, 31, v18
	v_lshlrev_b64 v[18:19], 3, v[18:19]
	v_add_co_u32 v22, vcc_lo, s6, v18
	v_add_co_ci_u32_e64 v23, null, s7, v19, vcc_lo
	s_clause 0x1
	global_load_dwordx4 v[18:21], v[22:23], off
	global_load_dwordx4 v[22:25], v[22:23], off offset:16
	s_clause 0x4
	global_load_dwordx4 v[26:29], v[77:78], off offset:48
	global_load_dwordx4 v[30:33], v[77:78], off offset:64
	;; [unrolled: 1-line block ×5, first 2 shown]
	v_add_co_u32 v77, vcc_lo, 0x800, v77
	v_add_co_ci_u32_e64 v78, null, 0, v78, vcc_lo
	v_add_co_u32 v73, vcc_lo, v73, 16
	v_add_co_ci_u32_e64 v74, null, 0, v74, vcc_lo
	;; [unrolled: 2-line block ×4, first 2 shown]
	v_cmp_eq_u64_e32 vcc_lo, 0, v[4:5]
	s_or_b32 s3, vcc_lo, s3
	s_waitcnt vmcnt(6)
	v_fmac_f32_e32 v96, v14, v18
	v_fmac_f32_e32 v90, v15, v18
	;; [unrolled: 1-line block ×8, first 2 shown]
	v_fma_f32 v15, -v15, v19, v96
	v_fmac_f32_e32 v90, v14, v19
	v_fma_f32 v14, -v17, v19, v95
	v_fmac_f32_e32 v80, v16, v19
	;; [unrolled: 2-line block ×4, first 2 shown]
	v_fmac_f32_e32 v15, v6, v20
	v_fmac_f32_e32 v90, v7, v20
	;; [unrolled: 1-line block ×4, first 2 shown]
	s_waitcnt vmcnt(4)
	v_fmac_f32_e32 v11, v26, v20
	v_fmac_f32_e32 v92, v27, v20
	;; [unrolled: 1-line block ×4, first 2 shown]
	v_fma_f32 v7, -v7, v21, v15
	v_fmac_f32_e32 v90, v6, v21
	v_fma_f32 v6, -v9, v21, v14
	v_fmac_f32_e32 v80, v8, v21
	;; [unrolled: 2-line block ×4, first 2 shown]
	s_waitcnt vmcnt(3)
	v_fmac_f32_e32 v7, v30, v22
	v_fmac_f32_e32 v90, v31, v22
	;; [unrolled: 1-line block ×4, first 2 shown]
	s_waitcnt vmcnt(2)
	v_fmac_f32_e32 v8, v34, v22
	v_fmac_f32_e32 v92, v35, v22
	;; [unrolled: 1-line block ×4, first 2 shown]
	v_fma_f32 v7, -v31, v23, v7
	v_fmac_f32_e32 v90, v30, v23
	v_fma_f32 v6, -v33, v23, v6
	v_fmac_f32_e32 v80, v32, v23
	;; [unrolled: 2-line block ×4, first 2 shown]
	s_waitcnt vmcnt(1)
	v_fmac_f32_e32 v7, v38, v24
	v_fmac_f32_e32 v90, v39, v24
	;; [unrolled: 1-line block ×4, first 2 shown]
	s_waitcnt vmcnt(0)
	v_fmac_f32_e32 v8, v42, v24
	v_fmac_f32_e32 v92, v43, v24
	;; [unrolled: 1-line block ×4, first 2 shown]
	v_fma_f32 v96, -v39, v25, v7
	v_fmac_f32_e32 v90, v38, v25
	v_fma_f32 v95, -v41, v25, v6
	v_fmac_f32_e32 v80, v40, v25
	;; [unrolled: 2-line block ×4, first 2 shown]
	s_andn2_b32 exec_lo, exec_lo, s3
	s_cbranch_execnz .LBB32_27
; %bb.28:
	s_or_b32 exec_lo, exec_lo, s3
.LBB32_29:
	s_or_b32 exec_lo, exec_lo, s0
	s_mov_b32 s0, exec_lo
	v_cmpx_lt_u64_e32 47, v[0:1]
	s_cbranch_execz .LBB32_33
; %bb.30:
	v_lshlrev_b64 v[0:1], 2, v[73:74]
	s_mov_b32 s3, 0
	v_add_co_u32 v0, vcc_lo, s12, v0
	v_add_co_ci_u32_e64 v1, null, s13, v1, vcc_lo
	v_add_co_u32 v28, vcc_lo, 0x80, v0
	v_add_co_ci_u32_e64 v29, null, 0, v1, vcc_lo
.LBB32_31:                              ; =>This Inner Loop Header: Depth=1
	global_load_dword v79, v[28:29], off offset:-128
	s_clause 0x7
	global_load_dwordx4 v[4:7], v[77:78], off offset:48
	global_load_dwordx4 v[12:15], v[77:78], off offset:32
	;; [unrolled: 1-line block ×3, first 2 shown]
	global_load_dwordx4 v[30:33], v[77:78], off
	global_load_dwordx4 v[0:3], v[77:78], off offset:112
	global_load_dwordx4 v[8:11], v[77:78], off offset:96
	;; [unrolled: 1-line block ×4, first 2 shown]
	v_add_co_u32 v58, vcc_lo, 0x800, v77
	v_add_co_ci_u32_e64 v59, null, 0, v78, vcc_lo
	v_add_co_u32 v66, vcc_lo, v77, 0x1000
	v_add_co_ci_u32_e64 v67, null, 0, v78, vcc_lo
	;; [unrolled: 2-line block ×3, first 2 shown]
	s_clause 0x2
	global_load_dword v113, v[28:29], off offset:-64
	global_load_dword v114, v[28:29], off
	global_load_dword v115, v[28:29], off offset:64
	s_clause 0xa
	global_load_dwordx4 v[34:37], v[58:59], off offset:32
	global_load_dwordx4 v[38:41], v[58:59], off offset:16
	;; [unrolled: 1-line block ×7, first 2 shown]
	global_load_dwordx4 v[62:65], v[66:67], off offset:-2048
	global_load_dwordx4 v[81:84], v[66:67], off
	global_load_dwordx4 v[85:88], v[109:110], off offset:32
	global_load_dwordx4 v[97:100], v[109:110], off offset:16
	v_add_co_u32 v111, vcc_lo, 0x1800, v77
	v_add_co_ci_u32_e64 v112, null, 0, v78, vcc_lo
	s_waitcnt vmcnt(22)
	v_subrev_nc_u32_e32 v66, s2, v79
	v_lshlrev_b32_e32 v66, 2, v66
	v_ashrrev_i32_e32 v67, 31, v66
	v_lshlrev_b64 v[66:67], 3, v[66:67]
	v_add_co_u32 v66, vcc_lo, s6, v66
	v_add_co_ci_u32_e64 v67, null, s7, v67, vcc_lo
	s_clause 0x1
	global_load_dwordx4 v[101:104], v[66:67], off
	global_load_dwordx4 v[105:108], v[66:67], off offset:16
	s_waitcnt vmcnt(1)
	v_fmac_f32_e32 v96, v30, v101
	v_fmac_f32_e32 v95, v32, v101
	;; [unrolled: 1-line block ×5, first 2 shown]
	v_fma_f32 v66, -v31, v102, v96
	v_fma_f32 v67, -v33, v102, v95
	v_fmac_f32_e32 v91, v23, v101
	v_fmac_f32_e32 v92, v20, v102
	;; [unrolled: 1-line block ×6, first 2 shown]
	v_fma_f32 v93, -v23, v102, v93
	v_fma_f32 v79, -v21, v102, v94
	;; [unrolled: 1-line block ×4, first 2 shown]
	v_fmac_f32_e32 v91, v22, v102
	v_fmac_f32_e32 v92, v5, v103
	;; [unrolled: 1-line block ×3, first 2 shown]
	s_waitcnt vmcnt(0)
	v_fmac_f32_e32 v66, v24, v105
	v_fmac_f32_e32 v80, v32, v102
	;; [unrolled: 1-line block ×7, first 2 shown]
	v_fma_f32 v66, -v25, v106, v66
	v_fmac_f32_e32 v90, v13, v103
	v_fmac_f32_e32 v80, v15, v103
	v_fma_f32 v101, -v7, v104, v93
	v_fma_f32 v67, -v27, v106, v67
	v_fma_f32 v79, -v5, v104, v79
	v_fmac_f32_e32 v91, v6, v104
	v_fmac_f32_e32 v92, v17, v105
	;; [unrolled: 1-line block ×7, first 2 shown]
	s_clause 0x4
	global_load_dwordx4 v[30:33], v[109:110], off offset:112
	global_load_dwordx4 v[20:23], v[109:110], off offset:96
	global_load_dwordx4 v[12:15], v[109:110], off offset:80
	global_load_dwordx4 v[4:7], v[109:110], off offset:48
	global_load_dwordx4 v[93:96], v[109:110], off offset:64
	v_fmac_f32_e32 v79, v16, v105
	v_fmac_f32_e32 v91, v19, v105
	;; [unrolled: 1-line block ×3, first 2 shown]
	v_fma_f32 v109, -v9, v108, v66
	v_subrev_nc_u32_e32 v66, s2, v113
	v_fmac_f32_e32 v90, v25, v105
	v_fmac_f32_e32 v80, v27, v105
	v_fma_f32 v102, -v19, v106, v101
	v_fma_f32 v110, -v11, v108, v67
	v_subrev_nc_u32_e32 v67, s2, v114
	v_fma_f32 v79, -v17, v106, v79
	v_fmac_f32_e32 v91, v18, v106
	v_subrev_nc_u32_e32 v103, s2, v115
	v_lshlrev_b32_e32 v66, 2, v66
	v_fmac_f32_e32 v92, v1, v107
	v_fmac_f32_e32 v90, v24, v106
	;; [unrolled: 1-line block ×3, first 2 shown]
	v_lshlrev_b32_e32 v101, 2, v67
	v_fmac_f32_e32 v102, v2, v107
	v_fmac_f32_e32 v79, v0, v107
	v_fmac_f32_e32 v91, v3, v107
	v_fmac_f32_e32 v92, v0, v108
	v_lshlrev_b32_e32 v0, 2, v103
	v_ashrrev_i32_e32 v67, 31, v66
	v_fmac_f32_e32 v90, v9, v107
	v_fmac_f32_e32 v80, v11, v107
	v_fma_f32 v107, -v3, v108, v102
	v_ashrrev_i32_e32 v102, 31, v101
	v_fma_f32 v79, -v1, v108, v79
	v_fmac_f32_e32 v91, v2, v108
	v_ashrrev_i32_e32 v1, 31, v0
	v_lshlrev_b64 v[2:3], 3, v[66:67]
	v_lshlrev_b64 v[66:67], 3, v[101:102]
	s_clause 0x1
	global_load_dwordx4 v[24:27], v[111:112], off
	global_load_dwordx4 v[16:19], v[111:112], off offset:48
	v_lshlrev_b64 v[0:1], 3, v[0:1]
	v_fmac_f32_e32 v90, v8, v108
	v_add_co_u32 v101, vcc_lo, s6, v2
	v_add_co_ci_u32_e64 v102, null, s7, v3, vcc_lo
	v_add_co_u32 v66, vcc_lo, s6, v66
	v_add_co_ci_u32_e64 v67, null, s7, v67, vcc_lo
	v_add_co_u32 v105, vcc_lo, s6, v0
	v_fmac_f32_e32 v80, v10, v108
	global_load_dwordx4 v[8:11], v[111:112], off offset:32
	v_add_co_ci_u32_e64 v106, null, s7, v1, vcc_lo
	s_clause 0x1
	global_load_dwordx4 v[0:3], v[101:102], off
	global_load_dwordx4 v[101:104], v[101:102], off offset:16
	v_add_co_u32 v73, vcc_lo, v73, 64
	v_add_co_ci_u32_e64 v74, null, 0, v74, vcc_lo
	v_add_co_u32 v28, vcc_lo, 0x100, v28
	v_add_co_ci_u32_e64 v29, null, 0, v29, vcc_lo
	;; [unrolled: 2-line block ×3, first 2 shown]
	v_cmp_ge_i64_e32 vcc_lo, v[73:74], v[75:76]
	s_or_b32 s3, vcc_lo, s3
	s_waitcnt vmcnt(1)
	v_fmac_f32_e32 v109, v62, v0
	v_fmac_f32_e32 v90, v63, v0
	;; [unrolled: 1-line block ×8, first 2 shown]
	v_fma_f32 v108, -v63, v1, v109
	v_fmac_f32_e32 v90, v62, v1
	v_fma_f32 v109, -v65, v1, v110
	v_fmac_f32_e32 v80, v64, v1
	;; [unrolled: 2-line block ×4, first 2 shown]
	v_fmac_f32_e32 v108, v34, v2
	v_fmac_f32_e32 v90, v35, v2
	;; [unrolled: 1-line block ×8, first 2 shown]
	s_clause 0x1
	global_load_dwordx4 v[62:65], v[111:112], off offset:16
	global_load_dwordx4 v[38:41], v[111:112], off offset:64
	v_fma_f32 v107, -v35, v3, v108
	v_fmac_f32_e32 v90, v34, v3
	v_fma_f32 v108, -v37, v3, v109
	v_fmac_f32_e32 v80, v36, v3
	global_load_dwordx4 v[34:37], v[111:112], off offset:80
	v_fma_f32 v109, -v55, v3, v0
	v_fmac_f32_e32 v92, v54, v3
	v_fma_f32 v79, -v57, v3, v79
	v_fmac_f32_e32 v91, v56, v3
	s_clause 0x1
	global_load_dwordx4 v[0:3], v[66:67], off
	global_load_dwordx4 v[54:57], v[66:67], off offset:16
	s_waitcnt vmcnt(5)
	v_fmac_f32_e32 v107, v58, v101
	v_fmac_f32_e32 v90, v59, v101
	;; [unrolled: 1-line block ×5, first 2 shown]
	v_fma_f32 v66, -v59, v102, v107
	v_fmac_f32_e32 v90, v58, v102
	v_fma_f32 v67, -v61, v102, v108
	v_fmac_f32_e32 v80, v60, v102
	global_load_dwordx4 v[58:61], v[105:106], off
	v_fmac_f32_e32 v92, v51, v101
	v_fmac_f32_e32 v79, v52, v101
	v_fmac_f32_e32 v91, v53, v101
	v_fma_f32 v101, -v51, v102, v109
	v_fmac_f32_e32 v66, v46, v103
	v_fmac_f32_e32 v92, v50, v102
	v_fma_f32 v79, -v53, v102, v79
	v_fmac_f32_e32 v91, v52, v102
	global_load_dwordx4 v[50:53], v[111:112], off offset:96
	global_load_dwordx4 v[105:108], v[105:106], off offset:16
	v_fmac_f32_e32 v90, v47, v103
	v_fmac_f32_e32 v67, v48, v103
	;; [unrolled: 1-line block ×3, first 2 shown]
	v_fma_f32 v66, -v47, v104, v66
	v_fmac_f32_e32 v101, v42, v103
	v_fmac_f32_e32 v90, v46, v104
	v_fma_f32 v67, -v49, v104, v67
	v_fmac_f32_e32 v80, v48, v104
	global_load_dwordx4 v[46:49], v[111:112], off offset:112
	v_fmac_f32_e32 v92, v43, v103
	v_fmac_f32_e32 v79, v44, v103
	;; [unrolled: 1-line block ×3, first 2 shown]
	v_fma_f32 v43, -v43, v104, v101
	v_fmac_f32_e32 v92, v42, v104
	v_fma_f32 v42, -v45, v104, v79
	v_fmac_f32_e32 v91, v44, v104
	s_waitcnt vmcnt(5)
	v_fmac_f32_e32 v66, v81, v0
	v_fmac_f32_e32 v90, v82, v0
	v_fmac_f32_e32 v67, v83, v0
	v_fmac_f32_e32 v80, v84, v0
	v_fmac_f32_e32 v43, v97, v0
	v_fmac_f32_e32 v92, v98, v0
	v_fmac_f32_e32 v42, v99, v0
	v_fmac_f32_e32 v91, v100, v0
	v_fma_f32 v0, -v82, v1, v66
	v_fmac_f32_e32 v90, v81, v1
	v_fma_f32 v44, -v84, v1, v67
	v_fmac_f32_e32 v80, v83, v1
	v_fma_f32 v43, -v98, v1, v43
	v_fmac_f32_e32 v92, v97, v1
	v_fma_f32 v42, -v100, v1, v42
	v_fmac_f32_e32 v91, v99, v1
	v_fmac_f32_e32 v0, v85, v2
	v_fmac_f32_e32 v90, v86, v2
	v_fmac_f32_e32 v44, v87, v2
	v_fmac_f32_e32 v80, v88, v2
	v_fmac_f32_e32 v43, v4, v2
	v_fmac_f32_e32 v92, v5, v2
	v_fmac_f32_e32 v42, v6, v2
	v_fmac_f32_e32 v91, v7, v2
	v_fma_f32 v0, -v86, v3, v0
	v_fmac_f32_e32 v90, v85, v3
	v_fma_f32 v1, -v88, v3, v44
	v_fmac_f32_e32 v80, v87, v3
	v_fma_f32 v2, -v5, v3, v43
	v_fmac_f32_e32 v92, v4, v3
	v_fma_f32 v4, -v7, v3, v42
	v_fmac_f32_e32 v91, v6, v3
	s_waitcnt vmcnt(4)
	v_fmac_f32_e32 v0, v93, v54
	v_fmac_f32_e32 v90, v94, v54
	v_fmac_f32_e32 v1, v95, v54
	v_fmac_f32_e32 v80, v96, v54
	v_fmac_f32_e32 v2, v12, v54
	v_fmac_f32_e32 v92, v13, v54
	v_fmac_f32_e32 v4, v14, v54
	v_fmac_f32_e32 v91, v15, v54
	v_fma_f32 v0, -v94, v55, v0
	v_fmac_f32_e32 v90, v93, v55
	v_fma_f32 v1, -v96, v55, v1
	v_fmac_f32_e32 v80, v95, v55
	v_fma_f32 v2, -v13, v55, v2
	v_fmac_f32_e32 v92, v12, v55
	v_fma_f32 v3, -v15, v55, v4
	v_fmac_f32_e32 v91, v14, v55
	v_fmac_f32_e32 v0, v20, v56
	v_fmac_f32_e32 v90, v21, v56
	v_fmac_f32_e32 v1, v22, v56
	v_fmac_f32_e32 v80, v23, v56
	v_fmac_f32_e32 v2, v30, v56
	v_fmac_f32_e32 v92, v31, v56
	v_fmac_f32_e32 v3, v32, v56
	v_fmac_f32_e32 v91, v33, v56
	v_fma_f32 v0, -v21, v57, v0
	v_fmac_f32_e32 v90, v20, v57
	v_fma_f32 v1, -v23, v57, v1
	v_fmac_f32_e32 v80, v22, v57
	;; [unrolled: 33-line block ×3, first 2 shown]
	v_fma_f32 v2, -v17, v61, v2
	v_fmac_f32_e32 v92, v16, v61
	v_fma_f32 v3, -v19, v61, v3
	v_fmac_f32_e32 v91, v18, v61
	s_waitcnt vmcnt(1)
	v_fmac_f32_e32 v0, v38, v105
	v_fmac_f32_e32 v90, v39, v105
	;; [unrolled: 1-line block ×8, first 2 shown]
	v_fma_f32 v0, -v39, v106, v0
	v_fmac_f32_e32 v90, v38, v106
	v_fma_f32 v1, -v41, v106, v1
	v_fmac_f32_e32 v80, v40, v106
	v_fma_f32 v2, -v35, v106, v2
	v_fmac_f32_e32 v92, v34, v106
	v_fma_f32 v3, -v37, v106, v3
	v_fmac_f32_e32 v91, v36, v106
	v_fmac_f32_e32 v0, v50, v107
	v_fmac_f32_e32 v90, v51, v107
	;; [unrolled: 1-line block ×4, first 2 shown]
	s_waitcnt vmcnt(0)
	v_fmac_f32_e32 v2, v46, v107
	v_fmac_f32_e32 v92, v47, v107
	;; [unrolled: 1-line block ×4, first 2 shown]
	v_fma_f32 v96, -v51, v108, v0
	v_fmac_f32_e32 v90, v50, v108
	v_fma_f32 v95, -v53, v108, v1
	v_fmac_f32_e32 v80, v52, v108
	;; [unrolled: 2-line block ×4, first 2 shown]
	s_andn2_b32 exec_lo, exec_lo, s3
	s_cbranch_execnz .LBB32_31
; %bb.32:
	s_or_b32 exec_lo, exec_lo, s3
.LBB32_33:
	s_or_b32 exec_lo, exec_lo, s0
.LBB32_34:
	s_or_b32 exec_lo, exec_lo, s1
.LBB32_35:
	v_mbcnt_lo_u32_b32 v0, -1, 0
	v_xor_b32_e32 v1, 8, v0
	v_xor_b32_e32 v9, 4, v0
	;; [unrolled: 1-line block ×3, first 2 shown]
	v_cmp_gt_i32_e32 vcc_lo, 32, v1
	v_cndmask_b32_e32 v1, v0, v1, vcc_lo
	v_cmp_gt_i32_e32 vcc_lo, 32, v9
	v_lshlrev_b32_e32 v1, 2, v1
	v_cndmask_b32_e32 v9, v0, v9, vcc_lo
	v_cmp_gt_i32_e32 vcc_lo, 32, v17
	ds_bpermute_b32 v2, v1, v96
	ds_bpermute_b32 v3, v1, v90
	;; [unrolled: 1-line block ×8, first 2 shown]
	v_lshlrev_b32_e32 v9, 2, v9
	v_cndmask_b32_e32 v17, v0, v17, vcc_lo
	v_lshlrev_b32_e32 v17, 2, v17
	s_waitcnt lgkmcnt(7)
	v_add_f32_e32 v2, v96, v2
	s_waitcnt lgkmcnt(6)
	v_add_f32_e32 v3, v90, v3
	;; [unrolled: 2-line block ×8, first 2 shown]
	ds_bpermute_b32 v10, v9, v2
	ds_bpermute_b32 v11, v9, v3
	;; [unrolled: 1-line block ×8, first 2 shown]
	s_waitcnt lgkmcnt(7)
	v_add_f32_e32 v2, v2, v10
	s_waitcnt lgkmcnt(6)
	v_add_f32_e32 v3, v3, v11
	;; [unrolled: 2-line block ×8, first 2 shown]
	ds_bpermute_b32 v1, v17, v2
	ds_bpermute_b32 v10, v17, v3
	;; [unrolled: 1-line block ×8, first 2 shown]
	v_xor_b32_e32 v17, 1, v0
	v_cmp_gt_i32_e32 vcc_lo, 32, v17
	v_cndmask_b32_e32 v0, v0, v17, vcc_lo
	v_cmp_eq_u32_e32 vcc_lo, 15, v89
	v_lshlrev_b32_e32 v17, 2, v0
	s_waitcnt lgkmcnt(7)
	v_add_f32_e32 v0, v2, v1
	s_waitcnt lgkmcnt(6)
	v_add_f32_e32 v1, v3, v10
	;; [unrolled: 2-line block ×8, first 2 shown]
	ds_bpermute_b32 v8, v17, v0
	ds_bpermute_b32 v9, v17, v1
	;; [unrolled: 1-line block ×8, first 2 shown]
	s_and_b32 exec_lo, exec_lo, vcc_lo
	s_cbranch_execz .LBB32_8
; %bb.36:
	s_load_dwordx2 s[2:3], s[4:5], 0x50
	s_waitcnt lgkmcnt(0)
	v_add_f32_e32 v8, v0, v8
	v_add_f32_e32 v0, v1, v9
	;; [unrolled: 1-line block ×8, first 2 shown]
	v_mul_f32_e64 v4, v0, -v71
	v_mul_f32_e32 v5, v70, v0
	v_mul_f32_e64 v6, v1, -v71
	v_mul_f32_e32 v7, v70, v1
	;; [unrolled: 2-line block ×4, first 2 shown]
	v_cmp_eq_f32_e32 vcc_lo, 0, v68
	v_cmp_eq_f32_e64 s0, 0, v69
	v_fmac_f32_e32 v4, v70, v8
	v_fmac_f32_e32 v5, v71, v8
	v_lshlrev_b32_e32 v8, 2, v72
	v_fmac_f32_e32 v6, v70, v9
	v_fmac_f32_e32 v7, v71, v9
	v_fmac_f32_e32 v0, v70, v10
	v_fmac_f32_e32 v1, v71, v10
	v_fmac_f32_e32 v2, v70, v11
	v_fmac_f32_e32 v3, v71, v11
	s_and_b32 s0, vcc_lo, s0
	s_and_saveexec_b32 s1, s0
	s_xor_b32 s0, exec_lo, s1
	s_cbranch_execz .LBB32_38
; %bb.37:
	v_ashrrev_i32_e32 v9, 31, v8
                                        ; implicit-def: $vgpr68_vgpr69
	v_lshlrev_b64 v[8:9], 3, v[8:9]
	v_add_co_u32 v8, vcc_lo, s2, v8
	v_add_co_ci_u32_e64 v9, null, s3, v9, vcc_lo
	global_store_dwordx4 v[8:9], v[4:7], off
	global_store_dwordx4 v[8:9], v[0:3], off offset:16
                                        ; implicit-def: $vgpr4
                                        ; implicit-def: $vgpr8
                                        ; implicit-def: $vgpr0
.LBB32_38:
	s_andn2_saveexec_b32 s0, s0
	s_cbranch_execz .LBB32_8
; %bb.39:
	v_ashrrev_i32_e32 v9, 31, v8
	v_lshlrev_b64 v[8:9], 3, v[8:9]
	v_add_co_u32 v16, vcc_lo, s2, v8
	v_add_co_ci_u32_e64 v17, null, s3, v9, vcc_lo
	s_clause 0x1
	global_load_dwordx4 v[8:11], v[16:17], off
	global_load_dwordx4 v[12:15], v[16:17], off offset:16
	s_waitcnt vmcnt(1)
	v_fmac_f32_e32 v4, v68, v8
	v_fmac_f32_e32 v5, v69, v8
	;; [unrolled: 1-line block ×4, first 2 shown]
	s_waitcnt vmcnt(0)
	v_fmac_f32_e32 v0, v68, v12
	v_fmac_f32_e32 v1, v69, v12
	;; [unrolled: 1-line block ×4, first 2 shown]
	v_fma_f32 v4, -v69, v9, v4
	v_fmac_f32_e32 v5, v68, v9
	v_fma_f32 v6, -v69, v11, v6
	v_fmac_f32_e32 v7, v68, v11
	v_fma_f32 v0, -v69, v13, v0
	v_fmac_f32_e32 v1, v68, v13
	v_fma_f32 v2, -v69, v15, v2
	v_fmac_f32_e32 v3, v68, v15
	global_store_dwordx4 v[16:17], v[4:7], off
	global_store_dwordx4 v[16:17], v[0:3], off offset:16
	s_endpgm
	.section	.rodata,"a",@progbits
	.p2align	6, 0x0
	.amdhsa_kernel _ZN9rocsparseL18bsrxmvn_4x4_kernelILj128ELj16E21rocsparse_complex_numIfEliS2_S2_S2_EEvT3_20rocsparse_direction_NS_24const_host_device_scalarIT1_EES3_PKS3_PKT2_SC_S9_PKT4_PKT5_S7_PT6_21rocsparse_index_base_b
		.amdhsa_group_segment_fixed_size 0
		.amdhsa_private_segment_fixed_size 0
		.amdhsa_kernarg_size 96
		.amdhsa_user_sgpr_count 6
		.amdhsa_user_sgpr_private_segment_buffer 1
		.amdhsa_user_sgpr_dispatch_ptr 0
		.amdhsa_user_sgpr_queue_ptr 0
		.amdhsa_user_sgpr_kernarg_segment_ptr 1
		.amdhsa_user_sgpr_dispatch_id 0
		.amdhsa_user_sgpr_flat_scratch_init 0
		.amdhsa_user_sgpr_private_segment_size 0
		.amdhsa_wavefront_size32 1
		.amdhsa_uses_dynamic_stack 0
		.amdhsa_system_sgpr_private_segment_wavefront_offset 0
		.amdhsa_system_sgpr_workgroup_id_x 1
		.amdhsa_system_sgpr_workgroup_id_y 0
		.amdhsa_system_sgpr_workgroup_id_z 0
		.amdhsa_system_sgpr_workgroup_info 0
		.amdhsa_system_vgpr_workitem_id 0
		.amdhsa_next_free_vgpr 139
		.amdhsa_next_free_sgpr 16
		.amdhsa_reserve_vcc 1
		.amdhsa_reserve_flat_scratch 0
		.amdhsa_float_round_mode_32 0
		.amdhsa_float_round_mode_16_64 0
		.amdhsa_float_denorm_mode_32 3
		.amdhsa_float_denorm_mode_16_64 3
		.amdhsa_dx10_clamp 1
		.amdhsa_ieee_mode 1
		.amdhsa_fp16_overflow 0
		.amdhsa_workgroup_processor_mode 1
		.amdhsa_memory_ordered 1
		.amdhsa_forward_progress 1
		.amdhsa_shared_vgpr_count 0
		.amdhsa_exception_fp_ieee_invalid_op 0
		.amdhsa_exception_fp_denorm_src 0
		.amdhsa_exception_fp_ieee_div_zero 0
		.amdhsa_exception_fp_ieee_overflow 0
		.amdhsa_exception_fp_ieee_underflow 0
		.amdhsa_exception_fp_ieee_inexact 0
		.amdhsa_exception_int_div_zero 0
	.end_amdhsa_kernel
	.section	.text._ZN9rocsparseL18bsrxmvn_4x4_kernelILj128ELj16E21rocsparse_complex_numIfEliS2_S2_S2_EEvT3_20rocsparse_direction_NS_24const_host_device_scalarIT1_EES3_PKS3_PKT2_SC_S9_PKT4_PKT5_S7_PT6_21rocsparse_index_base_b,"axG",@progbits,_ZN9rocsparseL18bsrxmvn_4x4_kernelILj128ELj16E21rocsparse_complex_numIfEliS2_S2_S2_EEvT3_20rocsparse_direction_NS_24const_host_device_scalarIT1_EES3_PKS3_PKT2_SC_S9_PKT4_PKT5_S7_PT6_21rocsparse_index_base_b,comdat
.Lfunc_end32:
	.size	_ZN9rocsparseL18bsrxmvn_4x4_kernelILj128ELj16E21rocsparse_complex_numIfEliS2_S2_S2_EEvT3_20rocsparse_direction_NS_24const_host_device_scalarIT1_EES3_PKS3_PKT2_SC_S9_PKT4_PKT5_S7_PT6_21rocsparse_index_base_b, .Lfunc_end32-_ZN9rocsparseL18bsrxmvn_4x4_kernelILj128ELj16E21rocsparse_complex_numIfEliS2_S2_S2_EEvT3_20rocsparse_direction_NS_24const_host_device_scalarIT1_EES3_PKS3_PKT2_SC_S9_PKT4_PKT5_S7_PT6_21rocsparse_index_base_b
                                        ; -- End function
	.set _ZN9rocsparseL18bsrxmvn_4x4_kernelILj128ELj16E21rocsparse_complex_numIfEliS2_S2_S2_EEvT3_20rocsparse_direction_NS_24const_host_device_scalarIT1_EES3_PKS3_PKT2_SC_S9_PKT4_PKT5_S7_PT6_21rocsparse_index_base_b.num_vgpr, 139
	.set _ZN9rocsparseL18bsrxmvn_4x4_kernelILj128ELj16E21rocsparse_complex_numIfEliS2_S2_S2_EEvT3_20rocsparse_direction_NS_24const_host_device_scalarIT1_EES3_PKS3_PKT2_SC_S9_PKT4_PKT5_S7_PT6_21rocsparse_index_base_b.num_agpr, 0
	.set _ZN9rocsparseL18bsrxmvn_4x4_kernelILj128ELj16E21rocsparse_complex_numIfEliS2_S2_S2_EEvT3_20rocsparse_direction_NS_24const_host_device_scalarIT1_EES3_PKS3_PKT2_SC_S9_PKT4_PKT5_S7_PT6_21rocsparse_index_base_b.numbered_sgpr, 16
	.set _ZN9rocsparseL18bsrxmvn_4x4_kernelILj128ELj16E21rocsparse_complex_numIfEliS2_S2_S2_EEvT3_20rocsparse_direction_NS_24const_host_device_scalarIT1_EES3_PKS3_PKT2_SC_S9_PKT4_PKT5_S7_PT6_21rocsparse_index_base_b.num_named_barrier, 0
	.set _ZN9rocsparseL18bsrxmvn_4x4_kernelILj128ELj16E21rocsparse_complex_numIfEliS2_S2_S2_EEvT3_20rocsparse_direction_NS_24const_host_device_scalarIT1_EES3_PKS3_PKT2_SC_S9_PKT4_PKT5_S7_PT6_21rocsparse_index_base_b.private_seg_size, 0
	.set _ZN9rocsparseL18bsrxmvn_4x4_kernelILj128ELj16E21rocsparse_complex_numIfEliS2_S2_S2_EEvT3_20rocsparse_direction_NS_24const_host_device_scalarIT1_EES3_PKS3_PKT2_SC_S9_PKT4_PKT5_S7_PT6_21rocsparse_index_base_b.uses_vcc, 1
	.set _ZN9rocsparseL18bsrxmvn_4x4_kernelILj128ELj16E21rocsparse_complex_numIfEliS2_S2_S2_EEvT3_20rocsparse_direction_NS_24const_host_device_scalarIT1_EES3_PKS3_PKT2_SC_S9_PKT4_PKT5_S7_PT6_21rocsparse_index_base_b.uses_flat_scratch, 0
	.set _ZN9rocsparseL18bsrxmvn_4x4_kernelILj128ELj16E21rocsparse_complex_numIfEliS2_S2_S2_EEvT3_20rocsparse_direction_NS_24const_host_device_scalarIT1_EES3_PKS3_PKT2_SC_S9_PKT4_PKT5_S7_PT6_21rocsparse_index_base_b.has_dyn_sized_stack, 0
	.set _ZN9rocsparseL18bsrxmvn_4x4_kernelILj128ELj16E21rocsparse_complex_numIfEliS2_S2_S2_EEvT3_20rocsparse_direction_NS_24const_host_device_scalarIT1_EES3_PKS3_PKT2_SC_S9_PKT4_PKT5_S7_PT6_21rocsparse_index_base_b.has_recursion, 0
	.set _ZN9rocsparseL18bsrxmvn_4x4_kernelILj128ELj16E21rocsparse_complex_numIfEliS2_S2_S2_EEvT3_20rocsparse_direction_NS_24const_host_device_scalarIT1_EES3_PKS3_PKT2_SC_S9_PKT4_PKT5_S7_PT6_21rocsparse_index_base_b.has_indirect_call, 0
	.section	.AMDGPU.csdata,"",@progbits
; Kernel info:
; codeLenInByte = 7352
; TotalNumSgprs: 18
; NumVgprs: 139
; ScratchSize: 0
; MemoryBound: 0
; FloatMode: 240
; IeeeMode: 1
; LDSByteSize: 0 bytes/workgroup (compile time only)
; SGPRBlocks: 0
; VGPRBlocks: 17
; NumSGPRsForWavesPerEU: 18
; NumVGPRsForWavesPerEU: 139
; Occupancy: 7
; WaveLimiterHint : 1
; COMPUTE_PGM_RSRC2:SCRATCH_EN: 0
; COMPUTE_PGM_RSRC2:USER_SGPR: 6
; COMPUTE_PGM_RSRC2:TRAP_HANDLER: 0
; COMPUTE_PGM_RSRC2:TGID_X_EN: 1
; COMPUTE_PGM_RSRC2:TGID_Y_EN: 0
; COMPUTE_PGM_RSRC2:TGID_Z_EN: 0
; COMPUTE_PGM_RSRC2:TIDIG_COMP_CNT: 0
	.section	.text._ZN9rocsparseL18bsrxmvn_4x4_kernelILj128ELj32E21rocsparse_complex_numIfEliS2_S2_S2_EEvT3_20rocsparse_direction_NS_24const_host_device_scalarIT1_EES3_PKS3_PKT2_SC_S9_PKT4_PKT5_S7_PT6_21rocsparse_index_base_b,"axG",@progbits,_ZN9rocsparseL18bsrxmvn_4x4_kernelILj128ELj32E21rocsparse_complex_numIfEliS2_S2_S2_EEvT3_20rocsparse_direction_NS_24const_host_device_scalarIT1_EES3_PKS3_PKT2_SC_S9_PKT4_PKT5_S7_PT6_21rocsparse_index_base_b,comdat
	.globl	_ZN9rocsparseL18bsrxmvn_4x4_kernelILj128ELj32E21rocsparse_complex_numIfEliS2_S2_S2_EEvT3_20rocsparse_direction_NS_24const_host_device_scalarIT1_EES3_PKS3_PKT2_SC_S9_PKT4_PKT5_S7_PT6_21rocsparse_index_base_b ; -- Begin function _ZN9rocsparseL18bsrxmvn_4x4_kernelILj128ELj32E21rocsparse_complex_numIfEliS2_S2_S2_EEvT3_20rocsparse_direction_NS_24const_host_device_scalarIT1_EES3_PKS3_PKT2_SC_S9_PKT4_PKT5_S7_PT6_21rocsparse_index_base_b
	.p2align	8
	.type	_ZN9rocsparseL18bsrxmvn_4x4_kernelILj128ELj32E21rocsparse_complex_numIfEliS2_S2_S2_EEvT3_20rocsparse_direction_NS_24const_host_device_scalarIT1_EES3_PKS3_PKT2_SC_S9_PKT4_PKT5_S7_PT6_21rocsparse_index_base_b,@function
_ZN9rocsparseL18bsrxmvn_4x4_kernelILj128ELj32E21rocsparse_complex_numIfEliS2_S2_S2_EEvT3_20rocsparse_direction_NS_24const_host_device_scalarIT1_EES3_PKS3_PKT2_SC_S9_PKT4_PKT5_S7_PT6_21rocsparse_index_base_b: ; @_ZN9rocsparseL18bsrxmvn_4x4_kernelILj128ELj32E21rocsparse_complex_numIfEliS2_S2_S2_EEvT3_20rocsparse_direction_NS_24const_host_device_scalarIT1_EES3_PKS3_PKT2_SC_S9_PKT4_PKT5_S7_PT6_21rocsparse_index_base_b
; %bb.0:
	s_clause 0x2
	s_load_dwordx2 s[2:3], s[4:5], 0x58
	s_load_dwordx2 s[0:1], s[4:5], 0x8
	;; [unrolled: 1-line block ×3, first 2 shown]
	s_add_u32 s7, s4, 8
	s_addc_u32 s10, s5, 0
	s_add_u32 s11, s4, 0x48
	s_addc_u32 s12, s5, 0
	s_waitcnt lgkmcnt(0)
	s_bitcmp1_b32 s3, 0
	s_cselect_b32 s0, s7, s0
	s_cselect_b32 s1, s10, s1
	v_mov_b32_e32 v1, s0
	v_mov_b32_e32 v2, s1
	s_cselect_b32 s0, s11, s8
	s_cselect_b32 s1, s12, s9
	flat_load_dwordx2 v[70:71], v[1:2]
	v_mov_b32_e32 v1, s0
	v_mov_b32_e32 v2, s1
	flat_load_dwordx2 v[68:69], v[1:2]
	s_waitcnt vmcnt(1) lgkmcnt(1)
	v_cmp_eq_f32_e32 vcc_lo, 0, v70
	v_cmp_eq_f32_e64 s0, 0, v71
	s_and_b32 s3, vcc_lo, s0
	s_mov_b32 s0, -1
	s_and_saveexec_b32 s1, s3
	s_cbranch_execz .LBB33_2
; %bb.1:
	s_waitcnt vmcnt(0) lgkmcnt(0)
	v_cmp_neq_f32_e32 vcc_lo, 1.0, v68
	v_cmp_neq_f32_e64 s0, 0, v69
	s_or_b32 s0, vcc_lo, s0
	s_orn2_b32 s0, s0, exec_lo
.LBB33_2:
	s_or_b32 exec_lo, exec_lo, s1
	s_and_saveexec_b32 s1, s0
	s_cbranch_execz .LBB33_8
; %bb.3:
	s_clause 0x1
	s_load_dwordx2 s[8:9], s[4:5], 0x18
	s_load_dwordx2 s[0:1], s[4:5], 0x0
	v_lshrrev_b32_e32 v1, 5, v0
	v_lshl_or_b32 v72, s6, 2, v1
	s_waitcnt lgkmcnt(0)
	s_cmp_lg_u64 s[8:9], 0
	s_cbranch_scc0 .LBB33_9
; %bb.4:
	s_load_dword s3, s[4:5], 0x10
	s_mov_b32 s6, 0
                                        ; implicit-def: $vgpr1
	s_waitcnt lgkmcnt(0)
	v_cmp_gt_i32_e32 vcc_lo, s3, v72
	s_mov_b32 s3, 0
	s_and_saveexec_b32 s7, vcc_lo
	s_xor_b32 s7, exec_lo, s7
	s_cbranch_execz .LBB33_6
; %bb.5:
	v_ashrrev_i32_e32 v73, 31, v72
	s_mov_b32 s3, exec_lo
	v_lshlrev_b64 v[1:2], 2, v[72:73]
	v_add_co_u32 v1, vcc_lo, s8, v1
	v_add_co_ci_u32_e64 v2, null, s9, v2, vcc_lo
	global_load_dword v1, v[1:2], off
	s_waitcnt vmcnt(0)
	v_subrev_nc_u32_e32 v1, s2, v1
.LBB33_6:
	s_or_b32 exec_lo, exec_lo, s7
	s_and_b32 vcc_lo, exec_lo, s6
	s_cbranch_vccz .LBB33_10
.LBB33_7:
	v_cmp_gt_i32_e32 vcc_lo, s0, v72
	s_andn2_b32 s0, s3, exec_lo
	s_and_b32 s3, vcc_lo, exec_lo
	s_or_b32 s3, s0, s3
	s_and_b32 exec_lo, exec_lo, s3
	s_cbranch_execnz .LBB33_11
.LBB33_8:
	s_endpgm
.LBB33_9:
	s_mov_b32 s3, 0
                                        ; implicit-def: $vgpr1
	s_cbranch_execnz .LBB33_7
.LBB33_10:
	v_mov_b32_e32 v72, v1
	s_and_b32 exec_lo, exec_lo, s3
	s_cbranch_execz .LBB33_8
.LBB33_11:
	s_load_dwordx8 s[8:15], s[4:5], 0x20
	v_ashrrev_i32_e32 v73, 31, v72
	v_and_b32_e32 v89, 31, v0
	s_load_dwordx2 s[6:7], s[4:5], 0x40
	v_mov_b32_e32 v90, 0
	v_lshlrev_b64 v[1:2], 3, v[72:73]
	s_waitcnt lgkmcnt(0)
	v_add_co_u32 v3, vcc_lo, s8, v1
	v_add_co_ci_u32_e64 v4, null, s9, v2, vcc_lo
	v_add_co_u32 v1, vcc_lo, s10, v1
	v_add_co_ci_u32_e64 v2, null, s11, v2, vcc_lo
	v_add_co_u32 v5, vcc_lo, v3, 8
	global_load_dwordx2 v[81:82], v[3:4], off
	v_add_co_ci_u32_e64 v6, null, 0, v4, vcc_lo
	s_cmp_eq_u64 s[10:11], 0
	s_cselect_b32 vcc_lo, -1, 0
	s_cmp_eq_u32 s1, 1
	v_cndmask_b32_e32 v2, v2, v6, vcc_lo
	v_cndmask_b32_e32 v1, v1, v5, vcc_lo
	global_load_dwordx2 v[1:2], v[1:2], off
	s_waitcnt vmcnt(1)
	v_sub_co_u32 v0, vcc_lo, v81, s2
	v_subrev_co_ci_u32_e64 v3, null, 0, v82, vcc_lo
	v_add_co_u32 v73, vcc_lo, v0, v89
	v_add_co_ci_u32_e64 v74, null, 0, v3, vcc_lo
	s_waitcnt vmcnt(0)
	v_sub_co_u32 v75, vcc_lo, v1, s2
	v_lshlrev_b64 v[0:1], 7, v[73:74]
	v_subrev_co_ci_u32_e64 v76, null, 0, v2, vcc_lo
	v_add_co_u32 v79, vcc_lo, s14, v0
	v_cmp_lt_i64_e64 s0, v[73:74], v[75:76]
	v_add_co_ci_u32_e64 v80, null, s15, v1, vcc_lo
	s_cbranch_scc1 .LBB33_23
; %bb.12:
	v_mov_b32_e32 v96, 0
	v_mov_b32_e32 v93, 0
	;; [unrolled: 1-line block ×7, first 2 shown]
	s_and_saveexec_b32 s1, s0
	s_cbranch_execz .LBB33_22
; %bb.13:
	v_or_b32_e32 v0, 32, v89
	v_not_b32_e32 v3, v81
	v_not_b32_e32 v2, v82
	v_mov_b32_e32 v78, 0
	v_mov_b32_e32 v84, v80
	v_sub_co_u32 v0, s3, v0, s2
	v_sub_co_ci_u32_e64 v1, null, 0, 0, s3
	v_sub_co_u32 v4, s3, s2, v89
	v_add_co_u32 v0, vcc_lo, v0, v81
	v_add_co_ci_u32_e64 v1, null, v1, v82, vcc_lo
	v_sub_co_ci_u32_e64 v5, null, 0, 0, s3
	v_mov_b32_e32 v86, v74
	v_cmp_gt_i64_e32 vcc_lo, v[0:1], v[75:76]
	v_mov_b32_e32 v95, v78
	v_mov_b32_e32 v92, v78
	;; [unrolled: 1-line block ×5, first 2 shown]
	v_cndmask_b32_e32 v1, v76, v1, vcc_lo
	v_cndmask_b32_e32 v0, v75, v0, vcc_lo
	v_add_co_u32 v3, vcc_lo, v4, v3
	v_add_co_ci_u32_e64 v2, null, v5, v2, vcc_lo
	v_mov_b32_e32 v96, v78
	v_add_co_u32 v0, vcc_lo, v3, v0
	v_add_co_ci_u32_e64 v1, null, v2, v1, vcc_lo
	v_mov_b32_e32 v90, v78
	v_and_b32_e32 v77, 0x60, v0
	v_mov_b32_e32 v83, v79
	v_mov_b32_e32 v85, v73
	s_mov_b32 s3, exec_lo
	v_cmpx_ne_u64_e32 0x60, v[77:78]
	s_cbranch_execz .LBB33_17
; %bb.14:
	v_lshrrev_b32_e32 v2, 5, v0
	v_mov_b32_e32 v86, v74
	v_mov_b32_e32 v84, v80
	;; [unrolled: 1-line block ×4, first 2 shown]
	v_add_nc_u32_e32 v4, 1, v2
	v_lshlrev_b64 v[2:3], 2, v[73:74]
	v_mov_b32_e32 v83, v79
	v_mov_b32_e32 v96, 0
	;; [unrolled: 1-line block ×3, first 2 shown]
	v_and_b32_e32 v4, 3, v4
	v_mov_b32_e32 v91, 0
	v_add_co_u32 v2, vcc_lo, s12, v2
	v_add_co_ci_u32_e64 v3, null, s13, v3, vcc_lo
	v_sub_co_u32 v4, s8, 0, v4
	v_sub_co_ci_u32_e64 v5, null, 0, 0, s8
	v_mov_b32_e32 v94, 0
	v_mov_b32_e32 v92, 0
	;; [unrolled: 1-line block ×4, first 2 shown]
	s_mov_b32 s8, 0
.LBB33_15:                              ; =>This Inner Loop Header: Depth=1
	global_load_dword v38, v[2:3], off
	s_clause 0x7
	global_load_dwordx4 v[6:9], v[83:84], off offset:48
	global_load_dwordx4 v[10:13], v[83:84], off offset:32
	;; [unrolled: 1-line block ×3, first 2 shown]
	global_load_dwordx4 v[18:21], v[83:84], off
	global_load_dwordx4 v[22:25], v[83:84], off offset:112
	global_load_dwordx4 v[26:29], v[83:84], off offset:96
	;; [unrolled: 1-line block ×4, first 2 shown]
	s_waitcnt vmcnt(8)
	v_subrev_nc_u32_e32 v38, s2, v38
	v_lshlrev_b32_e32 v38, 2, v38
	v_ashrrev_i32_e32 v39, 31, v38
	v_lshlrev_b64 v[38:39], 3, v[38:39]
	v_add_co_u32 v42, vcc_lo, s6, v38
	v_add_co_ci_u32_e64 v43, null, s7, v39, vcc_lo
	v_add_co_u32 v83, vcc_lo, 0x1000, v83
	v_add_co_ci_u32_e64 v84, null, 0, v84, vcc_lo
	s_clause 0x1
	global_load_dwordx4 v[38:41], v[42:43], off
	global_load_dwordx4 v[42:45], v[42:43], off offset:16
	v_add_co_u32 v85, vcc_lo, v85, 32
	v_add_co_ci_u32_e64 v86, null, 0, v86, vcc_lo
	v_add_co_u32 v4, vcc_lo, v4, 1
	v_add_co_ci_u32_e64 v5, null, 0, v5, vcc_lo
	v_add_co_u32 v2, vcc_lo, 0x80, v2
	v_add_co_ci_u32_e64 v3, null, 0, v3, vcc_lo
	v_cmp_eq_u64_e32 vcc_lo, 0, v[4:5]
	s_or_b32 s8, vcc_lo, s8
	s_waitcnt vmcnt(1)
	v_fmac_f32_e32 v96, v18, v38
	v_fmac_f32_e32 v90, v19, v38
	;; [unrolled: 1-line block ×8, first 2 shown]
	v_fma_f32 v19, -v19, v39, v96
	v_fmac_f32_e32 v90, v18, v39
	v_fma_f32 v11, -v11, v39, v95
	v_fmac_f32_e32 v78, v10, v39
	v_fma_f32 v10, -v35, v39, v94
	v_fmac_f32_e32 v92, v34, v39
	v_fma_f32 v18, -v27, v39, v93
	v_fmac_f32_e32 v91, v26, v39
	v_fmac_f32_e32 v19, v20, v40
	v_fmac_f32_e32 v90, v21, v40
	;; [unrolled: 1-line block ×8, first 2 shown]
	v_fma_f32 v19, -v21, v41, v19
	v_fmac_f32_e32 v90, v20, v41
	v_fma_f32 v11, -v13, v41, v11
	v_fmac_f32_e32 v78, v12, v41
	;; [unrolled: 2-line block ×4, first 2 shown]
	s_waitcnt vmcnt(0)
	v_fmac_f32_e32 v19, v14, v42
	v_fmac_f32_e32 v90, v15, v42
	;; [unrolled: 1-line block ×8, first 2 shown]
	v_fma_f32 v13, -v15, v43, v19
	v_fmac_f32_e32 v90, v14, v43
	v_fma_f32 v7, -v7, v43, v11
	v_fmac_f32_e32 v78, v6, v43
	;; [unrolled: 2-line block ×4, first 2 shown]
	v_fmac_f32_e32 v13, v16, v44
	v_fmac_f32_e32 v90, v17, v44
	;; [unrolled: 1-line block ×8, first 2 shown]
	v_fma_f32 v96, -v17, v45, v13
	v_fmac_f32_e32 v90, v16, v45
	v_fma_f32 v95, -v9, v45, v7
	v_fmac_f32_e32 v78, v8, v45
	;; [unrolled: 2-line block ×4, first 2 shown]
	s_andn2_b32 exec_lo, exec_lo, s8
	s_cbranch_execnz .LBB33_15
; %bb.16:
	s_or_b32 exec_lo, exec_lo, s8
.LBB33_17:
	s_or_b32 exec_lo, exec_lo, s3
	s_mov_b32 s3, exec_lo
	v_cmpx_lt_u64_e32 0x5f, v[0:1]
	s_cbranch_execz .LBB33_21
; %bb.18:
	v_lshlrev_b64 v[0:1], 2, v[85:86]
	s_mov_b32 s8, 0
	v_add_co_u32 v0, vcc_lo, s12, v0
	v_add_co_ci_u32_e64 v1, null, s13, v1, vcc_lo
	v_add_co_u32 v87, vcc_lo, 0x100, v0
	v_add_co_ci_u32_e64 v88, null, 0, v1, vcc_lo
.LBB33_19:                              ; =>This Inner Loop Header: Depth=1
	global_load_dword v98, v[87:88], off offset:-256
	s_clause 0x7
	global_load_dwordx4 v[4:7], v[83:84], off offset:48
	global_load_dwordx4 v[16:19], v[83:84], off offset:32
	;; [unrolled: 1-line block ×3, first 2 shown]
	global_load_dwordx4 v[36:39], v[83:84], off
	global_load_dwordx4 v[0:3], v[83:84], off offset:112
	global_load_dwordx4 v[48:51], v[83:84], off offset:96
	;; [unrolled: 1-line block ×4, first 2 shown]
	s_clause 0x2
	global_load_dword v77, v[87:88], off offset:-128
	global_load_dword v97, v[87:88], off
	global_load_dword v135, v[87:88], off offset:128
	v_add_co_u32 v20, vcc_lo, 0x1000, v83
	v_add_co_ci_u32_e64 v21, null, 0, v84, vcc_lo
	v_add_co_u32 v131, vcc_lo, 0x2000, v83
	v_add_co_ci_u32_e64 v132, null, 0, v84, vcc_lo
	;; [unrolled: 2-line block ×3, first 2 shown]
	s_clause 0xe
	global_load_dwordx4 v[24:27], v[20:21], off offset:48
	global_load_dwordx4 v[99:102], v[20:21], off offset:32
	global_load_dwordx4 v[103:106], v[20:21], off
	global_load_dwordx4 v[32:35], v[20:21], off offset:16
	global_load_dwordx4 v[28:31], v[20:21], off offset:112
	;; [unrolled: 1-line block ×7, first 2 shown]
	global_load_dwordx4 v[64:67], v[131:132], off
	global_load_dwordx4 v[40:43], v[131:132], off offset:16
	global_load_dwordx4 v[44:47], v[131:132], off offset:112
	;; [unrolled: 1-line block ×4, first 2 shown]
	s_waitcnt vmcnt(26)
	v_subrev_nc_u32_e32 v98, s2, v98
	v_lshlrev_b32_e32 v123, 2, v98
	s_waitcnt vmcnt(17)
	v_subrev_nc_u32_e32 v77, s2, v77
	v_ashrrev_i32_e32 v124, 31, v123
	s_waitcnt vmcnt(16)
	v_subrev_nc_u32_e32 v97, s2, v97
	v_lshlrev_b64 v[123:124], 3, v[123:124]
	v_lshlrev_b32_e32 v97, 2, v97
	v_add_co_u32 v127, vcc_lo, s6, v123
	v_add_co_ci_u32_e64 v128, null, s7, v124, vcc_lo
	s_clause 0x1
	global_load_dwordx4 v[123:126], v[127:128], off
	global_load_dwordx4 v[127:130], v[127:128], off offset:16
	s_waitcnt vmcnt(1)
	v_fmac_f32_e32 v96, v36, v123
	v_fmac_f32_e32 v90, v37, v123
	;; [unrolled: 1-line block ×7, first 2 shown]
	v_fma_f32 v37, -v37, v124, v96
	v_fmac_f32_e32 v90, v36, v124
	v_fma_f32 v17, -v17, v124, v95
	v_fmac_f32_e32 v78, v16, v124
	;; [unrolled: 2-line block ×3, first 2 shown]
	v_fmac_f32_e32 v91, v49, v123
	v_fma_f32 v49, -v49, v124, v93
	v_fmac_f32_e32 v37, v38, v125
	v_fmac_f32_e32 v90, v39, v125
	;; [unrolled: 1-line block ×8, first 2 shown]
	v_fma_f32 v98, -v39, v126, v37
	v_fmac_f32_e32 v90, v38, v126
	global_load_dwordx4 v[36:39], v[131:132], off offset:64
	v_fma_f32 v131, -v19, v126, v17
	v_fmac_f32_e32 v78, v18, v126
	v_fma_f32 v132, -v59, v126, v57
	v_fmac_f32_e32 v92, v58, v126
	v_fmac_f32_e32 v91, v51, v125
	v_fma_f32 v136, -v51, v126, v49
	s_waitcnt vmcnt(1)
	v_fmac_f32_e32 v98, v8, v127
	v_fmac_f32_e32 v90, v9, v127
	v_fmac_f32_e32 v131, v4, v127
	v_fmac_f32_e32 v91, v50, v126
	v_fmac_f32_e32 v78, v5, v127
	v_fmac_f32_e32 v132, v12, v127
	v_fmac_f32_e32 v92, v13, v127
	v_fmac_f32_e32 v136, v0, v127
	v_fma_f32 v9, -v9, v128, v98
	v_fmac_f32_e32 v90, v8, v128
	v_fma_f32 v5, -v5, v128, v131
	v_fmac_f32_e32 v78, v4, v128
	;; [unrolled: 2-line block ×3, first 2 shown]
	v_fmac_f32_e32 v91, v1, v127
	v_fma_f32 v1, -v1, v128, v136
	v_fmac_f32_e32 v9, v10, v129
	v_fmac_f32_e32 v90, v11, v129
	;; [unrolled: 1-line block ×8, first 2 shown]
	v_lshlrev_b32_e32 v0, 2, v77
	s_clause 0x3
	global_load_dwordx4 v[16:19], v[133:134], off offset:48
	global_load_dwordx4 v[56:59], v[133:134], off offset:32
	global_load_dwordx4 v[48:51], v[133:134], off offset:112
	global_load_dwordx4 v[93:96], v[133:134], off offset:96
	v_fma_f32 v98, -v11, v130, v9
	v_fmac_f32_e32 v90, v10, v130
	global_load_dwordx4 v[8:11], v[133:134], off offset:80
	v_fma_f32 v137, -v7, v130, v5
	v_fmac_f32_e32 v78, v6, v130
	global_load_dwordx4 v[4:7], v[133:134], off offset:64
	v_fma_f32 v138, -v15, v130, v13
	v_fmac_f32_e32 v92, v14, v130
	s_clause 0x1
	global_load_dwordx4 v[12:15], v[133:134], off
	global_load_dwordx4 v[123:126], v[133:134], off offset:16
	v_fma_f32 v133, -v3, v130, v1
	v_ashrrev_i32_e32 v1, 31, v0
	v_fmac_f32_e32 v91, v3, v129
	v_subrev_nc_u32_e32 v131, s2, v135
	v_lshlrev_b64 v[0:1], 3, v[0:1]
	v_fmac_f32_e32 v91, v2, v130
	v_add_co_u32 v127, vcc_lo, s6, v0
	v_add_co_ci_u32_e64 v128, null, s7, v1, vcc_lo
	s_clause 0x1
	global_load_dwordx4 v[0:3], v[127:128], off
	global_load_dwordx4 v[127:130], v[127:128], off offset:16
	s_waitcnt vmcnt(1)
	v_fmac_f32_e32 v98, v103, v0
	v_fmac_f32_e32 v90, v104, v0
	;; [unrolled: 1-line block ×5, first 2 shown]
	v_fma_f32 v77, -v104, v1, v98
	v_ashrrev_i32_e32 v98, 31, v97
	v_fmac_f32_e32 v90, v103, v1
	v_lshlrev_b32_e32 v103, 2, v131
	v_fmac_f32_e32 v78, v99, v1
	v_fmac_f32_e32 v77, v105, v2
	v_lshlrev_b64 v[97:98], 3, v[97:98]
	v_fmac_f32_e32 v90, v106, v2
	v_ashrrev_i32_e32 v104, 31, v103
	v_fmac_f32_e32 v78, v102, v2
	v_fma_f32 v77, -v106, v3, v77
	v_fmac_f32_e32 v92, v112, v0
	v_fmac_f32_e32 v90, v105, v3
	v_add_co_u32 v105, vcc_lo, s6, v97
	v_fma_f32 v97, -v100, v1, v137
	v_lshlrev_b64 v[103:104], 3, v[103:104]
	v_add_co_ci_u32_e64 v106, null, s7, v98, vcc_lo
	v_fmac_f32_e32 v78, v101, v3
	v_fmac_f32_e32 v97, v101, v2
	;; [unrolled: 1-line block ×3, first 2 shown]
	v_add_co_u32 v131, vcc_lo, s6, v103
	v_add_co_ci_u32_e64 v132, null, s7, v104, vcc_lo
	v_fma_f32 v134, -v102, v3, v97
	s_clause 0x1
	global_load_dwordx4 v[97:100], v[105:106], off
	global_load_dwordx4 v[101:104], v[105:106], off offset:16
	v_fma_f32 v105, -v112, v1, v138
	v_fmac_f32_e32 v92, v114, v2
	v_fmac_f32_e32 v133, v107, v0
	;; [unrolled: 1-line block ×3, first 2 shown]
	s_waitcnt vmcnt(2)
	v_fmac_f32_e32 v77, v32, v127
	v_fmac_f32_e32 v105, v113, v2
	;; [unrolled: 1-line block ×3, first 2 shown]
	v_fma_f32 v0, -v108, v1, v133
	v_fmac_f32_e32 v91, v107, v1
	v_fmac_f32_e32 v90, v33, v127
	v_fma_f32 v105, -v114, v3, v105
	global_load_dwordx4 v[111:114], v[131:132], off
	v_fmac_f32_e32 v0, v109, v2
	v_fmac_f32_e32 v91, v110, v2
	v_fmac_f32_e32 v134, v24, v127
	v_fmac_f32_e32 v78, v25, v127
	v_fmac_f32_e32 v105, v60, v127
	v_fma_f32 v106, -v110, v3, v0
	v_fmac_f32_e32 v91, v109, v3
	global_load_dwordx4 v[0:3], v[131:132], off offset:16
	v_fmac_f32_e32 v92, v61, v127
	v_fma_f32 v33, -v33, v128, v77
	v_fmac_f32_e32 v106, v28, v127
	v_fmac_f32_e32 v91, v29, v127
	;; [unrolled: 1-line block ×3, first 2 shown]
	v_fma_f32 v25, -v25, v128, v134
	v_fmac_f32_e32 v78, v24, v128
	v_fma_f32 v24, -v61, v128, v105
	v_fmac_f32_e32 v92, v60, v128
	;; [unrolled: 2-line block ×3, first 2 shown]
	v_fmac_f32_e32 v33, v34, v129
	v_fmac_f32_e32 v90, v35, v129
	;; [unrolled: 1-line block ×8, first 2 shown]
	v_fma_f32 v28, -v35, v130, v33
	v_fmac_f32_e32 v90, v34, v130
	v_fma_f32 v25, -v27, v130, v25
	v_fmac_f32_e32 v78, v26, v130
	;; [unrolled: 2-line block ×4, first 2 shown]
	v_add_co_u32 v85, vcc_lo, 0x80, v85
	v_add_co_ci_u32_e64 v86, null, 0, v86, vcc_lo
	v_add_co_u32 v87, vcc_lo, 0x200, v87
	v_add_co_ci_u32_e64 v88, null, 0, v88, vcc_lo
	;; [unrolled: 2-line block ×3, first 2 shown]
	v_cmp_ge_i64_e32 vcc_lo, v[85:86], v[75:76]
	s_or_b32 s8, vcc_lo, s8
	s_waitcnt vmcnt(3)
	v_fmac_f32_e32 v28, v64, v97
	v_fmac_f32_e32 v90, v65, v97
	v_fmac_f32_e32 v25, v52, v97
	v_fmac_f32_e32 v78, v53, v97
	v_fmac_f32_e32 v24, v36, v97
	v_fmac_f32_e32 v92, v37, v97
	v_fmac_f32_e32 v26, v115, v97
	v_fmac_f32_e32 v91, v116, v97
	v_fma_f32 v27, -v65, v98, v28
	v_fmac_f32_e32 v90, v64, v98
	v_fma_f32 v25, -v53, v98, v25
	v_fmac_f32_e32 v78, v52, v98
	v_fma_f32 v24, -v37, v98, v24
	v_fmac_f32_e32 v92, v36, v98
	v_fma_f32 v26, -v116, v98, v26
	v_fmac_f32_e32 v91, v115, v98
	v_fmac_f32_e32 v27, v66, v99
	v_fmac_f32_e32 v90, v67, v99
	v_fmac_f32_e32 v25, v54, v99
	v_fmac_f32_e32 v78, v55, v99
	v_fmac_f32_e32 v24, v38, v99
	v_fmac_f32_e32 v92, v39, v99
	v_fmac_f32_e32 v26, v117, v99
	v_fmac_f32_e32 v91, v118, v99
	v_fma_f32 v27, -v67, v100, v27
	v_fmac_f32_e32 v90, v66, v100
	v_fma_f32 v25, -v55, v100, v25
	v_fmac_f32_e32 v78, v54, v100
	v_fma_f32 v24, -v39, v100, v24
	v_fmac_f32_e32 v92, v38, v100
	v_fma_f32 v26, -v118, v100, v26
	v_fmac_f32_e32 v91, v117, v100
	s_waitcnt vmcnt(2)
	v_fmac_f32_e32 v27, v40, v101
	v_fmac_f32_e32 v90, v41, v101
	v_fmac_f32_e32 v25, v20, v101
	v_fmac_f32_e32 v78, v21, v101
	v_fmac_f32_e32 v24, v119, v101
	v_fmac_f32_e32 v92, v120, v101
	v_fmac_f32_e32 v26, v44, v101
	v_fmac_f32_e32 v91, v45, v101
	v_fma_f32 v27, -v41, v102, v27
	v_fmac_f32_e32 v90, v40, v102
	v_fma_f32 v21, -v21, v102, v25
	v_fmac_f32_e32 v78, v20, v102
	v_fma_f32 v20, -v120, v102, v24
	v_fmac_f32_e32 v92, v119, v102
	v_fma_f32 v24, -v45, v102, v26
	v_fmac_f32_e32 v91, v44, v102
	v_fmac_f32_e32 v27, v42, v103
	v_fmac_f32_e32 v90, v43, v103
	v_fmac_f32_e32 v21, v22, v103
	v_fmac_f32_e32 v78, v23, v103
	v_fmac_f32_e32 v20, v121, v103
	v_fmac_f32_e32 v92, v122, v103
	v_fmac_f32_e32 v24, v46, v103
	v_fmac_f32_e32 v91, v47, v103
	v_fma_f32 v25, -v43, v104, v27
	v_fmac_f32_e32 v90, v42, v104
	v_fma_f32 v21, -v23, v104, v21
	v_fmac_f32_e32 v78, v22, v104
	v_fma_f32 v20, -v122, v104, v20
	v_fmac_f32_e32 v92, v121, v104
	v_fma_f32 v22, -v47, v104, v24
	v_fmac_f32_e32 v91, v46, v104
	;; [unrolled: 33-line block ×4, first 2 shown]
	s_andn2_b32 exec_lo, exec_lo, s8
	s_cbranch_execnz .LBB33_19
; %bb.20:
	s_or_b32 exec_lo, exec_lo, s8
.LBB33_21:
	s_or_b32 exec_lo, exec_lo, s3
.LBB33_22:
	s_or_b32 exec_lo, exec_lo, s1
	s_cbranch_execz .LBB33_24
	s_branch .LBB33_35
.LBB33_23:
                                        ; implicit-def: $vgpr90
                                        ; implicit-def: $vgpr96
                                        ; implicit-def: $vgpr93
                                        ; implicit-def: $vgpr91
                                        ; implicit-def: $vgpr94
                                        ; implicit-def: $vgpr92
                                        ; implicit-def: $vgpr95
                                        ; implicit-def: $vgpr78
.LBB33_24:
	v_mov_b32_e32 v90, 0
	v_mov_b32_e32 v96, 0
	;; [unrolled: 1-line block ×8, first 2 shown]
	s_and_saveexec_b32 s1, s0
	s_cbranch_execz .LBB33_34
; %bb.25:
	v_or_b32_e32 v0, 32, v89
	v_not_b32_e32 v3, v81
	v_not_b32_e32 v2, v82
	v_mov_b32_e32 v78, 0
	v_sub_co_u32 v0, s0, v0, s2
	v_sub_co_ci_u32_e64 v1, null, 0, 0, s0
	v_sub_co_u32 v4, s0, s2, v89
	v_add_co_u32 v0, vcc_lo, v0, v81
	v_add_co_ci_u32_e64 v1, null, v1, v82, vcc_lo
	v_sub_co_ci_u32_e64 v5, null, 0, 0, s0
	v_add_co_u32 v3, s0, v4, v3
	v_cmp_gt_i64_e32 vcc_lo, v[0:1], v[75:76]
	v_add_co_ci_u32_e64 v2, null, v5, v2, s0
	v_mov_b32_e32 v95, v78
	v_mov_b32_e32 v92, v78
	;; [unrolled: 1-line block ×3, first 2 shown]
	v_cndmask_b32_e32 v0, v75, v0, vcc_lo
	v_cndmask_b32_e32 v1, v76, v1, vcc_lo
	v_mov_b32_e32 v91, v78
	v_mov_b32_e32 v93, v78
	;; [unrolled: 1-line block ×3, first 2 shown]
	v_add_co_u32 v0, vcc_lo, v3, v0
	v_add_co_ci_u32_e64 v1, null, v2, v1, vcc_lo
	v_mov_b32_e32 v90, v78
	v_and_b32_e32 v77, 0x60, v0
	s_mov_b32 s0, exec_lo
	v_cmpx_ne_u64_e32 0x60, v[77:78]
	s_cbranch_execz .LBB33_29
; %bb.26:
	v_lshrrev_b32_e32 v2, 5, v0
	v_mov_b32_e32 v90, 0
	v_mov_b32_e32 v96, 0
	;; [unrolled: 1-line block ×4, first 2 shown]
	v_add_nc_u32_e32 v4, 1, v2
	v_lshlrev_b64 v[2:3], 2, v[73:74]
	v_mov_b32_e32 v94, 0
	v_mov_b32_e32 v92, 0
	;; [unrolled: 1-line block ×3, first 2 shown]
	v_and_b32_e32 v4, 3, v4
	v_mov_b32_e32 v78, 0
	v_add_co_u32 v2, vcc_lo, s12, v2
	v_add_co_ci_u32_e64 v3, null, s13, v3, vcc_lo
	v_sub_co_u32 v4, s3, 0, v4
	v_sub_co_ci_u32_e64 v5, null, 0, 0, s3
	s_mov_b32 s3, 0
.LBB33_27:                              ; =>This Inner Loop Header: Depth=1
	global_load_dword v18, v[2:3], off
	s_clause 0x2
	global_load_dwordx4 v[6:9], v[79:80], off offset:32
	global_load_dwordx4 v[10:13], v[79:80], off offset:16
	global_load_dwordx4 v[14:17], v[79:80], off
	s_waitcnt vmcnt(3)
	v_subrev_nc_u32_e32 v18, s2, v18
	v_lshlrev_b32_e32 v18, 2, v18
	v_ashrrev_i32_e32 v19, 31, v18
	v_lshlrev_b64 v[18:19], 3, v[18:19]
	v_add_co_u32 v22, vcc_lo, s6, v18
	v_add_co_ci_u32_e64 v23, null, s7, v19, vcc_lo
	s_clause 0x1
	global_load_dwordx4 v[18:21], v[22:23], off
	global_load_dwordx4 v[22:25], v[22:23], off offset:16
	s_clause 0x4
	global_load_dwordx4 v[26:29], v[79:80], off offset:48
	global_load_dwordx4 v[30:33], v[79:80], off offset:64
	;; [unrolled: 1-line block ×5, first 2 shown]
	v_add_co_u32 v79, vcc_lo, 0x1000, v79
	v_add_co_ci_u32_e64 v80, null, 0, v80, vcc_lo
	v_add_co_u32 v73, vcc_lo, v73, 32
	v_add_co_ci_u32_e64 v74, null, 0, v74, vcc_lo
	;; [unrolled: 2-line block ×4, first 2 shown]
	v_cmp_eq_u64_e32 vcc_lo, 0, v[4:5]
	s_or_b32 s3, vcc_lo, s3
	s_waitcnt vmcnt(6)
	v_fmac_f32_e32 v96, v14, v18
	v_fmac_f32_e32 v90, v15, v18
	;; [unrolled: 1-line block ×8, first 2 shown]
	v_fma_f32 v15, -v15, v19, v96
	v_fmac_f32_e32 v90, v14, v19
	v_fma_f32 v14, -v17, v19, v95
	v_fmac_f32_e32 v78, v16, v19
	;; [unrolled: 2-line block ×4, first 2 shown]
	v_fmac_f32_e32 v15, v6, v20
	v_fmac_f32_e32 v90, v7, v20
	;; [unrolled: 1-line block ×4, first 2 shown]
	s_waitcnt vmcnt(4)
	v_fmac_f32_e32 v11, v26, v20
	v_fmac_f32_e32 v92, v27, v20
	;; [unrolled: 1-line block ×4, first 2 shown]
	v_fma_f32 v7, -v7, v21, v15
	v_fmac_f32_e32 v90, v6, v21
	v_fma_f32 v6, -v9, v21, v14
	v_fmac_f32_e32 v78, v8, v21
	;; [unrolled: 2-line block ×4, first 2 shown]
	s_waitcnt vmcnt(3)
	v_fmac_f32_e32 v7, v30, v22
	v_fmac_f32_e32 v90, v31, v22
	;; [unrolled: 1-line block ×4, first 2 shown]
	s_waitcnt vmcnt(2)
	v_fmac_f32_e32 v8, v34, v22
	v_fmac_f32_e32 v92, v35, v22
	;; [unrolled: 1-line block ×4, first 2 shown]
	v_fma_f32 v7, -v31, v23, v7
	v_fmac_f32_e32 v90, v30, v23
	v_fma_f32 v6, -v33, v23, v6
	v_fmac_f32_e32 v78, v32, v23
	;; [unrolled: 2-line block ×4, first 2 shown]
	s_waitcnt vmcnt(1)
	v_fmac_f32_e32 v7, v38, v24
	v_fmac_f32_e32 v90, v39, v24
	v_fmac_f32_e32 v6, v40, v24
	v_fmac_f32_e32 v78, v41, v24
	s_waitcnt vmcnt(0)
	v_fmac_f32_e32 v8, v42, v24
	v_fmac_f32_e32 v92, v43, v24
	;; [unrolled: 1-line block ×4, first 2 shown]
	v_fma_f32 v96, -v39, v25, v7
	v_fmac_f32_e32 v90, v38, v25
	v_fma_f32 v95, -v41, v25, v6
	v_fmac_f32_e32 v78, v40, v25
	;; [unrolled: 2-line block ×4, first 2 shown]
	s_andn2_b32 exec_lo, exec_lo, s3
	s_cbranch_execnz .LBB33_27
; %bb.28:
	s_or_b32 exec_lo, exec_lo, s3
.LBB33_29:
	s_or_b32 exec_lo, exec_lo, s0
	s_mov_b32 s0, exec_lo
	v_cmpx_lt_u64_e32 0x5f, v[0:1]
	s_cbranch_execz .LBB33_33
; %bb.30:
	v_lshlrev_b64 v[0:1], 2, v[73:74]
	s_mov_b32 s3, 0
	v_add_co_u32 v0, vcc_lo, s12, v0
	v_add_co_ci_u32_e64 v1, null, s13, v1, vcc_lo
	v_add_co_u32 v28, vcc_lo, 0x100, v0
	v_add_co_ci_u32_e64 v29, null, 0, v1, vcc_lo
.LBB33_31:                              ; =>This Inner Loop Header: Depth=1
	global_load_dword v77, v[28:29], off offset:-256
	s_clause 0x7
	global_load_dwordx4 v[4:7], v[79:80], off offset:48
	global_load_dwordx4 v[12:15], v[79:80], off offset:32
	;; [unrolled: 1-line block ×3, first 2 shown]
	global_load_dwordx4 v[30:33], v[79:80], off
	global_load_dwordx4 v[0:3], v[79:80], off offset:112
	global_load_dwordx4 v[8:11], v[79:80], off offset:96
	;; [unrolled: 1-line block ×4, first 2 shown]
	v_add_co_u32 v62, vcc_lo, 0x1000, v79
	v_add_co_ci_u32_e64 v63, null, 0, v80, vcc_lo
	v_add_co_u32 v66, vcc_lo, 0x2000, v79
	v_add_co_ci_u32_e64 v67, null, 0, v80, vcc_lo
	;; [unrolled: 2-line block ×3, first 2 shown]
	s_clause 0x2
	global_load_dword v111, v[28:29], off offset:-128
	global_load_dword v112, v[28:29], off
	global_load_dword v113, v[28:29], off offset:128
	s_clause 0xa
	global_load_dwordx4 v[34:37], v[62:63], off offset:48
	global_load_dwordx4 v[38:41], v[62:63], off offset:32
	global_load_dwordx4 v[42:45], v[62:63], off
	global_load_dwordx4 v[46:49], v[62:63], off offset:16
	global_load_dwordx4 v[50:53], v[62:63], off offset:112
	;; [unrolled: 1-line block ×5, first 2 shown]
	global_load_dwordx4 v[81:84], v[66:67], off
	global_load_dwordx4 v[85:88], v[66:67], off offset:48
	global_load_dwordx4 v[97:100], v[66:67], off offset:32
	s_waitcnt vmcnt(22)
	v_subrev_nc_u32_e32 v77, s2, v77
	v_lshlrev_b32_e32 v101, 2, v77
	v_ashrrev_i32_e32 v102, 31, v101
	v_lshlrev_b64 v[101:102], 3, v[101:102]
	v_add_co_u32 v105, vcc_lo, s6, v101
	v_add_co_ci_u32_e64 v106, null, s7, v102, vcc_lo
	s_clause 0x1
	global_load_dwordx4 v[101:104], v[105:106], off
	global_load_dwordx4 v[105:108], v[105:106], off offset:16
	s_waitcnt vmcnt(1)
	v_fmac_f32_e32 v96, v30, v101
	v_fmac_f32_e32 v95, v32, v101
	;; [unrolled: 1-line block ×5, first 2 shown]
	v_fma_f32 v77, -v31, v102, v96
	v_fma_f32 v95, -v33, v102, v95
	v_fmac_f32_e32 v92, v21, v101
	v_fmac_f32_e32 v93, v22, v101
	;; [unrolled: 1-line block ×7, first 2 shown]
	v_fma_f32 v94, -v21, v102, v94
	v_fmac_f32_e32 v92, v20, v102
	v_fma_f32 v93, -v23, v102, v93
	v_fmac_f32_e32 v91, v22, v102
	v_fma_f32 v77, -v13, v104, v77
	v_fma_f32 v101, -v15, v104, v95
	v_fmac_f32_e32 v90, v13, v103
	v_fmac_f32_e32 v78, v15, v103
	;; [unrolled: 1-line block ×6, first 2 shown]
	s_waitcnt vmcnt(0)
	v_fmac_f32_e32 v77, v24, v105
	v_fmac_f32_e32 v101, v26, v105
	s_clause 0x1
	global_load_dwordx4 v[30:33], v[66:67], off offset:16
	global_load_dwordx4 v[20:23], v[66:67], off offset:112
	v_fmac_f32_e32 v90, v12, v104
	v_fmac_f32_e32 v78, v14, v104
	global_load_dwordx4 v[12:15], v[66:67], off offset:96
	v_fma_f32 v102, -v5, v104, v94
	v_fmac_f32_e32 v92, v4, v104
	v_fma_f32 v103, -v7, v104, v93
	v_fmac_f32_e32 v91, v6, v104
	s_clause 0x1
	global_load_dwordx4 v[4:7], v[66:67], off offset:80
	global_load_dwordx4 v[93:96], v[66:67], off offset:64
	v_fma_f32 v66, -v25, v106, v77
	v_fma_f32 v67, -v27, v106, v101
	v_fmac_f32_e32 v92, v17, v105
	v_fmac_f32_e32 v102, v16, v105
	;; [unrolled: 1-line block ×8, first 2 shown]
	v_fma_f32 v114, -v9, v108, v66
	v_subrev_nc_u32_e32 v66, s2, v111
	v_fmac_f32_e32 v78, v27, v105
	v_fma_f32 v77, -v17, v106, v102
	v_fma_f32 v102, -v19, v106, v103
	;; [unrolled: 1-line block ×3, first 2 shown]
	v_subrev_nc_u32_e32 v67, s2, v112
	v_fmac_f32_e32 v91, v18, v106
	v_subrev_nc_u32_e32 v103, s2, v113
	v_lshlrev_b32_e32 v66, 2, v66
	v_fmac_f32_e32 v92, v1, v107
	v_fmac_f32_e32 v90, v24, v106
	;; [unrolled: 1-line block ×3, first 2 shown]
	v_lshlrev_b32_e32 v101, 2, v67
	v_fmac_f32_e32 v102, v2, v107
	v_fmac_f32_e32 v77, v0, v107
	;; [unrolled: 1-line block ×4, first 2 shown]
	v_lshlrev_b32_e32 v0, 2, v103
	v_ashrrev_i32_e32 v67, 31, v66
	v_fmac_f32_e32 v90, v9, v107
	v_fmac_f32_e32 v78, v11, v107
	v_fma_f32 v107, -v3, v108, v102
	v_ashrrev_i32_e32 v102, 31, v101
	v_fma_f32 v77, -v1, v108, v77
	v_fmac_f32_e32 v91, v2, v108
	v_ashrrev_i32_e32 v1, 31, v0
	v_lshlrev_b64 v[2:3], 3, v[66:67]
	v_lshlrev_b64 v[66:67], 3, v[101:102]
	s_clause 0x1
	global_load_dwordx4 v[24:27], v[109:110], off
	global_load_dwordx4 v[16:19], v[109:110], off offset:48
	v_lshlrev_b64 v[0:1], 3, v[0:1]
	v_fmac_f32_e32 v90, v8, v108
	v_add_co_u32 v101, vcc_lo, s6, v2
	v_add_co_ci_u32_e64 v102, null, s7, v3, vcc_lo
	v_add_co_u32 v66, vcc_lo, s6, v66
	v_add_co_ci_u32_e64 v67, null, s7, v67, vcc_lo
	v_add_co_u32 v105, vcc_lo, s6, v0
	v_fmac_f32_e32 v78, v10, v108
	global_load_dwordx4 v[8:11], v[109:110], off offset:32
	v_add_co_ci_u32_e64 v106, null, s7, v1, vcc_lo
	s_clause 0x1
	global_load_dwordx4 v[0:3], v[101:102], off
	global_load_dwordx4 v[101:104], v[101:102], off offset:16
	v_add_co_u32 v73, vcc_lo, 0x80, v73
	v_add_co_ci_u32_e64 v74, null, 0, v74, vcc_lo
	v_add_co_u32 v28, vcc_lo, 0x200, v28
	v_add_co_ci_u32_e64 v29, null, 0, v29, vcc_lo
	;; [unrolled: 2-line block ×3, first 2 shown]
	v_cmp_ge_i64_e32 vcc_lo, v[73:74], v[75:76]
	s_or_b32 s3, vcc_lo, s3
	s_waitcnt vmcnt(1)
	v_fmac_f32_e32 v114, v42, v0
	v_fmac_f32_e32 v90, v43, v0
	;; [unrolled: 1-line block ×8, first 2 shown]
	v_fma_f32 v108, -v43, v1, v114
	v_fmac_f32_e32 v90, v42, v1
	v_fma_f32 v111, -v45, v1, v115
	v_fmac_f32_e32 v78, v44, v1
	v_fma_f32 v0, -v47, v1, v77
	v_fmac_f32_e32 v92, v46, v1
	v_fma_f32 v77, -v49, v1, v107
	v_fmac_f32_e32 v91, v48, v1
	v_fmac_f32_e32 v108, v38, v2
	v_fmac_f32_e32 v90, v39, v2
	;; [unrolled: 1-line block ×8, first 2 shown]
	s_clause 0x1
	global_load_dwordx4 v[42:45], v[109:110], off offset:16
	global_load_dwordx4 v[46:49], v[109:110], off offset:64
	v_fma_f32 v107, -v39, v3, v108
	v_fmac_f32_e32 v90, v38, v3
	v_fma_f32 v108, -v41, v3, v111
	v_fmac_f32_e32 v78, v40, v3
	global_load_dwordx4 v[38:41], v[109:110], off offset:80
	v_fma_f32 v111, -v35, v3, v0
	v_fmac_f32_e32 v92, v34, v3
	v_fma_f32 v77, -v37, v3, v77
	v_fmac_f32_e32 v91, v36, v3
	s_clause 0x1
	global_load_dwordx4 v[0:3], v[66:67], off
	global_load_dwordx4 v[34:37], v[66:67], off offset:16
	s_waitcnt vmcnt(5)
	v_fmac_f32_e32 v107, v62, v101
	v_fmac_f32_e32 v90, v63, v101
	;; [unrolled: 1-line block ×5, first 2 shown]
	v_fma_f32 v66, -v63, v102, v107
	v_fmac_f32_e32 v90, v62, v102
	v_fma_f32 v67, -v65, v102, v108
	v_fmac_f32_e32 v78, v64, v102
	global_load_dwordx4 v[62:65], v[105:106], off
	v_fmac_f32_e32 v92, v59, v101
	v_fmac_f32_e32 v77, v60, v101
	;; [unrolled: 1-line block ×3, first 2 shown]
	v_fma_f32 v101, -v59, v102, v111
	v_fmac_f32_e32 v66, v54, v103
	v_fmac_f32_e32 v92, v58, v102
	v_fma_f32 v77, -v61, v102, v77
	v_fmac_f32_e32 v91, v60, v102
	global_load_dwordx4 v[58:61], v[109:110], off offset:96
	global_load_dwordx4 v[105:108], v[105:106], off offset:16
	v_fmac_f32_e32 v90, v55, v103
	v_fmac_f32_e32 v67, v56, v103
	;; [unrolled: 1-line block ×3, first 2 shown]
	v_fma_f32 v66, -v55, v104, v66
	v_fmac_f32_e32 v101, v50, v103
	v_fmac_f32_e32 v90, v54, v104
	v_fma_f32 v67, -v57, v104, v67
	v_fmac_f32_e32 v78, v56, v104
	global_load_dwordx4 v[54:57], v[109:110], off offset:112
	v_fmac_f32_e32 v92, v51, v103
	v_fmac_f32_e32 v77, v52, v103
	;; [unrolled: 1-line block ×3, first 2 shown]
	v_fma_f32 v51, -v51, v104, v101
	v_fmac_f32_e32 v92, v50, v104
	v_fma_f32 v50, -v53, v104, v77
	v_fmac_f32_e32 v91, v52, v104
	s_waitcnt vmcnt(5)
	v_fmac_f32_e32 v66, v81, v0
	v_fmac_f32_e32 v90, v82, v0
	v_fmac_f32_e32 v67, v83, v0
	v_fmac_f32_e32 v78, v84, v0
	v_fmac_f32_e32 v51, v30, v0
	v_fmac_f32_e32 v92, v31, v0
	v_fmac_f32_e32 v50, v32, v0
	v_fmac_f32_e32 v91, v33, v0
	v_fma_f32 v0, -v82, v1, v66
	v_fmac_f32_e32 v90, v81, v1
	v_fma_f32 v52, -v84, v1, v67
	v_fmac_f32_e32 v78, v83, v1
	v_fma_f32 v31, -v31, v1, v51
	v_fmac_f32_e32 v92, v30, v1
	v_fma_f32 v30, -v33, v1, v50
	v_fmac_f32_e32 v91, v32, v1
	v_fmac_f32_e32 v0, v97, v2
	v_fmac_f32_e32 v90, v98, v2
	v_fmac_f32_e32 v52, v99, v2
	v_fmac_f32_e32 v78, v100, v2
	v_fmac_f32_e32 v31, v85, v2
	v_fmac_f32_e32 v92, v86, v2
	v_fmac_f32_e32 v30, v87, v2
	v_fmac_f32_e32 v91, v88, v2
	v_fma_f32 v0, -v98, v3, v0
	v_fmac_f32_e32 v90, v97, v3
	v_fma_f32 v1, -v100, v3, v52
	v_fmac_f32_e32 v78, v99, v3
	v_fma_f32 v2, -v86, v3, v31
	v_fmac_f32_e32 v92, v85, v3
	v_fma_f32 v30, -v88, v3, v30
	v_fmac_f32_e32 v91, v87, v3
	s_waitcnt vmcnt(4)
	v_fmac_f32_e32 v0, v93, v34
	v_fmac_f32_e32 v90, v94, v34
	v_fmac_f32_e32 v1, v95, v34
	v_fmac_f32_e32 v78, v96, v34
	v_fmac_f32_e32 v2, v4, v34
	v_fmac_f32_e32 v92, v5, v34
	v_fmac_f32_e32 v30, v6, v34
	v_fmac_f32_e32 v91, v7, v34
	v_fma_f32 v0, -v94, v35, v0
	v_fmac_f32_e32 v90, v93, v35
	v_fma_f32 v1, -v96, v35, v1
	v_fmac_f32_e32 v78, v95, v35
	v_fma_f32 v2, -v5, v35, v2
	v_fmac_f32_e32 v92, v4, v35
	v_fma_f32 v3, -v7, v35, v30
	v_fmac_f32_e32 v91, v6, v35
	v_fmac_f32_e32 v0, v12, v36
	v_fmac_f32_e32 v90, v13, v36
	v_fmac_f32_e32 v1, v14, v36
	v_fmac_f32_e32 v78, v15, v36
	v_fmac_f32_e32 v2, v20, v36
	v_fmac_f32_e32 v92, v21, v36
	v_fmac_f32_e32 v3, v22, v36
	v_fmac_f32_e32 v91, v23, v36
	v_fma_f32 v0, -v13, v37, v0
	v_fmac_f32_e32 v90, v12, v37
	v_fma_f32 v1, -v15, v37, v1
	v_fmac_f32_e32 v78, v14, v37
	;; [unrolled: 33-line block ×3, first 2 shown]
	v_fma_f32 v2, -v17, v65, v2
	v_fmac_f32_e32 v92, v16, v65
	v_fma_f32 v3, -v19, v65, v3
	v_fmac_f32_e32 v91, v18, v65
	s_waitcnt vmcnt(1)
	v_fmac_f32_e32 v0, v46, v105
	v_fmac_f32_e32 v90, v47, v105
	;; [unrolled: 1-line block ×8, first 2 shown]
	v_fma_f32 v0, -v47, v106, v0
	v_fmac_f32_e32 v90, v46, v106
	v_fma_f32 v1, -v49, v106, v1
	v_fmac_f32_e32 v78, v48, v106
	;; [unrolled: 2-line block ×4, first 2 shown]
	v_fmac_f32_e32 v0, v58, v107
	v_fmac_f32_e32 v90, v59, v107
	;; [unrolled: 1-line block ×4, first 2 shown]
	s_waitcnt vmcnt(0)
	v_fmac_f32_e32 v2, v54, v107
	v_fmac_f32_e32 v92, v55, v107
	;; [unrolled: 1-line block ×4, first 2 shown]
	v_fma_f32 v96, -v59, v108, v0
	v_fmac_f32_e32 v90, v58, v108
	v_fma_f32 v95, -v61, v108, v1
	v_fmac_f32_e32 v78, v60, v108
	;; [unrolled: 2-line block ×4, first 2 shown]
	s_andn2_b32 exec_lo, exec_lo, s3
	s_cbranch_execnz .LBB33_31
; %bb.32:
	s_or_b32 exec_lo, exec_lo, s3
.LBB33_33:
	s_or_b32 exec_lo, exec_lo, s0
.LBB33_34:
	s_or_b32 exec_lo, exec_lo, s1
.LBB33_35:
	v_mbcnt_lo_u32_b32 v0, -1, 0
	v_xor_b32_e32 v1, 16, v0
	v_xor_b32_e32 v9, 8, v0
	;; [unrolled: 1-line block ×3, first 2 shown]
	v_cmp_gt_i32_e32 vcc_lo, 32, v1
	v_cndmask_b32_e32 v1, v0, v1, vcc_lo
	v_cmp_gt_i32_e32 vcc_lo, 32, v9
	v_lshlrev_b32_e32 v1, 2, v1
	v_cndmask_b32_e32 v9, v0, v9, vcc_lo
	v_cmp_gt_i32_e32 vcc_lo, 32, v17
	ds_bpermute_b32 v2, v1, v96
	ds_bpermute_b32 v3, v1, v90
	;; [unrolled: 1-line block ×8, first 2 shown]
	v_lshlrev_b32_e32 v9, 2, v9
	v_cndmask_b32_e32 v17, v0, v17, vcc_lo
	v_lshlrev_b32_e32 v17, 2, v17
	s_waitcnt lgkmcnt(7)
	v_add_f32_e32 v2, v96, v2
	s_waitcnt lgkmcnt(6)
	v_add_f32_e32 v3, v90, v3
	;; [unrolled: 2-line block ×8, first 2 shown]
	ds_bpermute_b32 v10, v9, v2
	ds_bpermute_b32 v11, v9, v3
	;; [unrolled: 1-line block ×8, first 2 shown]
	s_waitcnt lgkmcnt(7)
	v_add_f32_e32 v2, v2, v10
	s_waitcnt lgkmcnt(6)
	v_add_f32_e32 v3, v3, v11
	s_waitcnt lgkmcnt(5)
	v_add_f32_e32 v4, v4, v12
	s_waitcnt lgkmcnt(4)
	v_add_f32_e32 v5, v5, v13
	s_waitcnt lgkmcnt(3)
	v_add_f32_e32 v6, v6, v14
	s_waitcnt lgkmcnt(2)
	v_add_f32_e32 v7, v7, v15
	s_waitcnt lgkmcnt(1)
	v_add_f32_e32 v8, v8, v16
	s_waitcnt lgkmcnt(0)
	v_add_f32_e32 v1, v1, v9
	ds_bpermute_b32 v9, v17, v2
	ds_bpermute_b32 v10, v17, v3
	;; [unrolled: 1-line block ×8, first 2 shown]
	v_xor_b32_e32 v17, 2, v0
	v_cmp_gt_i32_e32 vcc_lo, 32, v17
	v_cndmask_b32_e32 v17, v0, v17, vcc_lo
	s_waitcnt lgkmcnt(7)
	v_add_f32_e32 v2, v2, v9
	s_waitcnt lgkmcnt(6)
	v_add_f32_e32 v3, v3, v10
	;; [unrolled: 2-line block ×3, first 2 shown]
	v_lshlrev_b32_e32 v17, 2, v17
	s_waitcnt lgkmcnt(4)
	v_add_f32_e32 v5, v5, v12
	s_waitcnt lgkmcnt(3)
	v_add_f32_e32 v6, v6, v13
	;; [unrolled: 2-line block ×5, first 2 shown]
	ds_bpermute_b32 v1, v17, v2
	ds_bpermute_b32 v10, v17, v3
	;; [unrolled: 1-line block ×8, first 2 shown]
	v_xor_b32_e32 v17, 1, v0
	v_cmp_gt_i32_e32 vcc_lo, 32, v17
	v_cndmask_b32_e32 v0, v0, v17, vcc_lo
	v_cmp_eq_u32_e32 vcc_lo, 31, v89
	v_lshlrev_b32_e32 v17, 2, v0
	s_waitcnt lgkmcnt(7)
	v_add_f32_e32 v0, v2, v1
	s_waitcnt lgkmcnt(6)
	v_add_f32_e32 v1, v3, v10
	;; [unrolled: 2-line block ×8, first 2 shown]
	ds_bpermute_b32 v8, v17, v0
	ds_bpermute_b32 v9, v17, v1
	;; [unrolled: 1-line block ×8, first 2 shown]
	s_and_b32 exec_lo, exec_lo, vcc_lo
	s_cbranch_execz .LBB33_8
; %bb.36:
	s_load_dwordx2 s[2:3], s[4:5], 0x50
	s_waitcnt lgkmcnt(0)
	v_add_f32_e32 v8, v0, v8
	v_add_f32_e32 v0, v1, v9
	;; [unrolled: 1-line block ×8, first 2 shown]
	v_mul_f32_e64 v4, v0, -v71
	v_mul_f32_e32 v5, v70, v0
	v_mul_f32_e64 v6, v1, -v71
	v_mul_f32_e32 v7, v70, v1
	;; [unrolled: 2-line block ×4, first 2 shown]
	v_cmp_eq_f32_e32 vcc_lo, 0, v68
	v_cmp_eq_f32_e64 s0, 0, v69
	v_fmac_f32_e32 v4, v70, v8
	v_fmac_f32_e32 v5, v71, v8
	v_lshlrev_b32_e32 v8, 2, v72
	v_fmac_f32_e32 v6, v70, v9
	v_fmac_f32_e32 v7, v71, v9
	;; [unrolled: 1-line block ×6, first 2 shown]
	s_and_b32 s0, vcc_lo, s0
	s_and_saveexec_b32 s1, s0
	s_xor_b32 s0, exec_lo, s1
	s_cbranch_execz .LBB33_38
; %bb.37:
	v_ashrrev_i32_e32 v9, 31, v8
                                        ; implicit-def: $vgpr68_vgpr69
	v_lshlrev_b64 v[8:9], 3, v[8:9]
	v_add_co_u32 v8, vcc_lo, s2, v8
	v_add_co_ci_u32_e64 v9, null, s3, v9, vcc_lo
	global_store_dwordx4 v[8:9], v[4:7], off
	global_store_dwordx4 v[8:9], v[0:3], off offset:16
                                        ; implicit-def: $vgpr4
                                        ; implicit-def: $vgpr8
                                        ; implicit-def: $vgpr0
.LBB33_38:
	s_andn2_saveexec_b32 s0, s0
	s_cbranch_execz .LBB33_8
; %bb.39:
	v_ashrrev_i32_e32 v9, 31, v8
	v_lshlrev_b64 v[8:9], 3, v[8:9]
	v_add_co_u32 v16, vcc_lo, s2, v8
	v_add_co_ci_u32_e64 v17, null, s3, v9, vcc_lo
	s_clause 0x1
	global_load_dwordx4 v[8:11], v[16:17], off
	global_load_dwordx4 v[12:15], v[16:17], off offset:16
	s_waitcnt vmcnt(1)
	v_fmac_f32_e32 v4, v68, v8
	v_fmac_f32_e32 v5, v69, v8
	;; [unrolled: 1-line block ×4, first 2 shown]
	s_waitcnt vmcnt(0)
	v_fmac_f32_e32 v0, v68, v12
	v_fmac_f32_e32 v1, v69, v12
	v_fmac_f32_e32 v2, v68, v14
	v_fmac_f32_e32 v3, v69, v14
	v_fma_f32 v4, -v69, v9, v4
	v_fmac_f32_e32 v5, v68, v9
	v_fma_f32 v6, -v69, v11, v6
	v_fmac_f32_e32 v7, v68, v11
	;; [unrolled: 2-line block ×4, first 2 shown]
	global_store_dwordx4 v[16:17], v[4:7], off
	global_store_dwordx4 v[16:17], v[0:3], off offset:16
	s_endpgm
	.section	.rodata,"a",@progbits
	.p2align	6, 0x0
	.amdhsa_kernel _ZN9rocsparseL18bsrxmvn_4x4_kernelILj128ELj32E21rocsparse_complex_numIfEliS2_S2_S2_EEvT3_20rocsparse_direction_NS_24const_host_device_scalarIT1_EES3_PKS3_PKT2_SC_S9_PKT4_PKT5_S7_PT6_21rocsparse_index_base_b
		.amdhsa_group_segment_fixed_size 0
		.amdhsa_private_segment_fixed_size 0
		.amdhsa_kernarg_size 96
		.amdhsa_user_sgpr_count 6
		.amdhsa_user_sgpr_private_segment_buffer 1
		.amdhsa_user_sgpr_dispatch_ptr 0
		.amdhsa_user_sgpr_queue_ptr 0
		.amdhsa_user_sgpr_kernarg_segment_ptr 1
		.amdhsa_user_sgpr_dispatch_id 0
		.amdhsa_user_sgpr_flat_scratch_init 0
		.amdhsa_user_sgpr_private_segment_size 0
		.amdhsa_wavefront_size32 1
		.amdhsa_uses_dynamic_stack 0
		.amdhsa_system_sgpr_private_segment_wavefront_offset 0
		.amdhsa_system_sgpr_workgroup_id_x 1
		.amdhsa_system_sgpr_workgroup_id_y 0
		.amdhsa_system_sgpr_workgroup_id_z 0
		.amdhsa_system_sgpr_workgroup_info 0
		.amdhsa_system_vgpr_workitem_id 0
		.amdhsa_next_free_vgpr 139
		.amdhsa_next_free_sgpr 16
		.amdhsa_reserve_vcc 1
		.amdhsa_reserve_flat_scratch 0
		.amdhsa_float_round_mode_32 0
		.amdhsa_float_round_mode_16_64 0
		.amdhsa_float_denorm_mode_32 3
		.amdhsa_float_denorm_mode_16_64 3
		.amdhsa_dx10_clamp 1
		.amdhsa_ieee_mode 1
		.amdhsa_fp16_overflow 0
		.amdhsa_workgroup_processor_mode 1
		.amdhsa_memory_ordered 1
		.amdhsa_forward_progress 1
		.amdhsa_shared_vgpr_count 0
		.amdhsa_exception_fp_ieee_invalid_op 0
		.amdhsa_exception_fp_denorm_src 0
		.amdhsa_exception_fp_ieee_div_zero 0
		.amdhsa_exception_fp_ieee_overflow 0
		.amdhsa_exception_fp_ieee_underflow 0
		.amdhsa_exception_fp_ieee_inexact 0
		.amdhsa_exception_int_div_zero 0
	.end_amdhsa_kernel
	.section	.text._ZN9rocsparseL18bsrxmvn_4x4_kernelILj128ELj32E21rocsparse_complex_numIfEliS2_S2_S2_EEvT3_20rocsparse_direction_NS_24const_host_device_scalarIT1_EES3_PKS3_PKT2_SC_S9_PKT4_PKT5_S7_PT6_21rocsparse_index_base_b,"axG",@progbits,_ZN9rocsparseL18bsrxmvn_4x4_kernelILj128ELj32E21rocsparse_complex_numIfEliS2_S2_S2_EEvT3_20rocsparse_direction_NS_24const_host_device_scalarIT1_EES3_PKS3_PKT2_SC_S9_PKT4_PKT5_S7_PT6_21rocsparse_index_base_b,comdat
.Lfunc_end33:
	.size	_ZN9rocsparseL18bsrxmvn_4x4_kernelILj128ELj32E21rocsparse_complex_numIfEliS2_S2_S2_EEvT3_20rocsparse_direction_NS_24const_host_device_scalarIT1_EES3_PKS3_PKT2_SC_S9_PKT4_PKT5_S7_PT6_21rocsparse_index_base_b, .Lfunc_end33-_ZN9rocsparseL18bsrxmvn_4x4_kernelILj128ELj32E21rocsparse_complex_numIfEliS2_S2_S2_EEvT3_20rocsparse_direction_NS_24const_host_device_scalarIT1_EES3_PKS3_PKT2_SC_S9_PKT4_PKT5_S7_PT6_21rocsparse_index_base_b
                                        ; -- End function
	.set _ZN9rocsparseL18bsrxmvn_4x4_kernelILj128ELj32E21rocsparse_complex_numIfEliS2_S2_S2_EEvT3_20rocsparse_direction_NS_24const_host_device_scalarIT1_EES3_PKS3_PKT2_SC_S9_PKT4_PKT5_S7_PT6_21rocsparse_index_base_b.num_vgpr, 139
	.set _ZN9rocsparseL18bsrxmvn_4x4_kernelILj128ELj32E21rocsparse_complex_numIfEliS2_S2_S2_EEvT3_20rocsparse_direction_NS_24const_host_device_scalarIT1_EES3_PKS3_PKT2_SC_S9_PKT4_PKT5_S7_PT6_21rocsparse_index_base_b.num_agpr, 0
	.set _ZN9rocsparseL18bsrxmvn_4x4_kernelILj128ELj32E21rocsparse_complex_numIfEliS2_S2_S2_EEvT3_20rocsparse_direction_NS_24const_host_device_scalarIT1_EES3_PKS3_PKT2_SC_S9_PKT4_PKT5_S7_PT6_21rocsparse_index_base_b.numbered_sgpr, 16
	.set _ZN9rocsparseL18bsrxmvn_4x4_kernelILj128ELj32E21rocsparse_complex_numIfEliS2_S2_S2_EEvT3_20rocsparse_direction_NS_24const_host_device_scalarIT1_EES3_PKS3_PKT2_SC_S9_PKT4_PKT5_S7_PT6_21rocsparse_index_base_b.num_named_barrier, 0
	.set _ZN9rocsparseL18bsrxmvn_4x4_kernelILj128ELj32E21rocsparse_complex_numIfEliS2_S2_S2_EEvT3_20rocsparse_direction_NS_24const_host_device_scalarIT1_EES3_PKS3_PKT2_SC_S9_PKT4_PKT5_S7_PT6_21rocsparse_index_base_b.private_seg_size, 0
	.set _ZN9rocsparseL18bsrxmvn_4x4_kernelILj128ELj32E21rocsparse_complex_numIfEliS2_S2_S2_EEvT3_20rocsparse_direction_NS_24const_host_device_scalarIT1_EES3_PKS3_PKT2_SC_S9_PKT4_PKT5_S7_PT6_21rocsparse_index_base_b.uses_vcc, 1
	.set _ZN9rocsparseL18bsrxmvn_4x4_kernelILj128ELj32E21rocsparse_complex_numIfEliS2_S2_S2_EEvT3_20rocsparse_direction_NS_24const_host_device_scalarIT1_EES3_PKS3_PKT2_SC_S9_PKT4_PKT5_S7_PT6_21rocsparse_index_base_b.uses_flat_scratch, 0
	.set _ZN9rocsparseL18bsrxmvn_4x4_kernelILj128ELj32E21rocsparse_complex_numIfEliS2_S2_S2_EEvT3_20rocsparse_direction_NS_24const_host_device_scalarIT1_EES3_PKS3_PKT2_SC_S9_PKT4_PKT5_S7_PT6_21rocsparse_index_base_b.has_dyn_sized_stack, 0
	.set _ZN9rocsparseL18bsrxmvn_4x4_kernelILj128ELj32E21rocsparse_complex_numIfEliS2_S2_S2_EEvT3_20rocsparse_direction_NS_24const_host_device_scalarIT1_EES3_PKS3_PKT2_SC_S9_PKT4_PKT5_S7_PT6_21rocsparse_index_base_b.has_recursion, 0
	.set _ZN9rocsparseL18bsrxmvn_4x4_kernelILj128ELj32E21rocsparse_complex_numIfEliS2_S2_S2_EEvT3_20rocsparse_direction_NS_24const_host_device_scalarIT1_EES3_PKS3_PKT2_SC_S9_PKT4_PKT5_S7_PT6_21rocsparse_index_base_b.has_indirect_call, 0
	.section	.AMDGPU.csdata,"",@progbits
; Kernel info:
; codeLenInByte = 7500
; TotalNumSgprs: 18
; NumVgprs: 139
; ScratchSize: 0
; MemoryBound: 0
; FloatMode: 240
; IeeeMode: 1
; LDSByteSize: 0 bytes/workgroup (compile time only)
; SGPRBlocks: 0
; VGPRBlocks: 17
; NumSGPRsForWavesPerEU: 18
; NumVGPRsForWavesPerEU: 139
; Occupancy: 7
; WaveLimiterHint : 1
; COMPUTE_PGM_RSRC2:SCRATCH_EN: 0
; COMPUTE_PGM_RSRC2:USER_SGPR: 6
; COMPUTE_PGM_RSRC2:TRAP_HANDLER: 0
; COMPUTE_PGM_RSRC2:TGID_X_EN: 1
; COMPUTE_PGM_RSRC2:TGID_Y_EN: 0
; COMPUTE_PGM_RSRC2:TGID_Z_EN: 0
; COMPUTE_PGM_RSRC2:TIDIG_COMP_CNT: 0
	.section	.text._ZN9rocsparseL18bsrxmvn_4x4_kernelILj128ELj64E21rocsparse_complex_numIfEliS2_S2_S2_EEvT3_20rocsparse_direction_NS_24const_host_device_scalarIT1_EES3_PKS3_PKT2_SC_S9_PKT4_PKT5_S7_PT6_21rocsparse_index_base_b,"axG",@progbits,_ZN9rocsparseL18bsrxmvn_4x4_kernelILj128ELj64E21rocsparse_complex_numIfEliS2_S2_S2_EEvT3_20rocsparse_direction_NS_24const_host_device_scalarIT1_EES3_PKS3_PKT2_SC_S9_PKT4_PKT5_S7_PT6_21rocsparse_index_base_b,comdat
	.globl	_ZN9rocsparseL18bsrxmvn_4x4_kernelILj128ELj64E21rocsparse_complex_numIfEliS2_S2_S2_EEvT3_20rocsparse_direction_NS_24const_host_device_scalarIT1_EES3_PKS3_PKT2_SC_S9_PKT4_PKT5_S7_PT6_21rocsparse_index_base_b ; -- Begin function _ZN9rocsparseL18bsrxmvn_4x4_kernelILj128ELj64E21rocsparse_complex_numIfEliS2_S2_S2_EEvT3_20rocsparse_direction_NS_24const_host_device_scalarIT1_EES3_PKS3_PKT2_SC_S9_PKT4_PKT5_S7_PT6_21rocsparse_index_base_b
	.p2align	8
	.type	_ZN9rocsparseL18bsrxmvn_4x4_kernelILj128ELj64E21rocsparse_complex_numIfEliS2_S2_S2_EEvT3_20rocsparse_direction_NS_24const_host_device_scalarIT1_EES3_PKS3_PKT2_SC_S9_PKT4_PKT5_S7_PT6_21rocsparse_index_base_b,@function
_ZN9rocsparseL18bsrxmvn_4x4_kernelILj128ELj64E21rocsparse_complex_numIfEliS2_S2_S2_EEvT3_20rocsparse_direction_NS_24const_host_device_scalarIT1_EES3_PKS3_PKT2_SC_S9_PKT4_PKT5_S7_PT6_21rocsparse_index_base_b: ; @_ZN9rocsparseL18bsrxmvn_4x4_kernelILj128ELj64E21rocsparse_complex_numIfEliS2_S2_S2_EEvT3_20rocsparse_direction_NS_24const_host_device_scalarIT1_EES3_PKS3_PKT2_SC_S9_PKT4_PKT5_S7_PT6_21rocsparse_index_base_b
; %bb.0:
	s_clause 0x2
	s_load_dwordx2 s[2:3], s[4:5], 0x58
	s_load_dwordx2 s[0:1], s[4:5], 0x8
	;; [unrolled: 1-line block ×3, first 2 shown]
	s_add_u32 s7, s4, 8
	s_addc_u32 s10, s5, 0
	s_add_u32 s11, s4, 0x48
	s_addc_u32 s12, s5, 0
	s_waitcnt lgkmcnt(0)
	s_bitcmp1_b32 s3, 0
	s_cselect_b32 s0, s7, s0
	s_cselect_b32 s1, s10, s1
	v_mov_b32_e32 v1, s0
	v_mov_b32_e32 v2, s1
	s_cselect_b32 s0, s11, s8
	s_cselect_b32 s1, s12, s9
	flat_load_dwordx2 v[70:71], v[1:2]
	v_mov_b32_e32 v1, s0
	v_mov_b32_e32 v2, s1
	flat_load_dwordx2 v[68:69], v[1:2]
	s_waitcnt vmcnt(1) lgkmcnt(1)
	v_cmp_eq_f32_e32 vcc_lo, 0, v70
	v_cmp_eq_f32_e64 s0, 0, v71
	s_and_b32 s3, vcc_lo, s0
	s_mov_b32 s0, -1
	s_and_saveexec_b32 s1, s3
	s_cbranch_execz .LBB34_2
; %bb.1:
	s_waitcnt vmcnt(0) lgkmcnt(0)
	v_cmp_neq_f32_e32 vcc_lo, 1.0, v68
	v_cmp_neq_f32_e64 s0, 0, v69
	s_or_b32 s0, vcc_lo, s0
	s_orn2_b32 s0, s0, exec_lo
.LBB34_2:
	s_or_b32 exec_lo, exec_lo, s1
	s_and_saveexec_b32 s1, s0
	s_cbranch_execz .LBB34_8
; %bb.3:
	s_clause 0x1
	s_load_dwordx2 s[8:9], s[4:5], 0x18
	s_load_dwordx2 s[0:1], s[4:5], 0x0
	v_lshrrev_b32_e32 v1, 6, v0
	v_lshl_or_b32 v72, s6, 1, v1
	s_waitcnt lgkmcnt(0)
	s_cmp_lg_u64 s[8:9], 0
	s_cbranch_scc0 .LBB34_9
; %bb.4:
	s_load_dword s3, s[4:5], 0x10
	s_mov_b32 s6, 0
                                        ; implicit-def: $vgpr1
	s_waitcnt lgkmcnt(0)
	v_cmp_gt_i32_e32 vcc_lo, s3, v72
	s_mov_b32 s3, 0
	s_and_saveexec_b32 s7, vcc_lo
	s_xor_b32 s7, exec_lo, s7
	s_cbranch_execz .LBB34_6
; %bb.5:
	v_ashrrev_i32_e32 v73, 31, v72
	s_mov_b32 s3, exec_lo
	v_lshlrev_b64 v[1:2], 2, v[72:73]
	v_add_co_u32 v1, vcc_lo, s8, v1
	v_add_co_ci_u32_e64 v2, null, s9, v2, vcc_lo
	global_load_dword v1, v[1:2], off
	s_waitcnt vmcnt(0)
	v_subrev_nc_u32_e32 v1, s2, v1
.LBB34_6:
	s_or_b32 exec_lo, exec_lo, s7
	s_and_b32 vcc_lo, exec_lo, s6
	s_cbranch_vccz .LBB34_10
.LBB34_7:
	v_cmp_gt_i32_e32 vcc_lo, s0, v72
	s_andn2_b32 s0, s3, exec_lo
	s_and_b32 s3, vcc_lo, exec_lo
	s_or_b32 s3, s0, s3
	s_and_b32 exec_lo, exec_lo, s3
	s_cbranch_execnz .LBB34_11
.LBB34_8:
	s_endpgm
.LBB34_9:
	s_mov_b32 s3, 0
                                        ; implicit-def: $vgpr1
	s_cbranch_execnz .LBB34_7
.LBB34_10:
	v_mov_b32_e32 v72, v1
	s_and_b32 exec_lo, exec_lo, s3
	s_cbranch_execz .LBB34_8
.LBB34_11:
	s_load_dwordx8 s[8:15], s[4:5], 0x20
	v_ashrrev_i32_e32 v73, 31, v72
	v_and_b32_e32 v89, 63, v0
	s_load_dwordx2 s[6:7], s[4:5], 0x40
	v_mov_b32_e32 v90, 0
	v_lshlrev_b64 v[1:2], 3, v[72:73]
	s_waitcnt lgkmcnt(0)
	v_add_co_u32 v3, vcc_lo, s8, v1
	v_add_co_ci_u32_e64 v4, null, s9, v2, vcc_lo
	v_add_co_u32 v1, vcc_lo, s10, v1
	v_add_co_ci_u32_e64 v2, null, s11, v2, vcc_lo
	v_add_co_u32 v5, vcc_lo, v3, 8
	global_load_dwordx2 v[81:82], v[3:4], off
	v_add_co_ci_u32_e64 v6, null, 0, v4, vcc_lo
	s_cmp_eq_u64 s[10:11], 0
	s_cselect_b32 vcc_lo, -1, 0
	s_cmp_eq_u32 s1, 1
	v_cndmask_b32_e32 v2, v2, v6, vcc_lo
	v_cndmask_b32_e32 v1, v1, v5, vcc_lo
	global_load_dwordx2 v[1:2], v[1:2], off
	s_waitcnt vmcnt(1)
	v_sub_co_u32 v0, vcc_lo, v81, s2
	v_subrev_co_ci_u32_e64 v3, null, 0, v82, vcc_lo
	v_add_co_u32 v75, vcc_lo, v0, v89
	v_add_co_ci_u32_e64 v76, null, 0, v3, vcc_lo
	s_waitcnt vmcnt(0)
	v_sub_co_u32 v77, vcc_lo, v1, s2
	v_lshlrev_b64 v[0:1], 7, v[75:76]
	v_subrev_co_ci_u32_e64 v78, null, 0, v2, vcc_lo
	v_add_co_u32 v79, vcc_lo, s14, v0
	v_cmp_lt_i64_e64 s0, v[75:76], v[77:78]
	v_add_co_ci_u32_e64 v80, null, s15, v1, vcc_lo
	s_cbranch_scc1 .LBB34_23
; %bb.12:
	v_mov_b32_e32 v96, 0
	v_mov_b32_e32 v93, 0
	;; [unrolled: 1-line block ×7, first 2 shown]
	s_and_saveexec_b32 s1, s0
	s_cbranch_execz .LBB34_22
; %bb.13:
	v_or_b32_e32 v0, 64, v89
	v_not_b32_e32 v3, v81
	v_not_b32_e32 v2, v82
	v_mov_b32_e32 v74, 0
	v_mov_b32_e32 v84, v80
	v_sub_co_u32 v0, s3, v0, s2
	v_sub_co_ci_u32_e64 v1, null, 0, 0, s3
	v_sub_co_u32 v4, s3, s2, v89
	v_add_co_u32 v0, vcc_lo, v0, v81
	v_add_co_ci_u32_e64 v1, null, v1, v82, vcc_lo
	v_sub_co_ci_u32_e64 v5, null, 0, 0, s3
	v_mov_b32_e32 v86, v76
	v_cmp_gt_i64_e32 vcc_lo, v[0:1], v[77:78]
	v_mov_b32_e32 v95, v74
	v_mov_b32_e32 v92, v74
	;; [unrolled: 1-line block ×5, first 2 shown]
	v_cndmask_b32_e32 v1, v78, v1, vcc_lo
	v_cndmask_b32_e32 v0, v77, v0, vcc_lo
	v_add_co_u32 v3, vcc_lo, v4, v3
	v_add_co_ci_u32_e64 v2, null, v5, v2, vcc_lo
	v_mov_b32_e32 v96, v74
	v_add_co_u32 v0, vcc_lo, v3, v0
	v_add_co_ci_u32_e64 v1, null, v2, v1, vcc_lo
	v_mov_b32_e32 v90, v74
	v_and_b32_e32 v73, 0xc0, v0
	v_mov_b32_e32 v83, v79
	v_mov_b32_e32 v85, v75
	s_mov_b32 s3, exec_lo
	v_cmpx_ne_u64_e32 0xc0, v[73:74]
	s_cbranch_execz .LBB34_17
; %bb.14:
	v_lshrrev_b32_e32 v2, 6, v0
	v_mov_b32_e32 v86, v76
	v_mov_b32_e32 v84, v80
	;; [unrolled: 1-line block ×4, first 2 shown]
	v_add_nc_u32_e32 v4, 1, v2
	v_lshlrev_b64 v[2:3], 2, v[75:76]
	v_mov_b32_e32 v83, v79
	v_mov_b32_e32 v96, 0
	v_mov_b32_e32 v93, 0
	v_and_b32_e32 v4, 3, v4
	v_mov_b32_e32 v91, 0
	v_add_co_u32 v2, vcc_lo, s12, v2
	v_add_co_ci_u32_e64 v3, null, s13, v3, vcc_lo
	v_sub_co_u32 v4, s8, 0, v4
	v_sub_co_ci_u32_e64 v5, null, 0, 0, s8
	v_mov_b32_e32 v94, 0
	v_mov_b32_e32 v92, 0
	;; [unrolled: 1-line block ×4, first 2 shown]
	s_mov_b32 s8, 0
.LBB34_15:                              ; =>This Inner Loop Header: Depth=1
	global_load_dword v38, v[2:3], off
	s_clause 0x7
	global_load_dwordx4 v[6:9], v[83:84], off offset:48
	global_load_dwordx4 v[10:13], v[83:84], off offset:32
	;; [unrolled: 1-line block ×3, first 2 shown]
	global_load_dwordx4 v[18:21], v[83:84], off
	global_load_dwordx4 v[22:25], v[83:84], off offset:112
	global_load_dwordx4 v[26:29], v[83:84], off offset:96
	;; [unrolled: 1-line block ×4, first 2 shown]
	s_waitcnt vmcnt(8)
	v_subrev_nc_u32_e32 v38, s2, v38
	v_lshlrev_b32_e32 v38, 2, v38
	v_ashrrev_i32_e32 v39, 31, v38
	v_lshlrev_b64 v[38:39], 3, v[38:39]
	v_add_co_u32 v42, vcc_lo, s6, v38
	v_add_co_ci_u32_e64 v43, null, s7, v39, vcc_lo
	v_add_co_u32 v83, vcc_lo, 0x2000, v83
	v_add_co_ci_u32_e64 v84, null, 0, v84, vcc_lo
	s_clause 0x1
	global_load_dwordx4 v[38:41], v[42:43], off
	global_load_dwordx4 v[42:45], v[42:43], off offset:16
	v_add_co_u32 v85, vcc_lo, v85, 64
	v_add_co_ci_u32_e64 v86, null, 0, v86, vcc_lo
	v_add_co_u32 v4, vcc_lo, v4, 1
	v_add_co_ci_u32_e64 v5, null, 0, v5, vcc_lo
	;; [unrolled: 2-line block ×3, first 2 shown]
	v_cmp_eq_u64_e32 vcc_lo, 0, v[4:5]
	s_or_b32 s8, vcc_lo, s8
	s_waitcnt vmcnt(1)
	v_fmac_f32_e32 v96, v18, v38
	v_fmac_f32_e32 v90, v19, v38
	;; [unrolled: 1-line block ×8, first 2 shown]
	v_fma_f32 v19, -v19, v39, v96
	v_fmac_f32_e32 v90, v18, v39
	v_fma_f32 v11, -v11, v39, v95
	v_fmac_f32_e32 v74, v10, v39
	;; [unrolled: 2-line block ×4, first 2 shown]
	v_fmac_f32_e32 v19, v20, v40
	v_fmac_f32_e32 v90, v21, v40
	;; [unrolled: 1-line block ×8, first 2 shown]
	v_fma_f32 v19, -v21, v41, v19
	v_fmac_f32_e32 v90, v20, v41
	v_fma_f32 v11, -v13, v41, v11
	v_fmac_f32_e32 v74, v12, v41
	;; [unrolled: 2-line block ×4, first 2 shown]
	s_waitcnt vmcnt(0)
	v_fmac_f32_e32 v19, v14, v42
	v_fmac_f32_e32 v90, v15, v42
	;; [unrolled: 1-line block ×8, first 2 shown]
	v_fma_f32 v13, -v15, v43, v19
	v_fmac_f32_e32 v90, v14, v43
	v_fma_f32 v7, -v7, v43, v11
	v_fmac_f32_e32 v74, v6, v43
	;; [unrolled: 2-line block ×4, first 2 shown]
	v_fmac_f32_e32 v13, v16, v44
	v_fmac_f32_e32 v90, v17, v44
	;; [unrolled: 1-line block ×8, first 2 shown]
	v_fma_f32 v96, -v17, v45, v13
	v_fmac_f32_e32 v90, v16, v45
	v_fma_f32 v95, -v9, v45, v7
	v_fmac_f32_e32 v74, v8, v45
	;; [unrolled: 2-line block ×4, first 2 shown]
	s_andn2_b32 exec_lo, exec_lo, s8
	s_cbranch_execnz .LBB34_15
; %bb.16:
	s_or_b32 exec_lo, exec_lo, s8
.LBB34_17:
	s_or_b32 exec_lo, exec_lo, s3
	s_mov_b32 s3, exec_lo
	v_cmpx_lt_u64_e32 0xbf, v[0:1]
	s_cbranch_execz .LBB34_21
; %bb.18:
	v_lshlrev_b64 v[0:1], 2, v[85:86]
	s_mov_b32 s8, 0
	v_add_co_u32 v0, vcc_lo, s12, v0
	v_add_co_ci_u32_e64 v1, null, s13, v1, vcc_lo
	v_add_co_u32 v87, vcc_lo, 0x200, v0
	v_add_co_ci_u32_e64 v88, null, 0, v1, vcc_lo
.LBB34_19:                              ; =>This Inner Loop Header: Depth=1
	global_load_dword v98, v[87:88], off offset:-512
	s_clause 0x7
	global_load_dwordx4 v[4:7], v[83:84], off offset:48
	global_load_dwordx4 v[16:19], v[83:84], off offset:32
	;; [unrolled: 1-line block ×3, first 2 shown]
	global_load_dwordx4 v[36:39], v[83:84], off
	global_load_dwordx4 v[0:3], v[83:84], off offset:112
	global_load_dwordx4 v[48:51], v[83:84], off offset:96
	;; [unrolled: 1-line block ×4, first 2 shown]
	s_clause 0x2
	global_load_dword v73, v[87:88], off offset:-256
	global_load_dword v97, v[87:88], off
	global_load_dword v135, v[87:88], off offset:256
	v_add_co_u32 v20, vcc_lo, 0x2000, v83
	v_add_co_ci_u32_e64 v21, null, 0, v84, vcc_lo
	v_add_co_u32 v131, vcc_lo, 0x4000, v83
	v_add_co_ci_u32_e64 v132, null, 0, v84, vcc_lo
	;; [unrolled: 2-line block ×3, first 2 shown]
	s_clause 0xe
	global_load_dwordx4 v[24:27], v[20:21], off offset:48
	global_load_dwordx4 v[99:102], v[20:21], off offset:32
	global_load_dwordx4 v[103:106], v[20:21], off
	global_load_dwordx4 v[32:35], v[20:21], off offset:16
	global_load_dwordx4 v[28:31], v[20:21], off offset:112
	;; [unrolled: 1-line block ×7, first 2 shown]
	global_load_dwordx4 v[64:67], v[131:132], off
	global_load_dwordx4 v[40:43], v[131:132], off offset:16
	global_load_dwordx4 v[44:47], v[131:132], off offset:112
	;; [unrolled: 1-line block ×4, first 2 shown]
	s_waitcnt vmcnt(26)
	v_subrev_nc_u32_e32 v98, s2, v98
	v_lshlrev_b32_e32 v123, 2, v98
	s_waitcnt vmcnt(17)
	v_subrev_nc_u32_e32 v73, s2, v73
	v_ashrrev_i32_e32 v124, 31, v123
	s_waitcnt vmcnt(16)
	v_subrev_nc_u32_e32 v97, s2, v97
	v_lshlrev_b64 v[123:124], 3, v[123:124]
	v_lshlrev_b32_e32 v97, 2, v97
	v_add_co_u32 v127, vcc_lo, s6, v123
	v_add_co_ci_u32_e64 v128, null, s7, v124, vcc_lo
	s_clause 0x1
	global_load_dwordx4 v[123:126], v[127:128], off
	global_load_dwordx4 v[127:130], v[127:128], off offset:16
	s_waitcnt vmcnt(1)
	v_fmac_f32_e32 v96, v36, v123
	v_fmac_f32_e32 v90, v37, v123
	;; [unrolled: 1-line block ×7, first 2 shown]
	v_fma_f32 v37, -v37, v124, v96
	v_fmac_f32_e32 v90, v36, v124
	v_fma_f32 v17, -v17, v124, v95
	v_fmac_f32_e32 v74, v16, v124
	;; [unrolled: 2-line block ×3, first 2 shown]
	v_fmac_f32_e32 v91, v49, v123
	v_fma_f32 v49, -v49, v124, v93
	v_fmac_f32_e32 v37, v38, v125
	v_fmac_f32_e32 v90, v39, v125
	;; [unrolled: 1-line block ×8, first 2 shown]
	v_fma_f32 v98, -v39, v126, v37
	v_fmac_f32_e32 v90, v38, v126
	global_load_dwordx4 v[36:39], v[131:132], off offset:64
	v_fma_f32 v131, -v19, v126, v17
	v_fmac_f32_e32 v74, v18, v126
	v_fma_f32 v132, -v59, v126, v57
	v_fmac_f32_e32 v92, v58, v126
	v_fmac_f32_e32 v91, v51, v125
	v_fma_f32 v136, -v51, v126, v49
	s_waitcnt vmcnt(1)
	v_fmac_f32_e32 v98, v8, v127
	v_fmac_f32_e32 v90, v9, v127
	;; [unrolled: 1-line block ×8, first 2 shown]
	v_fma_f32 v9, -v9, v128, v98
	v_fmac_f32_e32 v90, v8, v128
	v_fma_f32 v5, -v5, v128, v131
	v_fmac_f32_e32 v74, v4, v128
	;; [unrolled: 2-line block ×3, first 2 shown]
	v_fmac_f32_e32 v91, v1, v127
	v_fma_f32 v1, -v1, v128, v136
	v_fmac_f32_e32 v9, v10, v129
	v_fmac_f32_e32 v90, v11, v129
	;; [unrolled: 1-line block ×8, first 2 shown]
	v_lshlrev_b32_e32 v0, 2, v73
	s_clause 0x3
	global_load_dwordx4 v[16:19], v[133:134], off offset:48
	global_load_dwordx4 v[56:59], v[133:134], off offset:32
	;; [unrolled: 1-line block ×4, first 2 shown]
	v_fma_f32 v98, -v11, v130, v9
	v_fmac_f32_e32 v90, v10, v130
	global_load_dwordx4 v[8:11], v[133:134], off offset:80
	v_fma_f32 v137, -v7, v130, v5
	v_fmac_f32_e32 v74, v6, v130
	global_load_dwordx4 v[4:7], v[133:134], off offset:64
	v_fma_f32 v138, -v15, v130, v13
	v_fmac_f32_e32 v92, v14, v130
	s_clause 0x1
	global_load_dwordx4 v[12:15], v[133:134], off
	global_load_dwordx4 v[123:126], v[133:134], off offset:16
	v_fma_f32 v133, -v3, v130, v1
	v_ashrrev_i32_e32 v1, 31, v0
	v_fmac_f32_e32 v91, v3, v129
	v_subrev_nc_u32_e32 v131, s2, v135
	v_lshlrev_b64 v[0:1], 3, v[0:1]
	v_fmac_f32_e32 v91, v2, v130
	v_add_co_u32 v127, vcc_lo, s6, v0
	v_add_co_ci_u32_e64 v128, null, s7, v1, vcc_lo
	s_clause 0x1
	global_load_dwordx4 v[0:3], v[127:128], off
	global_load_dwordx4 v[127:130], v[127:128], off offset:16
	s_waitcnt vmcnt(1)
	v_fmac_f32_e32 v98, v103, v0
	v_fmac_f32_e32 v90, v104, v0
	;; [unrolled: 1-line block ×5, first 2 shown]
	v_fma_f32 v73, -v104, v1, v98
	v_ashrrev_i32_e32 v98, 31, v97
	v_fmac_f32_e32 v90, v103, v1
	v_lshlrev_b32_e32 v103, 2, v131
	v_fmac_f32_e32 v74, v99, v1
	v_fmac_f32_e32 v73, v105, v2
	v_lshlrev_b64 v[97:98], 3, v[97:98]
	v_fmac_f32_e32 v90, v106, v2
	v_ashrrev_i32_e32 v104, 31, v103
	v_fmac_f32_e32 v74, v102, v2
	v_fma_f32 v73, -v106, v3, v73
	v_fmac_f32_e32 v92, v112, v0
	v_fmac_f32_e32 v90, v105, v3
	v_add_co_u32 v105, vcc_lo, s6, v97
	v_fma_f32 v97, -v100, v1, v137
	v_lshlrev_b64 v[103:104], 3, v[103:104]
	v_add_co_ci_u32_e64 v106, null, s7, v98, vcc_lo
	v_fmac_f32_e32 v74, v101, v3
	v_fmac_f32_e32 v97, v101, v2
	;; [unrolled: 1-line block ×3, first 2 shown]
	v_add_co_u32 v131, vcc_lo, s6, v103
	v_add_co_ci_u32_e64 v132, null, s7, v104, vcc_lo
	v_fma_f32 v134, -v102, v3, v97
	s_clause 0x1
	global_load_dwordx4 v[97:100], v[105:106], off
	global_load_dwordx4 v[101:104], v[105:106], off offset:16
	v_fma_f32 v105, -v112, v1, v138
	v_fmac_f32_e32 v92, v114, v2
	v_fmac_f32_e32 v133, v107, v0
	;; [unrolled: 1-line block ×3, first 2 shown]
	s_waitcnt vmcnt(2)
	v_fmac_f32_e32 v73, v32, v127
	v_fmac_f32_e32 v105, v113, v2
	;; [unrolled: 1-line block ×3, first 2 shown]
	v_fma_f32 v0, -v108, v1, v133
	v_fmac_f32_e32 v91, v107, v1
	v_fmac_f32_e32 v90, v33, v127
	v_fma_f32 v105, -v114, v3, v105
	global_load_dwordx4 v[111:114], v[131:132], off
	v_fmac_f32_e32 v0, v109, v2
	v_fmac_f32_e32 v91, v110, v2
	v_fmac_f32_e32 v134, v24, v127
	v_fmac_f32_e32 v74, v25, v127
	v_fmac_f32_e32 v105, v60, v127
	v_fma_f32 v106, -v110, v3, v0
	v_fmac_f32_e32 v91, v109, v3
	global_load_dwordx4 v[0:3], v[131:132], off offset:16
	v_fmac_f32_e32 v92, v61, v127
	v_fma_f32 v33, -v33, v128, v73
	v_fmac_f32_e32 v106, v28, v127
	v_fmac_f32_e32 v91, v29, v127
	;; [unrolled: 1-line block ×3, first 2 shown]
	v_fma_f32 v25, -v25, v128, v134
	v_fmac_f32_e32 v74, v24, v128
	v_fma_f32 v24, -v61, v128, v105
	v_fmac_f32_e32 v92, v60, v128
	;; [unrolled: 2-line block ×3, first 2 shown]
	v_fmac_f32_e32 v33, v34, v129
	v_fmac_f32_e32 v90, v35, v129
	;; [unrolled: 1-line block ×8, first 2 shown]
	v_fma_f32 v28, -v35, v130, v33
	v_fmac_f32_e32 v90, v34, v130
	v_fma_f32 v25, -v27, v130, v25
	v_fmac_f32_e32 v74, v26, v130
	;; [unrolled: 2-line block ×4, first 2 shown]
	v_add_co_u32 v85, vcc_lo, 0x100, v85
	v_add_co_ci_u32_e64 v86, null, 0, v86, vcc_lo
	v_add_co_u32 v87, vcc_lo, 0x400, v87
	v_add_co_ci_u32_e64 v88, null, 0, v88, vcc_lo
	;; [unrolled: 2-line block ×3, first 2 shown]
	v_cmp_ge_i64_e32 vcc_lo, v[85:86], v[77:78]
	s_or_b32 s8, vcc_lo, s8
	s_waitcnt vmcnt(3)
	v_fmac_f32_e32 v28, v64, v97
	v_fmac_f32_e32 v90, v65, v97
	v_fmac_f32_e32 v25, v52, v97
	v_fmac_f32_e32 v74, v53, v97
	v_fmac_f32_e32 v24, v36, v97
	v_fmac_f32_e32 v92, v37, v97
	v_fmac_f32_e32 v26, v115, v97
	v_fmac_f32_e32 v91, v116, v97
	v_fma_f32 v27, -v65, v98, v28
	v_fmac_f32_e32 v90, v64, v98
	v_fma_f32 v25, -v53, v98, v25
	v_fmac_f32_e32 v74, v52, v98
	v_fma_f32 v24, -v37, v98, v24
	v_fmac_f32_e32 v92, v36, v98
	v_fma_f32 v26, -v116, v98, v26
	v_fmac_f32_e32 v91, v115, v98
	v_fmac_f32_e32 v27, v66, v99
	v_fmac_f32_e32 v90, v67, v99
	v_fmac_f32_e32 v25, v54, v99
	v_fmac_f32_e32 v74, v55, v99
	v_fmac_f32_e32 v24, v38, v99
	v_fmac_f32_e32 v92, v39, v99
	v_fmac_f32_e32 v26, v117, v99
	v_fmac_f32_e32 v91, v118, v99
	v_fma_f32 v27, -v67, v100, v27
	v_fmac_f32_e32 v90, v66, v100
	v_fma_f32 v25, -v55, v100, v25
	v_fmac_f32_e32 v74, v54, v100
	v_fma_f32 v24, -v39, v100, v24
	v_fmac_f32_e32 v92, v38, v100
	v_fma_f32 v26, -v118, v100, v26
	v_fmac_f32_e32 v91, v117, v100
	s_waitcnt vmcnt(2)
	v_fmac_f32_e32 v27, v40, v101
	v_fmac_f32_e32 v90, v41, v101
	v_fmac_f32_e32 v25, v20, v101
	v_fmac_f32_e32 v74, v21, v101
	v_fmac_f32_e32 v24, v119, v101
	v_fmac_f32_e32 v92, v120, v101
	v_fmac_f32_e32 v26, v44, v101
	v_fmac_f32_e32 v91, v45, v101
	v_fma_f32 v27, -v41, v102, v27
	v_fmac_f32_e32 v90, v40, v102
	v_fma_f32 v21, -v21, v102, v25
	v_fmac_f32_e32 v74, v20, v102
	v_fma_f32 v20, -v120, v102, v24
	v_fmac_f32_e32 v92, v119, v102
	v_fma_f32 v24, -v45, v102, v26
	v_fmac_f32_e32 v91, v44, v102
	v_fmac_f32_e32 v27, v42, v103
	v_fmac_f32_e32 v90, v43, v103
	v_fmac_f32_e32 v21, v22, v103
	v_fmac_f32_e32 v74, v23, v103
	v_fmac_f32_e32 v20, v121, v103
	v_fmac_f32_e32 v92, v122, v103
	v_fmac_f32_e32 v24, v46, v103
	v_fmac_f32_e32 v91, v47, v103
	v_fma_f32 v25, -v43, v104, v27
	v_fmac_f32_e32 v90, v42, v104
	v_fma_f32 v21, -v23, v104, v21
	v_fmac_f32_e32 v74, v22, v104
	v_fma_f32 v20, -v122, v104, v20
	v_fmac_f32_e32 v92, v121, v104
	v_fma_f32 v22, -v47, v104, v24
	v_fmac_f32_e32 v91, v46, v104
	;; [unrolled: 33-line block ×4, first 2 shown]
	s_andn2_b32 exec_lo, exec_lo, s8
	s_cbranch_execnz .LBB34_19
; %bb.20:
	s_or_b32 exec_lo, exec_lo, s8
.LBB34_21:
	s_or_b32 exec_lo, exec_lo, s3
.LBB34_22:
	s_or_b32 exec_lo, exec_lo, s1
	s_cbranch_execz .LBB34_24
	s_branch .LBB34_35
.LBB34_23:
                                        ; implicit-def: $vgpr90
                                        ; implicit-def: $vgpr96
                                        ; implicit-def: $vgpr93
                                        ; implicit-def: $vgpr91
                                        ; implicit-def: $vgpr94
                                        ; implicit-def: $vgpr92
                                        ; implicit-def: $vgpr95
                                        ; implicit-def: $vgpr74
.LBB34_24:
	v_mov_b32_e32 v90, 0
	v_mov_b32_e32 v96, 0
	v_mov_b32_e32 v93, 0
	v_mov_b32_e32 v91, 0
	v_mov_b32_e32 v94, 0
	v_mov_b32_e32 v92, 0
	v_mov_b32_e32 v95, 0
	v_mov_b32_e32 v74, 0
	s_and_saveexec_b32 s1, s0
	s_cbranch_execz .LBB34_34
; %bb.25:
	v_or_b32_e32 v0, 64, v89
	v_not_b32_e32 v3, v81
	v_not_b32_e32 v2, v82
	v_mov_b32_e32 v74, 0
	v_sub_co_u32 v0, s0, v0, s2
	v_sub_co_ci_u32_e64 v1, null, 0, 0, s0
	v_sub_co_u32 v4, s0, s2, v89
	v_add_co_u32 v0, vcc_lo, v0, v81
	v_add_co_ci_u32_e64 v1, null, v1, v82, vcc_lo
	v_sub_co_ci_u32_e64 v5, null, 0, 0, s0
	v_add_co_u32 v3, s0, v4, v3
	v_cmp_gt_i64_e32 vcc_lo, v[0:1], v[77:78]
	v_add_co_ci_u32_e64 v2, null, v5, v2, s0
	v_mov_b32_e32 v95, v74
	v_mov_b32_e32 v92, v74
	;; [unrolled: 1-line block ×3, first 2 shown]
	v_cndmask_b32_e32 v0, v77, v0, vcc_lo
	v_cndmask_b32_e32 v1, v78, v1, vcc_lo
	v_mov_b32_e32 v91, v74
	v_mov_b32_e32 v93, v74
	;; [unrolled: 1-line block ×3, first 2 shown]
	v_add_co_u32 v0, vcc_lo, v3, v0
	v_add_co_ci_u32_e64 v1, null, v2, v1, vcc_lo
	v_mov_b32_e32 v90, v74
	v_and_b32_e32 v73, 0xc0, v0
	s_mov_b32 s0, exec_lo
	v_cmpx_ne_u64_e32 0xc0, v[73:74]
	s_cbranch_execz .LBB34_29
; %bb.26:
	v_lshrrev_b32_e32 v2, 6, v0
	v_mov_b32_e32 v90, 0
	v_mov_b32_e32 v96, 0
	;; [unrolled: 1-line block ×4, first 2 shown]
	v_add_nc_u32_e32 v4, 1, v2
	v_lshlrev_b64 v[2:3], 2, v[75:76]
	v_mov_b32_e32 v94, 0
	v_mov_b32_e32 v92, 0
	;; [unrolled: 1-line block ×3, first 2 shown]
	v_and_b32_e32 v4, 3, v4
	v_mov_b32_e32 v74, 0
	v_add_co_u32 v2, vcc_lo, s12, v2
	v_add_co_ci_u32_e64 v3, null, s13, v3, vcc_lo
	v_sub_co_u32 v4, s3, 0, v4
	v_sub_co_ci_u32_e64 v5, null, 0, 0, s3
	s_mov_b32 s3, 0
.LBB34_27:                              ; =>This Inner Loop Header: Depth=1
	global_load_dword v18, v[2:3], off
	s_clause 0x2
	global_load_dwordx4 v[6:9], v[79:80], off offset:32
	global_load_dwordx4 v[10:13], v[79:80], off offset:16
	global_load_dwordx4 v[14:17], v[79:80], off
	s_waitcnt vmcnt(3)
	v_subrev_nc_u32_e32 v18, s2, v18
	v_lshlrev_b32_e32 v18, 2, v18
	v_ashrrev_i32_e32 v19, 31, v18
	v_lshlrev_b64 v[18:19], 3, v[18:19]
	v_add_co_u32 v22, vcc_lo, s6, v18
	v_add_co_ci_u32_e64 v23, null, s7, v19, vcc_lo
	s_clause 0x1
	global_load_dwordx4 v[18:21], v[22:23], off
	global_load_dwordx4 v[22:25], v[22:23], off offset:16
	s_clause 0x4
	global_load_dwordx4 v[26:29], v[79:80], off offset:48
	global_load_dwordx4 v[30:33], v[79:80], off offset:64
	;; [unrolled: 1-line block ×5, first 2 shown]
	v_add_co_u32 v79, vcc_lo, 0x2000, v79
	v_add_co_ci_u32_e64 v80, null, 0, v80, vcc_lo
	v_add_co_u32 v75, vcc_lo, v75, 64
	v_add_co_ci_u32_e64 v76, null, 0, v76, vcc_lo
	;; [unrolled: 2-line block ×4, first 2 shown]
	v_cmp_eq_u64_e32 vcc_lo, 0, v[4:5]
	s_or_b32 s3, vcc_lo, s3
	s_waitcnt vmcnt(6)
	v_fmac_f32_e32 v96, v14, v18
	v_fmac_f32_e32 v90, v15, v18
	;; [unrolled: 1-line block ×8, first 2 shown]
	v_fma_f32 v15, -v15, v19, v96
	v_fmac_f32_e32 v90, v14, v19
	v_fma_f32 v14, -v17, v19, v95
	v_fmac_f32_e32 v74, v16, v19
	;; [unrolled: 2-line block ×4, first 2 shown]
	v_fmac_f32_e32 v15, v6, v20
	v_fmac_f32_e32 v90, v7, v20
	;; [unrolled: 1-line block ×4, first 2 shown]
	s_waitcnt vmcnt(4)
	v_fmac_f32_e32 v11, v26, v20
	v_fmac_f32_e32 v92, v27, v20
	v_fmac_f32_e32 v10, v28, v20
	v_fmac_f32_e32 v91, v29, v20
	v_fma_f32 v7, -v7, v21, v15
	v_fmac_f32_e32 v90, v6, v21
	v_fma_f32 v6, -v9, v21, v14
	v_fmac_f32_e32 v74, v8, v21
	;; [unrolled: 2-line block ×4, first 2 shown]
	s_waitcnt vmcnt(3)
	v_fmac_f32_e32 v7, v30, v22
	v_fmac_f32_e32 v90, v31, v22
	;; [unrolled: 1-line block ×4, first 2 shown]
	s_waitcnt vmcnt(2)
	v_fmac_f32_e32 v8, v34, v22
	v_fmac_f32_e32 v92, v35, v22
	;; [unrolled: 1-line block ×4, first 2 shown]
	v_fma_f32 v7, -v31, v23, v7
	v_fmac_f32_e32 v90, v30, v23
	v_fma_f32 v6, -v33, v23, v6
	v_fmac_f32_e32 v74, v32, v23
	;; [unrolled: 2-line block ×4, first 2 shown]
	s_waitcnt vmcnt(1)
	v_fmac_f32_e32 v7, v38, v24
	v_fmac_f32_e32 v90, v39, v24
	;; [unrolled: 1-line block ×4, first 2 shown]
	s_waitcnt vmcnt(0)
	v_fmac_f32_e32 v8, v42, v24
	v_fmac_f32_e32 v92, v43, v24
	;; [unrolled: 1-line block ×4, first 2 shown]
	v_fma_f32 v96, -v39, v25, v7
	v_fmac_f32_e32 v90, v38, v25
	v_fma_f32 v95, -v41, v25, v6
	v_fmac_f32_e32 v74, v40, v25
	;; [unrolled: 2-line block ×4, first 2 shown]
	s_andn2_b32 exec_lo, exec_lo, s3
	s_cbranch_execnz .LBB34_27
; %bb.28:
	s_or_b32 exec_lo, exec_lo, s3
.LBB34_29:
	s_or_b32 exec_lo, exec_lo, s0
	s_mov_b32 s0, exec_lo
	v_cmpx_lt_u64_e32 0xbf, v[0:1]
	s_cbranch_execz .LBB34_33
; %bb.30:
	v_lshlrev_b64 v[0:1], 2, v[75:76]
	s_mov_b32 s3, 0
	v_add_co_u32 v0, vcc_lo, s12, v0
	v_add_co_ci_u32_e64 v1, null, s13, v1, vcc_lo
	v_add_co_u32 v28, vcc_lo, 0x200, v0
	v_add_co_ci_u32_e64 v29, null, 0, v1, vcc_lo
.LBB34_31:                              ; =>This Inner Loop Header: Depth=1
	global_load_dword v73, v[28:29], off offset:-512
	s_clause 0x7
	global_load_dwordx4 v[4:7], v[79:80], off offset:48
	global_load_dwordx4 v[12:15], v[79:80], off offset:32
	;; [unrolled: 1-line block ×3, first 2 shown]
	global_load_dwordx4 v[30:33], v[79:80], off
	global_load_dwordx4 v[0:3], v[79:80], off offset:112
	global_load_dwordx4 v[8:11], v[79:80], off offset:96
	;; [unrolled: 1-line block ×4, first 2 shown]
	v_add_co_u32 v62, vcc_lo, 0x2000, v79
	v_add_co_ci_u32_e64 v63, null, 0, v80, vcc_lo
	v_add_co_u32 v66, vcc_lo, 0x4000, v79
	v_add_co_ci_u32_e64 v67, null, 0, v80, vcc_lo
	v_add_co_u32 v109, vcc_lo, 0x6000, v79
	v_add_co_ci_u32_e64 v110, null, 0, v80, vcc_lo
	s_clause 0x2
	global_load_dword v111, v[28:29], off offset:-256
	global_load_dword v112, v[28:29], off
	global_load_dword v113, v[28:29], off offset:256
	s_clause 0xa
	global_load_dwordx4 v[34:37], v[62:63], off offset:48
	global_load_dwordx4 v[38:41], v[62:63], off offset:32
	global_load_dwordx4 v[42:45], v[62:63], off
	global_load_dwordx4 v[46:49], v[62:63], off offset:16
	global_load_dwordx4 v[50:53], v[62:63], off offset:112
	;; [unrolled: 1-line block ×5, first 2 shown]
	global_load_dwordx4 v[81:84], v[66:67], off
	global_load_dwordx4 v[85:88], v[66:67], off offset:48
	global_load_dwordx4 v[97:100], v[66:67], off offset:32
	s_waitcnt vmcnt(22)
	v_subrev_nc_u32_e32 v73, s2, v73
	v_lshlrev_b32_e32 v101, 2, v73
	v_ashrrev_i32_e32 v102, 31, v101
	v_lshlrev_b64 v[101:102], 3, v[101:102]
	v_add_co_u32 v105, vcc_lo, s6, v101
	v_add_co_ci_u32_e64 v106, null, s7, v102, vcc_lo
	s_clause 0x1
	global_load_dwordx4 v[101:104], v[105:106], off
	global_load_dwordx4 v[105:108], v[105:106], off offset:16
	s_waitcnt vmcnt(1)
	v_fmac_f32_e32 v96, v30, v101
	v_fmac_f32_e32 v95, v32, v101
	;; [unrolled: 1-line block ×5, first 2 shown]
	v_fma_f32 v73, -v31, v102, v96
	v_fma_f32 v95, -v33, v102, v95
	v_fmac_f32_e32 v92, v21, v101
	v_fmac_f32_e32 v93, v22, v101
	;; [unrolled: 1-line block ×7, first 2 shown]
	v_fma_f32 v94, -v21, v102, v94
	v_fmac_f32_e32 v92, v20, v102
	v_fma_f32 v93, -v23, v102, v93
	v_fmac_f32_e32 v91, v22, v102
	v_fma_f32 v73, -v13, v104, v73
	v_fma_f32 v101, -v15, v104, v95
	v_fmac_f32_e32 v90, v13, v103
	v_fmac_f32_e32 v74, v15, v103
	;; [unrolled: 1-line block ×6, first 2 shown]
	s_waitcnt vmcnt(0)
	v_fmac_f32_e32 v73, v24, v105
	v_fmac_f32_e32 v101, v26, v105
	s_clause 0x1
	global_load_dwordx4 v[30:33], v[66:67], off offset:16
	global_load_dwordx4 v[20:23], v[66:67], off offset:112
	v_fmac_f32_e32 v90, v12, v104
	v_fmac_f32_e32 v74, v14, v104
	global_load_dwordx4 v[12:15], v[66:67], off offset:96
	v_fma_f32 v102, -v5, v104, v94
	v_fmac_f32_e32 v92, v4, v104
	v_fma_f32 v103, -v7, v104, v93
	v_fmac_f32_e32 v91, v6, v104
	s_clause 0x1
	global_load_dwordx4 v[4:7], v[66:67], off offset:80
	global_load_dwordx4 v[93:96], v[66:67], off offset:64
	v_fma_f32 v66, -v25, v106, v73
	v_fma_f32 v67, -v27, v106, v101
	v_fmac_f32_e32 v92, v17, v105
	v_fmac_f32_e32 v102, v16, v105
	;; [unrolled: 1-line block ×8, first 2 shown]
	v_fma_f32 v114, -v9, v108, v66
	v_subrev_nc_u32_e32 v66, s2, v111
	v_fmac_f32_e32 v74, v27, v105
	v_fma_f32 v73, -v17, v106, v102
	v_fma_f32 v102, -v19, v106, v103
	;; [unrolled: 1-line block ×3, first 2 shown]
	v_subrev_nc_u32_e32 v67, s2, v112
	v_fmac_f32_e32 v91, v18, v106
	v_subrev_nc_u32_e32 v103, s2, v113
	v_lshlrev_b32_e32 v66, 2, v66
	v_fmac_f32_e32 v92, v1, v107
	v_fmac_f32_e32 v90, v24, v106
	;; [unrolled: 1-line block ×3, first 2 shown]
	v_lshlrev_b32_e32 v101, 2, v67
	v_fmac_f32_e32 v102, v2, v107
	v_fmac_f32_e32 v73, v0, v107
	;; [unrolled: 1-line block ×4, first 2 shown]
	v_lshlrev_b32_e32 v0, 2, v103
	v_ashrrev_i32_e32 v67, 31, v66
	v_fmac_f32_e32 v90, v9, v107
	v_fmac_f32_e32 v74, v11, v107
	v_fma_f32 v107, -v3, v108, v102
	v_ashrrev_i32_e32 v102, 31, v101
	v_fma_f32 v73, -v1, v108, v73
	v_fmac_f32_e32 v91, v2, v108
	v_ashrrev_i32_e32 v1, 31, v0
	v_lshlrev_b64 v[2:3], 3, v[66:67]
	v_lshlrev_b64 v[66:67], 3, v[101:102]
	s_clause 0x1
	global_load_dwordx4 v[24:27], v[109:110], off
	global_load_dwordx4 v[16:19], v[109:110], off offset:48
	v_lshlrev_b64 v[0:1], 3, v[0:1]
	v_fmac_f32_e32 v90, v8, v108
	v_add_co_u32 v101, vcc_lo, s6, v2
	v_add_co_ci_u32_e64 v102, null, s7, v3, vcc_lo
	v_add_co_u32 v66, vcc_lo, s6, v66
	v_add_co_ci_u32_e64 v67, null, s7, v67, vcc_lo
	v_add_co_u32 v105, vcc_lo, s6, v0
	v_fmac_f32_e32 v74, v10, v108
	global_load_dwordx4 v[8:11], v[109:110], off offset:32
	v_add_co_ci_u32_e64 v106, null, s7, v1, vcc_lo
	s_clause 0x1
	global_load_dwordx4 v[0:3], v[101:102], off
	global_load_dwordx4 v[101:104], v[101:102], off offset:16
	v_add_co_u32 v75, vcc_lo, 0x100, v75
	v_add_co_ci_u32_e64 v76, null, 0, v76, vcc_lo
	v_add_co_u32 v28, vcc_lo, 0x400, v28
	v_add_co_ci_u32_e64 v29, null, 0, v29, vcc_lo
	;; [unrolled: 2-line block ×3, first 2 shown]
	v_cmp_ge_i64_e32 vcc_lo, v[75:76], v[77:78]
	s_or_b32 s3, vcc_lo, s3
	s_waitcnt vmcnt(1)
	v_fmac_f32_e32 v114, v42, v0
	v_fmac_f32_e32 v90, v43, v0
	;; [unrolled: 1-line block ×8, first 2 shown]
	v_fma_f32 v108, -v43, v1, v114
	v_fmac_f32_e32 v90, v42, v1
	v_fma_f32 v111, -v45, v1, v115
	v_fmac_f32_e32 v74, v44, v1
	;; [unrolled: 2-line block ×4, first 2 shown]
	v_fmac_f32_e32 v108, v38, v2
	v_fmac_f32_e32 v90, v39, v2
	;; [unrolled: 1-line block ×8, first 2 shown]
	s_clause 0x1
	global_load_dwordx4 v[42:45], v[109:110], off offset:16
	global_load_dwordx4 v[46:49], v[109:110], off offset:64
	v_fma_f32 v107, -v39, v3, v108
	v_fmac_f32_e32 v90, v38, v3
	v_fma_f32 v108, -v41, v3, v111
	v_fmac_f32_e32 v74, v40, v3
	global_load_dwordx4 v[38:41], v[109:110], off offset:80
	v_fma_f32 v111, -v35, v3, v0
	v_fmac_f32_e32 v92, v34, v3
	v_fma_f32 v73, -v37, v3, v73
	v_fmac_f32_e32 v91, v36, v3
	s_clause 0x1
	global_load_dwordx4 v[0:3], v[66:67], off
	global_load_dwordx4 v[34:37], v[66:67], off offset:16
	s_waitcnt vmcnt(5)
	v_fmac_f32_e32 v107, v62, v101
	v_fmac_f32_e32 v90, v63, v101
	;; [unrolled: 1-line block ×5, first 2 shown]
	v_fma_f32 v66, -v63, v102, v107
	v_fmac_f32_e32 v90, v62, v102
	v_fma_f32 v67, -v65, v102, v108
	v_fmac_f32_e32 v74, v64, v102
	global_load_dwordx4 v[62:65], v[105:106], off
	v_fmac_f32_e32 v92, v59, v101
	v_fmac_f32_e32 v73, v60, v101
	;; [unrolled: 1-line block ×3, first 2 shown]
	v_fma_f32 v101, -v59, v102, v111
	v_fmac_f32_e32 v66, v54, v103
	v_fmac_f32_e32 v92, v58, v102
	v_fma_f32 v73, -v61, v102, v73
	v_fmac_f32_e32 v91, v60, v102
	global_load_dwordx4 v[58:61], v[109:110], off offset:96
	global_load_dwordx4 v[105:108], v[105:106], off offset:16
	v_fmac_f32_e32 v90, v55, v103
	v_fmac_f32_e32 v67, v56, v103
	;; [unrolled: 1-line block ×3, first 2 shown]
	v_fma_f32 v66, -v55, v104, v66
	v_fmac_f32_e32 v101, v50, v103
	v_fmac_f32_e32 v90, v54, v104
	v_fma_f32 v67, -v57, v104, v67
	v_fmac_f32_e32 v74, v56, v104
	global_load_dwordx4 v[54:57], v[109:110], off offset:112
	v_fmac_f32_e32 v92, v51, v103
	v_fmac_f32_e32 v73, v52, v103
	;; [unrolled: 1-line block ×3, first 2 shown]
	v_fma_f32 v51, -v51, v104, v101
	v_fmac_f32_e32 v92, v50, v104
	v_fma_f32 v50, -v53, v104, v73
	v_fmac_f32_e32 v91, v52, v104
	s_waitcnt vmcnt(5)
	v_fmac_f32_e32 v66, v81, v0
	v_fmac_f32_e32 v90, v82, v0
	v_fmac_f32_e32 v67, v83, v0
	v_fmac_f32_e32 v74, v84, v0
	v_fmac_f32_e32 v51, v30, v0
	v_fmac_f32_e32 v92, v31, v0
	v_fmac_f32_e32 v50, v32, v0
	v_fmac_f32_e32 v91, v33, v0
	v_fma_f32 v0, -v82, v1, v66
	v_fmac_f32_e32 v90, v81, v1
	v_fma_f32 v52, -v84, v1, v67
	v_fmac_f32_e32 v74, v83, v1
	v_fma_f32 v31, -v31, v1, v51
	v_fmac_f32_e32 v92, v30, v1
	v_fma_f32 v30, -v33, v1, v50
	v_fmac_f32_e32 v91, v32, v1
	v_fmac_f32_e32 v0, v97, v2
	v_fmac_f32_e32 v90, v98, v2
	v_fmac_f32_e32 v52, v99, v2
	v_fmac_f32_e32 v74, v100, v2
	v_fmac_f32_e32 v31, v85, v2
	v_fmac_f32_e32 v92, v86, v2
	v_fmac_f32_e32 v30, v87, v2
	v_fmac_f32_e32 v91, v88, v2
	v_fma_f32 v0, -v98, v3, v0
	v_fmac_f32_e32 v90, v97, v3
	v_fma_f32 v1, -v100, v3, v52
	v_fmac_f32_e32 v74, v99, v3
	v_fma_f32 v2, -v86, v3, v31
	v_fmac_f32_e32 v92, v85, v3
	v_fma_f32 v30, -v88, v3, v30
	v_fmac_f32_e32 v91, v87, v3
	s_waitcnt vmcnt(4)
	v_fmac_f32_e32 v0, v93, v34
	v_fmac_f32_e32 v90, v94, v34
	v_fmac_f32_e32 v1, v95, v34
	v_fmac_f32_e32 v74, v96, v34
	v_fmac_f32_e32 v2, v4, v34
	v_fmac_f32_e32 v92, v5, v34
	v_fmac_f32_e32 v30, v6, v34
	v_fmac_f32_e32 v91, v7, v34
	v_fma_f32 v0, -v94, v35, v0
	v_fmac_f32_e32 v90, v93, v35
	v_fma_f32 v1, -v96, v35, v1
	v_fmac_f32_e32 v74, v95, v35
	v_fma_f32 v2, -v5, v35, v2
	v_fmac_f32_e32 v92, v4, v35
	v_fma_f32 v3, -v7, v35, v30
	v_fmac_f32_e32 v91, v6, v35
	v_fmac_f32_e32 v0, v12, v36
	v_fmac_f32_e32 v90, v13, v36
	v_fmac_f32_e32 v1, v14, v36
	v_fmac_f32_e32 v74, v15, v36
	v_fmac_f32_e32 v2, v20, v36
	v_fmac_f32_e32 v92, v21, v36
	v_fmac_f32_e32 v3, v22, v36
	v_fmac_f32_e32 v91, v23, v36
	v_fma_f32 v0, -v13, v37, v0
	v_fmac_f32_e32 v90, v12, v37
	v_fma_f32 v1, -v15, v37, v1
	v_fmac_f32_e32 v74, v14, v37
	;; [unrolled: 33-line block ×3, first 2 shown]
	v_fma_f32 v2, -v17, v65, v2
	v_fmac_f32_e32 v92, v16, v65
	v_fma_f32 v3, -v19, v65, v3
	v_fmac_f32_e32 v91, v18, v65
	s_waitcnt vmcnt(1)
	v_fmac_f32_e32 v0, v46, v105
	v_fmac_f32_e32 v90, v47, v105
	;; [unrolled: 1-line block ×8, first 2 shown]
	v_fma_f32 v0, -v47, v106, v0
	v_fmac_f32_e32 v90, v46, v106
	v_fma_f32 v1, -v49, v106, v1
	v_fmac_f32_e32 v74, v48, v106
	v_fma_f32 v2, -v39, v106, v2
	v_fmac_f32_e32 v92, v38, v106
	v_fma_f32 v3, -v41, v106, v3
	v_fmac_f32_e32 v91, v40, v106
	v_fmac_f32_e32 v0, v58, v107
	v_fmac_f32_e32 v90, v59, v107
	;; [unrolled: 1-line block ×4, first 2 shown]
	s_waitcnt vmcnt(0)
	v_fmac_f32_e32 v2, v54, v107
	v_fmac_f32_e32 v92, v55, v107
	;; [unrolled: 1-line block ×4, first 2 shown]
	v_fma_f32 v96, -v59, v108, v0
	v_fmac_f32_e32 v90, v58, v108
	v_fma_f32 v95, -v61, v108, v1
	v_fmac_f32_e32 v74, v60, v108
	;; [unrolled: 2-line block ×4, first 2 shown]
	s_andn2_b32 exec_lo, exec_lo, s3
	s_cbranch_execnz .LBB34_31
; %bb.32:
	s_or_b32 exec_lo, exec_lo, s3
.LBB34_33:
	s_or_b32 exec_lo, exec_lo, s0
.LBB34_34:
	s_or_b32 exec_lo, exec_lo, s1
.LBB34_35:
	v_mbcnt_lo_u32_b32 v0, -1, 0
	v_or_b32_e32 v1, 32, v0
	v_xor_b32_e32 v9, 16, v0
	v_xor_b32_e32 v17, 8, v0
	v_cmp_gt_i32_e32 vcc_lo, 32, v1
	v_cndmask_b32_e32 v1, v0, v1, vcc_lo
	v_cmp_gt_i32_e32 vcc_lo, 32, v9
	v_lshlrev_b32_e32 v1, 2, v1
	v_cndmask_b32_e32 v9, v0, v9, vcc_lo
	v_cmp_gt_i32_e32 vcc_lo, 32, v17
	ds_bpermute_b32 v2, v1, v96
	ds_bpermute_b32 v3, v1, v90
	;; [unrolled: 1-line block ×8, first 2 shown]
	v_lshlrev_b32_e32 v9, 2, v9
	v_cndmask_b32_e32 v17, v0, v17, vcc_lo
	v_lshlrev_b32_e32 v17, 2, v17
	s_waitcnt lgkmcnt(7)
	v_add_f32_e32 v2, v96, v2
	s_waitcnt lgkmcnt(6)
	v_add_f32_e32 v3, v90, v3
	s_waitcnt lgkmcnt(5)
	v_add_f32_e32 v4, v95, v4
	s_waitcnt lgkmcnt(4)
	v_add_f32_e32 v5, v74, v5
	s_waitcnt lgkmcnt(3)
	v_add_f32_e32 v6, v94, v6
	s_waitcnt lgkmcnt(2)
	v_add_f32_e32 v7, v92, v7
	s_waitcnt lgkmcnt(1)
	v_add_f32_e32 v8, v93, v8
	s_waitcnt lgkmcnt(0)
	v_add_f32_e32 v1, v91, v1
	ds_bpermute_b32 v10, v9, v2
	ds_bpermute_b32 v11, v9, v3
	;; [unrolled: 1-line block ×8, first 2 shown]
	s_waitcnt lgkmcnt(7)
	v_add_f32_e32 v2, v2, v10
	s_waitcnt lgkmcnt(6)
	v_add_f32_e32 v3, v3, v11
	;; [unrolled: 2-line block ×8, first 2 shown]
	ds_bpermute_b32 v9, v17, v2
	ds_bpermute_b32 v10, v17, v3
	;; [unrolled: 1-line block ×8, first 2 shown]
	v_xor_b32_e32 v17, 4, v0
	v_cmp_gt_i32_e32 vcc_lo, 32, v17
	v_cndmask_b32_e32 v17, v0, v17, vcc_lo
	s_waitcnt lgkmcnt(7)
	v_add_f32_e32 v2, v2, v9
	s_waitcnt lgkmcnt(6)
	v_add_f32_e32 v3, v3, v10
	;; [unrolled: 2-line block ×3, first 2 shown]
	v_lshlrev_b32_e32 v17, 2, v17
	s_waitcnt lgkmcnt(4)
	v_add_f32_e32 v5, v5, v12
	s_waitcnt lgkmcnt(3)
	v_add_f32_e32 v6, v6, v13
	;; [unrolled: 2-line block ×5, first 2 shown]
	ds_bpermute_b32 v9, v17, v2
	ds_bpermute_b32 v10, v17, v3
	;; [unrolled: 1-line block ×8, first 2 shown]
	v_xor_b32_e32 v17, 2, v0
	v_cmp_gt_i32_e32 vcc_lo, 32, v17
	v_cndmask_b32_e32 v17, v0, v17, vcc_lo
	s_waitcnt lgkmcnt(7)
	v_add_f32_e32 v2, v2, v9
	s_waitcnt lgkmcnt(6)
	v_add_f32_e32 v3, v3, v10
	;; [unrolled: 2-line block ×3, first 2 shown]
	v_lshlrev_b32_e32 v17, 2, v17
	s_waitcnt lgkmcnt(4)
	v_add_f32_e32 v5, v5, v12
	s_waitcnt lgkmcnt(3)
	v_add_f32_e32 v6, v6, v13
	;; [unrolled: 2-line block ×5, first 2 shown]
	ds_bpermute_b32 v1, v17, v2
	ds_bpermute_b32 v10, v17, v3
	;; [unrolled: 1-line block ×8, first 2 shown]
	v_xor_b32_e32 v17, 1, v0
	v_cmp_gt_i32_e32 vcc_lo, 32, v17
	v_cndmask_b32_e32 v0, v0, v17, vcc_lo
	v_cmp_eq_u32_e32 vcc_lo, 63, v89
	v_lshlrev_b32_e32 v17, 2, v0
	s_waitcnt lgkmcnt(7)
	v_add_f32_e32 v0, v2, v1
	s_waitcnt lgkmcnt(6)
	v_add_f32_e32 v1, v3, v10
	;; [unrolled: 2-line block ×8, first 2 shown]
	ds_bpermute_b32 v8, v17, v0
	ds_bpermute_b32 v9, v17, v1
	;; [unrolled: 1-line block ×8, first 2 shown]
	s_and_b32 exec_lo, exec_lo, vcc_lo
	s_cbranch_execz .LBB34_8
; %bb.36:
	s_load_dwordx2 s[2:3], s[4:5], 0x50
	s_waitcnt lgkmcnt(0)
	v_add_f32_e32 v8, v0, v8
	v_add_f32_e32 v0, v1, v9
	;; [unrolled: 1-line block ×8, first 2 shown]
	v_mul_f32_e64 v4, v0, -v71
	v_mul_f32_e32 v5, v70, v0
	v_mul_f32_e64 v6, v1, -v71
	v_mul_f32_e32 v7, v70, v1
	;; [unrolled: 2-line block ×4, first 2 shown]
	v_cmp_eq_f32_e32 vcc_lo, 0, v68
	v_cmp_eq_f32_e64 s0, 0, v69
	v_fmac_f32_e32 v4, v70, v8
	v_fmac_f32_e32 v5, v71, v8
	v_lshlrev_b32_e32 v8, 2, v72
	v_fmac_f32_e32 v6, v70, v9
	v_fmac_f32_e32 v7, v71, v9
	v_fmac_f32_e32 v0, v70, v10
	v_fmac_f32_e32 v1, v71, v10
	v_fmac_f32_e32 v2, v70, v11
	v_fmac_f32_e32 v3, v71, v11
	s_and_b32 s0, vcc_lo, s0
	s_and_saveexec_b32 s1, s0
	s_xor_b32 s0, exec_lo, s1
	s_cbranch_execz .LBB34_38
; %bb.37:
	v_ashrrev_i32_e32 v9, 31, v8
                                        ; implicit-def: $vgpr68_vgpr69
	v_lshlrev_b64 v[8:9], 3, v[8:9]
	v_add_co_u32 v8, vcc_lo, s2, v8
	v_add_co_ci_u32_e64 v9, null, s3, v9, vcc_lo
	global_store_dwordx4 v[8:9], v[4:7], off
	global_store_dwordx4 v[8:9], v[0:3], off offset:16
                                        ; implicit-def: $vgpr4
                                        ; implicit-def: $vgpr8
                                        ; implicit-def: $vgpr0
.LBB34_38:
	s_andn2_saveexec_b32 s0, s0
	s_cbranch_execz .LBB34_8
; %bb.39:
	v_ashrrev_i32_e32 v9, 31, v8
	v_lshlrev_b64 v[8:9], 3, v[8:9]
	v_add_co_u32 v16, vcc_lo, s2, v8
	v_add_co_ci_u32_e64 v17, null, s3, v9, vcc_lo
	s_clause 0x1
	global_load_dwordx4 v[8:11], v[16:17], off
	global_load_dwordx4 v[12:15], v[16:17], off offset:16
	s_waitcnt vmcnt(1)
	v_fmac_f32_e32 v4, v68, v8
	v_fmac_f32_e32 v5, v69, v8
	;; [unrolled: 1-line block ×4, first 2 shown]
	s_waitcnt vmcnt(0)
	v_fmac_f32_e32 v0, v68, v12
	v_fmac_f32_e32 v1, v69, v12
	;; [unrolled: 1-line block ×4, first 2 shown]
	v_fma_f32 v4, -v69, v9, v4
	v_fmac_f32_e32 v5, v68, v9
	v_fma_f32 v6, -v69, v11, v6
	v_fmac_f32_e32 v7, v68, v11
	;; [unrolled: 2-line block ×4, first 2 shown]
	global_store_dwordx4 v[16:17], v[4:7], off
	global_store_dwordx4 v[16:17], v[0:3], off offset:16
	s_endpgm
	.section	.rodata,"a",@progbits
	.p2align	6, 0x0
	.amdhsa_kernel _ZN9rocsparseL18bsrxmvn_4x4_kernelILj128ELj64E21rocsparse_complex_numIfEliS2_S2_S2_EEvT3_20rocsparse_direction_NS_24const_host_device_scalarIT1_EES3_PKS3_PKT2_SC_S9_PKT4_PKT5_S7_PT6_21rocsparse_index_base_b
		.amdhsa_group_segment_fixed_size 0
		.amdhsa_private_segment_fixed_size 0
		.amdhsa_kernarg_size 96
		.amdhsa_user_sgpr_count 6
		.amdhsa_user_sgpr_private_segment_buffer 1
		.amdhsa_user_sgpr_dispatch_ptr 0
		.amdhsa_user_sgpr_queue_ptr 0
		.amdhsa_user_sgpr_kernarg_segment_ptr 1
		.amdhsa_user_sgpr_dispatch_id 0
		.amdhsa_user_sgpr_flat_scratch_init 0
		.amdhsa_user_sgpr_private_segment_size 0
		.amdhsa_wavefront_size32 1
		.amdhsa_uses_dynamic_stack 0
		.amdhsa_system_sgpr_private_segment_wavefront_offset 0
		.amdhsa_system_sgpr_workgroup_id_x 1
		.amdhsa_system_sgpr_workgroup_id_y 0
		.amdhsa_system_sgpr_workgroup_id_z 0
		.amdhsa_system_sgpr_workgroup_info 0
		.amdhsa_system_vgpr_workitem_id 0
		.amdhsa_next_free_vgpr 139
		.amdhsa_next_free_sgpr 16
		.amdhsa_reserve_vcc 1
		.amdhsa_reserve_flat_scratch 0
		.amdhsa_float_round_mode_32 0
		.amdhsa_float_round_mode_16_64 0
		.amdhsa_float_denorm_mode_32 3
		.amdhsa_float_denorm_mode_16_64 3
		.amdhsa_dx10_clamp 1
		.amdhsa_ieee_mode 1
		.amdhsa_fp16_overflow 0
		.amdhsa_workgroup_processor_mode 1
		.amdhsa_memory_ordered 1
		.amdhsa_forward_progress 1
		.amdhsa_shared_vgpr_count 0
		.amdhsa_exception_fp_ieee_invalid_op 0
		.amdhsa_exception_fp_denorm_src 0
		.amdhsa_exception_fp_ieee_div_zero 0
		.amdhsa_exception_fp_ieee_overflow 0
		.amdhsa_exception_fp_ieee_underflow 0
		.amdhsa_exception_fp_ieee_inexact 0
		.amdhsa_exception_int_div_zero 0
	.end_amdhsa_kernel
	.section	.text._ZN9rocsparseL18bsrxmvn_4x4_kernelILj128ELj64E21rocsparse_complex_numIfEliS2_S2_S2_EEvT3_20rocsparse_direction_NS_24const_host_device_scalarIT1_EES3_PKS3_PKT2_SC_S9_PKT4_PKT5_S7_PT6_21rocsparse_index_base_b,"axG",@progbits,_ZN9rocsparseL18bsrxmvn_4x4_kernelILj128ELj64E21rocsparse_complex_numIfEliS2_S2_S2_EEvT3_20rocsparse_direction_NS_24const_host_device_scalarIT1_EES3_PKS3_PKT2_SC_S9_PKT4_PKT5_S7_PT6_21rocsparse_index_base_b,comdat
.Lfunc_end34:
	.size	_ZN9rocsparseL18bsrxmvn_4x4_kernelILj128ELj64E21rocsparse_complex_numIfEliS2_S2_S2_EEvT3_20rocsparse_direction_NS_24const_host_device_scalarIT1_EES3_PKS3_PKT2_SC_S9_PKT4_PKT5_S7_PT6_21rocsparse_index_base_b, .Lfunc_end34-_ZN9rocsparseL18bsrxmvn_4x4_kernelILj128ELj64E21rocsparse_complex_numIfEliS2_S2_S2_EEvT3_20rocsparse_direction_NS_24const_host_device_scalarIT1_EES3_PKS3_PKT2_SC_S9_PKT4_PKT5_S7_PT6_21rocsparse_index_base_b
                                        ; -- End function
	.set _ZN9rocsparseL18bsrxmvn_4x4_kernelILj128ELj64E21rocsparse_complex_numIfEliS2_S2_S2_EEvT3_20rocsparse_direction_NS_24const_host_device_scalarIT1_EES3_PKS3_PKT2_SC_S9_PKT4_PKT5_S7_PT6_21rocsparse_index_base_b.num_vgpr, 139
	.set _ZN9rocsparseL18bsrxmvn_4x4_kernelILj128ELj64E21rocsparse_complex_numIfEliS2_S2_S2_EEvT3_20rocsparse_direction_NS_24const_host_device_scalarIT1_EES3_PKS3_PKT2_SC_S9_PKT4_PKT5_S7_PT6_21rocsparse_index_base_b.num_agpr, 0
	.set _ZN9rocsparseL18bsrxmvn_4x4_kernelILj128ELj64E21rocsparse_complex_numIfEliS2_S2_S2_EEvT3_20rocsparse_direction_NS_24const_host_device_scalarIT1_EES3_PKS3_PKT2_SC_S9_PKT4_PKT5_S7_PT6_21rocsparse_index_base_b.numbered_sgpr, 16
	.set _ZN9rocsparseL18bsrxmvn_4x4_kernelILj128ELj64E21rocsparse_complex_numIfEliS2_S2_S2_EEvT3_20rocsparse_direction_NS_24const_host_device_scalarIT1_EES3_PKS3_PKT2_SC_S9_PKT4_PKT5_S7_PT6_21rocsparse_index_base_b.num_named_barrier, 0
	.set _ZN9rocsparseL18bsrxmvn_4x4_kernelILj128ELj64E21rocsparse_complex_numIfEliS2_S2_S2_EEvT3_20rocsparse_direction_NS_24const_host_device_scalarIT1_EES3_PKS3_PKT2_SC_S9_PKT4_PKT5_S7_PT6_21rocsparse_index_base_b.private_seg_size, 0
	.set _ZN9rocsparseL18bsrxmvn_4x4_kernelILj128ELj64E21rocsparse_complex_numIfEliS2_S2_S2_EEvT3_20rocsparse_direction_NS_24const_host_device_scalarIT1_EES3_PKS3_PKT2_SC_S9_PKT4_PKT5_S7_PT6_21rocsparse_index_base_b.uses_vcc, 1
	.set _ZN9rocsparseL18bsrxmvn_4x4_kernelILj128ELj64E21rocsparse_complex_numIfEliS2_S2_S2_EEvT3_20rocsparse_direction_NS_24const_host_device_scalarIT1_EES3_PKS3_PKT2_SC_S9_PKT4_PKT5_S7_PT6_21rocsparse_index_base_b.uses_flat_scratch, 0
	.set _ZN9rocsparseL18bsrxmvn_4x4_kernelILj128ELj64E21rocsparse_complex_numIfEliS2_S2_S2_EEvT3_20rocsparse_direction_NS_24const_host_device_scalarIT1_EES3_PKS3_PKT2_SC_S9_PKT4_PKT5_S7_PT6_21rocsparse_index_base_b.has_dyn_sized_stack, 0
	.set _ZN9rocsparseL18bsrxmvn_4x4_kernelILj128ELj64E21rocsparse_complex_numIfEliS2_S2_S2_EEvT3_20rocsparse_direction_NS_24const_host_device_scalarIT1_EES3_PKS3_PKT2_SC_S9_PKT4_PKT5_S7_PT6_21rocsparse_index_base_b.has_recursion, 0
	.set _ZN9rocsparseL18bsrxmvn_4x4_kernelILj128ELj64E21rocsparse_complex_numIfEliS2_S2_S2_EEvT3_20rocsparse_direction_NS_24const_host_device_scalarIT1_EES3_PKS3_PKT2_SC_S9_PKT4_PKT5_S7_PT6_21rocsparse_index_base_b.has_indirect_call, 0
	.section	.AMDGPU.csdata,"",@progbits
; Kernel info:
; codeLenInByte = 7644
; TotalNumSgprs: 18
; NumVgprs: 139
; ScratchSize: 0
; MemoryBound: 0
; FloatMode: 240
; IeeeMode: 1
; LDSByteSize: 0 bytes/workgroup (compile time only)
; SGPRBlocks: 0
; VGPRBlocks: 17
; NumSGPRsForWavesPerEU: 18
; NumVGPRsForWavesPerEU: 139
; Occupancy: 7
; WaveLimiterHint : 1
; COMPUTE_PGM_RSRC2:SCRATCH_EN: 0
; COMPUTE_PGM_RSRC2:USER_SGPR: 6
; COMPUTE_PGM_RSRC2:TRAP_HANDLER: 0
; COMPUTE_PGM_RSRC2:TGID_X_EN: 1
; COMPUTE_PGM_RSRC2:TGID_Y_EN: 0
; COMPUTE_PGM_RSRC2:TGID_Z_EN: 0
; COMPUTE_PGM_RSRC2:TIDIG_COMP_CNT: 0
	.section	.text._ZN9rocsparseL18bsrxmvn_4x4_kernelILj128ELj4E21rocsparse_complex_numIdEliS2_S2_S2_EEvT3_20rocsparse_direction_NS_24const_host_device_scalarIT1_EES3_PKS3_PKT2_SC_S9_PKT4_PKT5_S7_PT6_21rocsparse_index_base_b,"axG",@progbits,_ZN9rocsparseL18bsrxmvn_4x4_kernelILj128ELj4E21rocsparse_complex_numIdEliS2_S2_S2_EEvT3_20rocsparse_direction_NS_24const_host_device_scalarIT1_EES3_PKS3_PKT2_SC_S9_PKT4_PKT5_S7_PT6_21rocsparse_index_base_b,comdat
	.globl	_ZN9rocsparseL18bsrxmvn_4x4_kernelILj128ELj4E21rocsparse_complex_numIdEliS2_S2_S2_EEvT3_20rocsparse_direction_NS_24const_host_device_scalarIT1_EES3_PKS3_PKT2_SC_S9_PKT4_PKT5_S7_PT6_21rocsparse_index_base_b ; -- Begin function _ZN9rocsparseL18bsrxmvn_4x4_kernelILj128ELj4E21rocsparse_complex_numIdEliS2_S2_S2_EEvT3_20rocsparse_direction_NS_24const_host_device_scalarIT1_EES3_PKS3_PKT2_SC_S9_PKT4_PKT5_S7_PT6_21rocsparse_index_base_b
	.p2align	8
	.type	_ZN9rocsparseL18bsrxmvn_4x4_kernelILj128ELj4E21rocsparse_complex_numIdEliS2_S2_S2_EEvT3_20rocsparse_direction_NS_24const_host_device_scalarIT1_EES3_PKS3_PKT2_SC_S9_PKT4_PKT5_S7_PT6_21rocsparse_index_base_b,@function
_ZN9rocsparseL18bsrxmvn_4x4_kernelILj128ELj4E21rocsparse_complex_numIdEliS2_S2_S2_EEvT3_20rocsparse_direction_NS_24const_host_device_scalarIT1_EES3_PKS3_PKT2_SC_S9_PKT4_PKT5_S7_PT6_21rocsparse_index_base_b: ; @_ZN9rocsparseL18bsrxmvn_4x4_kernelILj128ELj4E21rocsparse_complex_numIdEliS2_S2_S2_EEvT3_20rocsparse_direction_NS_24const_host_device_scalarIT1_EES3_PKS3_PKT2_SC_S9_PKT4_PKT5_S7_PT6_21rocsparse_index_base_b
; %bb.0:
	s_clause 0x1
	s_load_dwordx2 s[2:3], s[4:5], 0x68
	s_load_dwordx2 s[0:1], s[4:5], 0x8
	s_add_u32 s7, s4, 8
	s_addc_u32 s10, s5, 0
	s_add_u32 s11, s4, 0x50
	s_addc_u32 s12, s5, 0
	s_load_dwordx2 s[8:9], s[4:5], 0x50
	s_waitcnt lgkmcnt(0)
	s_bitcmp1_b32 s3, 0
	s_cselect_b32 s0, s7, s0
	s_cselect_b32 s1, s10, s1
	v_mov_b32_e32 v1, s0
	v_mov_b32_e32 v2, s1
	s_cselect_b32 s0, s11, s8
	s_cselect_b32 s1, s12, s9
	flat_load_dwordx4 v[5:8], v[1:2]
	v_mov_b32_e32 v1, s0
	v_mov_b32_e32 v2, s1
	flat_load_dwordx4 v[1:4], v[1:2]
	s_waitcnt vmcnt(1) lgkmcnt(1)
	v_cmp_eq_f64_e32 vcc_lo, 0, v[5:6]
	v_cmp_eq_f64_e64 s0, 0, v[7:8]
	s_and_b32 s3, vcc_lo, s0
	s_mov_b32 s0, -1
	s_and_saveexec_b32 s1, s3
	s_cbranch_execz .LBB35_2
; %bb.1:
	s_waitcnt vmcnt(0) lgkmcnt(0)
	v_cmp_neq_f64_e32 vcc_lo, 1.0, v[1:2]
	v_cmp_neq_f64_e64 s0, 0, v[3:4]
	s_or_b32 s0, vcc_lo, s0
	s_orn2_b32 s0, s0, exec_lo
.LBB35_2:
	s_or_b32 exec_lo, exec_lo, s1
	s_and_saveexec_b32 s1, s0
	s_cbranch_execz .LBB35_8
; %bb.3:
	s_clause 0x1
	s_load_dwordx2 s[8:9], s[4:5], 0x20
	s_load_dwordx2 s[0:1], s[4:5], 0x0
	v_lshrrev_b32_e32 v9, 2, v0
	v_lshl_or_b32 v97, s6, 5, v9
	s_waitcnt lgkmcnt(0)
	s_cmp_lg_u64 s[8:9], 0
	s_cbranch_scc0 .LBB35_9
; %bb.4:
	s_load_dword s3, s[4:5], 0x18
	s_mov_b32 s6, 0
                                        ; implicit-def: $vgpr9
	s_waitcnt lgkmcnt(0)
	v_cmp_gt_i32_e32 vcc_lo, s3, v97
	s_mov_b32 s3, 0
	s_and_saveexec_b32 s7, vcc_lo
	s_xor_b32 s7, exec_lo, s7
	s_cbranch_execz .LBB35_6
; %bb.5:
	v_ashrrev_i32_e32 v98, 31, v97
	s_mov_b32 s3, exec_lo
	v_lshlrev_b64 v[9:10], 2, v[97:98]
	v_add_co_u32 v9, vcc_lo, s8, v9
	v_add_co_ci_u32_e64 v10, null, s9, v10, vcc_lo
	global_load_dword v9, v[9:10], off
	s_waitcnt vmcnt(0)
	v_subrev_nc_u32_e32 v9, s2, v9
.LBB35_6:
	s_or_b32 exec_lo, exec_lo, s7
	s_and_b32 vcc_lo, exec_lo, s6
	s_cbranch_vccz .LBB35_10
.LBB35_7:
	v_cmp_gt_i32_e32 vcc_lo, s0, v97
	s_andn2_b32 s0, s3, exec_lo
	s_and_b32 s3, vcc_lo, exec_lo
	s_or_b32 s3, s0, s3
	s_and_b32 exec_lo, exec_lo, s3
	s_cbranch_execnz .LBB35_11
.LBB35_8:
	s_endpgm
.LBB35_9:
	s_mov_b32 s3, 0
                                        ; implicit-def: $vgpr9
	s_cbranch_execnz .LBB35_7
.LBB35_10:
	v_mov_b32_e32 v97, v9
	s_and_b32 exec_lo, exec_lo, s3
	s_cbranch_execz .LBB35_8
.LBB35_11:
	s_load_dwordx8 s[8:15], s[4:5], 0x28
	v_ashrrev_i32_e32 v98, 31, v97
	v_and_b32_e32 v0, 3, v0
	s_load_dwordx2 s[6:7], s[4:5], 0x48
	v_lshlrev_b64 v[9:10], 3, v[97:98]
	s_waitcnt lgkmcnt(0)
	v_add_co_u32 v11, vcc_lo, s8, v9
	v_add_co_ci_u32_e64 v12, null, s9, v10, vcc_lo
	v_add_co_u32 v9, vcc_lo, s10, v9
	v_add_co_ci_u32_e64 v10, null, s11, v10, vcc_lo
	v_add_co_u32 v13, vcc_lo, v11, 8
	v_add_co_ci_u32_e64 v14, null, 0, v12, vcc_lo
	global_load_dwordx2 v[120:121], v[11:12], off
	s_cmp_eq_u64 s[10:11], 0
	s_cselect_b32 vcc_lo, -1, 0
	s_cmp_eq_u32 s1, 1
	v_cndmask_b32_e32 v10, v10, v14, vcc_lo
	v_cndmask_b32_e32 v9, v9, v13, vcc_lo
	global_load_dwordx2 v[9:10], v[9:10], off
	s_waitcnt vmcnt(1)
	v_sub_co_u32 v11, vcc_lo, v120, s2
	v_subrev_co_ci_u32_e64 v12, null, 0, v121, vcc_lo
	v_add_co_u32 v98, vcc_lo, v11, v0
	v_add_co_ci_u32_e64 v99, null, 0, v12, vcc_lo
	s_waitcnt vmcnt(0)
	v_sub_co_u32 v100, vcc_lo, v9, s2
	v_subrev_co_ci_u32_e64 v101, null, 0, v10, vcc_lo
	v_lshlrev_b64 v[9:10], 8, v[98:99]
	v_cmp_lt_i64_e64 s0, v[98:99], v[100:101]
	v_add_co_u32 v102, vcc_lo, s14, v9
	v_add_co_ci_u32_e64 v103, null, s15, v10, vcc_lo
	s_cbranch_scc1 .LBB35_23
; %bb.12:
	v_mov_b32_e32 v114, 0
	v_mov_b32_e32 v118, 0
	;; [unrolled: 1-line block ×16, first 2 shown]
	s_and_saveexec_b32 s3, s0
	s_cbranch_execz .LBB35_22
; %bb.13:
	v_or_b32_e32 v9, 4, v0
	v_not_b32_e32 v13, v120
	v_not_b32_e32 v11, v121
	v_mov_b32_e32 v108, 0
	v_mov_b32_e32 v116, 0
	v_sub_co_u32 v9, s1, v9, s2
	v_sub_co_ci_u32_e64 v10, null, 0, 0, s1
	v_sub_co_u32 v14, s1, s2, v0
	v_add_co_u32 v9, vcc_lo, v9, v120
	v_add_co_ci_u32_e64 v10, null, v10, v121, vcc_lo
	v_sub_co_ci_u32_e64 v15, null, 0, 0, s1
	v_add_co_u32 v13, s1, v14, v13
	v_cmp_gt_i64_e32 vcc_lo, v[9:10], v[100:101]
	v_add_co_ci_u32_e64 v11, null, v15, v11, s1
	v_mov_b32_e32 v110, 0
	v_mov_b32_e32 v112, 0
	;; [unrolled: 1-line block ×3, first 2 shown]
	v_cndmask_b32_e32 v9, v100, v9, vcc_lo
	v_cndmask_b32_e32 v10, v101, v10, vcc_lo
	v_mov_b32_e32 v104, 0
	v_mov_b32_e32 v118, 0
	;; [unrolled: 1-line block ×3, first 2 shown]
	v_add_co_u32 v9, vcc_lo, v13, v9
	v_mov_b32_e32 v125, v103
	v_mov_b32_e32 v123, v99
	v_mov_b32_e32 v12, 0
	v_mov_b32_e32 v109, 0
	v_mov_b32_e32 v117, 0
	v_mov_b32_e32 v111, 0
	v_mov_b32_e32 v113, 0
	v_add_co_ci_u32_e64 v10, null, v11, v10, vcc_lo
	v_and_b32_e32 v11, 12, v9
	v_mov_b32_e32 v107, 0
	v_mov_b32_e32 v105, 0
	v_mov_b32_e32 v119, 0
	v_mov_b32_e32 v115, 0
	v_mov_b32_e32 v124, v102
	v_mov_b32_e32 v122, v98
	s_mov_b32 s8, exec_lo
	v_cmpx_ne_u64_e32 12, v[11:12]
	s_cbranch_execz .LBB35_17
; %bb.14:
	v_lshrrev_b32_e32 v13, 2, v9
	v_lshlrev_b64 v[11:12], 2, v[98:99]
	v_mov_b32_e32 v114, 0
	v_mov_b32_e32 v123, v99
	;; [unrolled: 1-line block ×3, first 2 shown]
	v_add_nc_u32_e32 v13, 1, v13
	v_mov_b32_e32 v104, 0
	v_add_co_u32 v11, vcc_lo, s12, v11
	v_mov_b32_e32 v106, 0
	v_and_b32_e32 v13, 3, v13
	v_mov_b32_e32 v112, 0
	v_mov_b32_e32 v110, 0
	;; [unrolled: 1-line block ×4, first 2 shown]
	v_sub_co_u32 v13, s1, 0, v13
	v_mov_b32_e32 v125, v103
	v_mov_b32_e32 v115, 0
	;; [unrolled: 1-line block ×5, first 2 shown]
	v_add_co_ci_u32_e64 v12, null, s13, v12, vcc_lo
	v_sub_co_ci_u32_e64 v14, null, 0, 0, s1
	v_mov_b32_e32 v107, 0
	v_mov_b32_e32 v113, 0
	;; [unrolled: 1-line block ×6, first 2 shown]
	s_mov_b32 s9, 0
.LBB35_15:                              ; =>This Inner Loop Header: Depth=1
	global_load_dword v43, v[11:12], off
	s_clause 0x6
	global_load_dwordx4 v[15:18], v[124:125], off offset:16
	global_load_dwordx4 v[19:22], v[124:125], off
	global_load_dwordx4 v[23:26], v[124:125], off offset:80
	global_load_dwordx4 v[27:30], v[124:125], off offset:64
	;; [unrolled: 1-line block ×5, first 2 shown]
	v_add_co_u32 v11, s1, v11, 16
	v_add_co_ci_u32_e64 v12, null, 0, v12, s1
	s_waitcnt vmcnt(7)
	v_subrev_nc_u32_e32 v43, s2, v43
	v_lshlrev_b32_e32 v43, 2, v43
	v_ashrrev_i32_e32 v44, 31, v43
	v_lshlrev_b64 v[43:44], 4, v[43:44]
	v_add_co_u32 v91, vcc_lo, s6, v43
	v_add_co_ci_u32_e64 v92, null, s7, v44, vcc_lo
	global_load_dwordx4 v[43:46], v[91:92], off
	global_load_dwordx4 v[47:50], v[124:125], off offset:208
	global_load_dwordx4 v[51:54], v[91:92], off offset:16
	s_clause 0x6
	global_load_dwordx4 v[55:58], v[124:125], off offset:48
	global_load_dwordx4 v[59:62], v[124:125], off offset:32
	;; [unrolled: 1-line block ×10, first 2 shown]
	v_add_co_u32 v124, vcc_lo, 0x400, v124
	v_add_co_ci_u32_e64 v125, null, 0, v125, vcc_lo
	v_add_co_u32 v13, vcc_lo, v13, 1
	v_add_co_ci_u32_e64 v14, null, 0, v14, vcc_lo
	;; [unrolled: 2-line block ×3, first 2 shown]
	v_cmp_eq_u64_e32 vcc_lo, 0, v[13:14]
	s_or_b32 s9, vcc_lo, s9
	s_waitcnt vmcnt(12)
	v_fma_f64 v[95:96], v[19:20], v[43:44], v[118:119]
	v_fma_f64 v[114:115], v[21:22], v[43:44], v[114:115]
	v_fma_f64 v[116:117], v[27:28], v[43:44], v[116:117]
	v_fma_f64 v[108:109], v[29:30], v[43:44], v[108:109]
	v_fma_f64 v[112:113], v[35:36], v[43:44], v[112:113]
	v_fma_f64 v[110:111], v[37:38], v[43:44], v[110:111]
	v_fma_f64 v[104:105], v[39:40], v[43:44], v[104:105]
	v_fma_f64 v[43:44], v[41:42], v[43:44], v[106:107]
	v_fma_f64 v[21:22], -v[21:22], v[45:46], v[95:96]
	v_fma_f64 v[19:20], v[19:20], v[45:46], v[114:115]
	v_fma_f64 v[29:30], -v[29:30], v[45:46], v[116:117]
	v_fma_f64 v[27:28], v[27:28], v[45:46], v[108:109]
	v_fma_f64 v[37:38], -v[37:38], v[45:46], v[112:113]
	v_fma_f64 v[35:36], v[35:36], v[45:46], v[110:111]
	v_fma_f64 v[41:42], -v[41:42], v[45:46], v[104:105]
	v_fma_f64 v[39:40], v[39:40], v[45:46], v[43:44]
	s_waitcnt vmcnt(10)
	v_fma_f64 v[21:22], v[15:16], v[51:52], v[21:22]
	v_fma_f64 v[19:20], v[17:18], v[51:52], v[19:20]
	v_fma_f64 v[29:30], v[23:24], v[51:52], v[29:30]
	v_fma_f64 v[27:28], v[25:26], v[51:52], v[27:28]
	v_fma_f64 v[37:38], v[31:32], v[51:52], v[37:38]
	v_fma_f64 v[35:36], v[33:34], v[51:52], v[35:36]
	v_fma_f64 v[41:42], v[47:48], v[51:52], v[41:42]
	v_fma_f64 v[39:40], v[49:50], v[51:52], v[39:40]
	v_fma_f64 v[17:18], -v[17:18], v[53:54], v[21:22]
	v_fma_f64 v[15:16], v[15:16], v[53:54], v[19:20]
	v_fma_f64 v[19:20], -v[25:26], v[53:54], v[29:30]
	v_fma_f64 v[21:22], v[23:24], v[53:54], v[27:28]
	v_fma_f64 v[23:24], -v[33:34], v[53:54], v[37:38]
	v_fma_f64 v[25:26], v[31:32], v[53:54], v[35:36]
	v_fma_f64 v[27:28], -v[49:50], v[53:54], v[41:42]
	v_fma_f64 v[29:30], v[47:48], v[53:54], v[39:40]
	;; [unrolled: 17-line block ×4, first 2 shown]
	s_andn2_b32 exec_lo, exec_lo, s9
	s_cbranch_execnz .LBB35_15
; %bb.16:
	s_or_b32 exec_lo, exec_lo, s9
.LBB35_17:
	s_or_b32 exec_lo, exec_lo, s8
	s_mov_b32 s8, exec_lo
	v_cmpx_lt_u64_e32 11, v[9:10]
	s_cbranch_execz .LBB35_21
; %bb.18:
	v_lshlrev_b64 v[9:10], 2, v[122:123]
	s_mov_b32 s9, 0
	v_add_co_u32 v9, vcc_lo, s12, v9
	v_add_co_ci_u32_e64 v10, null, s13, v10, vcc_lo
	v_add_co_u32 v126, vcc_lo, v9, 32
	v_add_co_ci_u32_e64 v127, null, 0, v10, vcc_lo
.LBB35_19:                              ; =>This Inner Loop Header: Depth=1
	global_load_dword v128, v[126:127], off offset:-32
	s_clause 0x15
	global_load_dwordx4 v[21:24], v[124:125], off offset:48
	global_load_dwordx4 v[25:28], v[124:125], off offset:32
	;; [unrolled: 1-line block ×3, first 2 shown]
	global_load_dwordx4 v[61:64], v[124:125], off
	global_load_dwordx4 v[29:32], v[124:125], off offset:112
	global_load_dwordx4 v[49:52], v[124:125], off offset:96
	;; [unrolled: 1-line block ×18, first 2 shown]
	s_clause 0x2
	global_load_dword v176, v[126:127], off offset:-16
	global_load_dword v177, v[126:127], off
	global_load_dword v129, v[126:127], off offset:16
	s_clause 0x6
	global_load_dwordx4 v[138:141], v[124:125], off offset:1104
	global_load_dwordx4 v[142:145], v[124:125], off offset:1088
	global_load_dwordx4 v[85:88], v[124:125], off offset:1200
	global_load_dwordx4 v[146:149], v[124:125], off offset:1184
	global_load_dwordx4 v[150:153], v[124:125], off offset:1168
	global_load_dwordx4 v[154:157], v[124:125], off offset:1152
	global_load_dwordx4 v[93:96], v[124:125], off offset:1264
	s_waitcnt vmcnt(32)
	v_subrev_nc_u32_e32 v128, s2, v128
	v_lshlrev_b32_e32 v158, 2, v128
	v_ashrrev_i32_e32 v159, 31, v158
	v_lshlrev_b64 v[158:159], 4, v[158:159]
	v_add_co_u32 v170, vcc_lo, s6, v158
	v_add_co_ci_u32_e64 v171, null, s7, v159, vcc_lo
	s_waitcnt vmcnt(9)
	v_subrev_nc_u32_e32 v128, s2, v176
	s_clause 0x1
	global_load_dwordx4 v[158:161], v[170:171], off
	global_load_dwordx4 v[162:165], v[170:171], off offset:16
	global_load_dwordx4 v[166:169], v[124:125], off offset:1248
	s_waitcnt vmcnt(2)
	v_fma_f64 v[118:119], v[61:62], v[158:159], v[118:119]
	v_fma_f64 v[114:115], v[63:64], v[158:159], v[114:115]
	v_fma_f64 v[118:119], -v[63:64], v[160:161], v[118:119]
	v_fma_f64 v[172:173], v[61:62], v[160:161], v[114:115]
	v_fma_f64 v[61:62], v[81:82], v[158:159], v[116:117]
	;; [unrolled: 1-line block ×3, first 2 shown]
	global_load_dwordx4 v[114:117], v[124:125], off offset:1232
	v_fma_f64 v[83:84], -v[83:84], v[160:161], v[61:62]
	v_fma_f64 v[108:109], v[81:82], v[160:161], v[63:64]
	v_fma_f64 v[61:62], v[89:90], v[158:159], v[112:113]
	;; [unrolled: 1-line block ×3, first 2 shown]
	s_waitcnt vmcnt(2)
	v_fma_f64 v[110:111], v[45:46], v[162:163], v[118:119]
	v_fma_f64 v[118:119], v[47:48], v[162:163], v[172:173]
	v_add_co_u32 v81, vcc_lo, 0x800, v124
	v_add_co_ci_u32_e64 v82, null, 0, v125, vcc_lo
	v_fma_f64 v[83:84], v[65:66], v[162:163], v[83:84]
	v_fma_f64 v[108:109], v[67:68], v[162:163], v[108:109]
	v_fma_f64 v[112:113], -v[91:92], v[160:161], v[61:62]
	v_fma_f64 v[174:175], v[89:90], v[160:161], v[63:64]
	v_fma_f64 v[61:62], v[130:131], v[158:159], v[104:105]
	;; [unrolled: 1-line block ×3, first 2 shown]
	global_load_dwordx4 v[89:92], v[124:125], off offset:1216
	v_fma_f64 v[158:159], -v[47:48], v[164:165], v[110:111]
	v_fma_f64 v[118:119], v[45:46], v[164:165], v[118:119]
	v_add_co_u32 v124, s1, 0x1000, v124
	v_add_co_ci_u32_e64 v125, null, 0, v125, s1
	v_fma_f64 v[83:84], -v[67:68], v[164:165], v[83:84]
	v_fma_f64 v[67:68], v[75:76], v[162:163], v[174:175]
	v_fma_f64 v[132:133], -v[132:133], v[160:161], v[61:62]
	v_fma_f64 v[130:131], v[130:131], v[160:161], v[63:64]
	v_fma_f64 v[160:161], v[65:66], v[164:165], v[108:109]
	;; [unrolled: 1-line block ×3, first 2 shown]
	s_clause 0x3
	global_load_dwordx4 v[104:107], v[81:82], off
	global_load_dwordx4 v[61:64], v[81:82], off offset:48
	global_load_dwordx4 v[45:48], v[81:82], off offset:32
	;; [unrolled: 1-line block ×3, first 2 shown]
	v_fma_f64 v[172:173], v[73:74], v[164:165], v[67:68]
	v_fma_f64 v[73:74], v[77:78], v[162:163], v[132:133]
	v_fma_f64 v[112:113], -v[75:76], v[164:165], v[65:66]
	v_fma_f64 v[75:76], v[79:80], v[162:163], v[130:131]
	global_load_dwordx4 v[65:68], v[81:82], off offset:112
	v_fma_f64 v[130:131], -v[79:80], v[164:165], v[73:74]
	v_fma_f64 v[132:133], v[77:78], v[164:165], v[75:76]
	s_clause 0x1
	global_load_dwordx4 v[73:76], v[170:171], off offset:32
	global_load_dwordx4 v[77:80], v[170:171], off offset:48
	v_lshlrev_b32_e32 v164, 2, v128
	v_subrev_nc_u32_e32 v128, s2, v177
	v_ashrrev_i32_e32 v165, 31, v164
	v_lshlrev_b64 v[164:165], 4, v[164:165]
	v_add_co_u32 v164, vcc_lo, s6, v164
	v_add_co_ci_u32_e64 v165, null, s7, v165, vcc_lo
	s_waitcnt vmcnt(1)
	v_fma_f64 v[158:159], v[25:26], v[73:74], v[158:159]
	v_fma_f64 v[118:119], v[27:28], v[73:74], v[118:119]
	;; [unrolled: 1-line block ×8, first 2 shown]
	v_fma_f64 v[158:159], -v[27:28], v[75:76], v[158:159]
	v_fma_f64 v[118:119], v[25:26], v[75:76], v[118:119]
	v_fma_f64 v[83:84], -v[51:52], v[75:76], v[83:84]
	v_fma_f64 v[160:161], v[49:50], v[75:76], v[160:161]
	;; [unrolled: 2-line block ×4, first 2 shown]
	s_clause 0x4
	global_load_dwordx4 v[25:28], v[81:82], off offset:96
	global_load_dwordx4 v[49:52], v[81:82], off offset:80
	global_load_dwordx4 v[53:56], v[81:82], off offset:64
	global_load_dwordx4 v[69:72], v[81:82], off offset:176
	global_load_dwordx4 v[73:76], v[81:82], off offset:160
	s_waitcnt vmcnt(5)
	v_fma_f64 v[158:159], v[21:22], v[77:78], v[158:159]
	v_fma_f64 v[118:119], v[23:24], v[77:78], v[118:119]
	v_fma_f64 v[83:84], v[29:30], v[77:78], v[83:84]
	v_fma_f64 v[160:161], v[31:32], v[77:78], v[160:161]
	v_fma_f64 v[112:113], v[33:34], v[77:78], v[112:113]
	v_fma_f64 v[162:163], v[35:36], v[77:78], v[162:163]
	v_fma_f64 v[130:131], v[41:42], v[77:78], v[130:131]
	v_fma_f64 v[77:78], v[43:44], v[77:78], v[132:133]
	v_fma_f64 v[158:159], -v[23:24], v[79:80], v[158:159]
	v_fma_f64 v[118:119], v[21:22], v[79:80], v[118:119]
	global_load_dwordx4 v[21:24], v[81:82], off offset:144
	v_fma_f64 v[83:84], -v[31:32], v[79:80], v[83:84]
	v_fma_f64 v[160:161], v[29:30], v[79:80], v[160:161]
	global_load_dwordx4 v[29:32], v[81:82], off offset:128
	;; [unrolled: 3-line block ×3, first 2 shown]
	v_fma_f64 v[170:171], -v[43:44], v[79:80], v[130:131]
	v_fma_f64 v[172:173], v[41:42], v[79:80], v[77:78]
	s_clause 0x1
	global_load_dwordx4 v[41:44], v[164:165], off
	global_load_dwordx4 v[77:80], v[164:165], off offset:16
	s_waitcnt vmcnt(1)
	v_fma_f64 v[130:131], v[57:58], v[41:42], v[158:159]
	v_fma_f64 v[118:119], v[59:60], v[41:42], v[118:119]
	;; [unrolled: 1-line block ×4, first 2 shown]
	v_fma_f64 v[158:159], -v[59:60], v[43:44], v[130:131]
	v_fma_f64 v[118:119], v[57:58], v[43:44], v[118:119]
	v_fma_f64 v[130:131], v[144:145], v[41:42], v[160:161]
	v_fma_f64 v[112:113], -v[156:157], v[43:44], v[112:113]
	v_fma_f64 v[83:84], -v[144:145], v[43:44], v[83:84]
	global_load_dwordx4 v[57:60], v[81:82], off offset:224
	s_waitcnt vmcnt(1)
	v_fma_f64 v[158:159], v[37:38], v[77:78], v[158:159]
	v_fma_f64 v[118:119], v[39:40], v[77:78], v[118:119]
	v_fma_f64 v[160:161], v[142:143], v[43:44], v[130:131]
	v_fma_f64 v[142:143], v[156:157], v[41:42], v[162:163]
	v_fma_f64 v[156:157], v[89:90], v[41:42], v[170:171]
	v_fma_f64 v[41:42], v[91:92], v[41:42], v[172:173]
	v_fma_f64 v[112:113], v[150:151], v[77:78], v[112:113]
	v_fma_f64 v[83:84], v[138:139], v[77:78], v[83:84]
	global_load_dwordx4 v[130:133], v[81:82], off offset:208
	v_fma_f64 v[158:159], -v[39:40], v[79:80], v[158:159]
	v_fma_f64 v[170:171], v[37:38], v[79:80], v[118:119]
	v_fma_f64 v[118:119], v[140:141], v[77:78], v[160:161]
	;; [unrolled: 1-line block ×3, first 2 shown]
	v_fma_f64 v[156:157], -v[91:92], v[43:44], v[156:157]
	v_fma_f64 v[162:163], v[89:90], v[43:44], v[41:42]
	s_clause 0x3
	global_load_dwordx4 v[142:145], v[81:82], off offset:192
	global_load_dwordx4 v[41:44], v[81:82], off offset:1072
	;; [unrolled: 1-line block ×4, first 2 shown]
	v_fma_f64 v[83:84], -v[140:141], v[79:80], v[83:84]
	v_fma_f64 v[160:161], v[138:139], v[79:80], v[118:119]
	v_fma_f64 v[118:119], v[152:153], v[77:78], v[154:155]
	v_fma_f64 v[154:155], -v[152:153], v[79:80], v[112:113]
	v_fma_f64 v[112:113], v[114:115], v[77:78], v[156:157]
	v_fma_f64 v[77:78], v[116:117], v[77:78], v[162:163]
	global_load_dwordx4 v[138:141], v[81:82], off offset:1024
	v_fma_f64 v[172:173], v[150:151], v[79:80], v[118:119]
	global_load_dwordx4 v[150:153], v[81:82], off offset:1136
	v_fma_f64 v[156:157], -v[116:117], v[79:80], v[112:113]
	v_fma_f64 v[162:163], v[114:115], v[79:80], v[77:78]
	global_load_dwordx4 v[77:80], v[81:82], off offset:1120
	s_clause 0x1
	global_load_dwordx4 v[112:115], v[164:165], off offset:32
	global_load_dwordx4 v[116:119], v[164:165], off offset:48
	s_waitcnt vmcnt(1)
	v_fma_f64 v[158:159], v[17:18], v[112:113], v[158:159]
	v_fma_f64 v[164:165], v[19:20], v[112:113], v[170:171]
	;; [unrolled: 1-line block ×8, first 2 shown]
	v_fma_f64 v[158:159], -v[19:20], v[114:115], v[158:159]
	v_fma_f64 v[164:165], v[17:18], v[114:115], v[164:165]
	v_fma_f64 v[83:84], -v[136:137], v[114:115], v[83:84]
	v_fma_f64 v[160:161], v[134:135], v[114:115], v[160:161]
	;; [unrolled: 2-line block ×4, first 2 shown]
	v_lshlrev_b32_e32 v112, 2, v128
	s_clause 0x2
	global_load_dwordx4 v[17:20], v[81:82], off offset:1104
	global_load_dwordx4 v[134:137], v[81:82], off offset:1088
	;; [unrolled: 1-line block ×3, first 2 shown]
	v_ashrrev_i32_e32 v113, 31, v112
	v_lshlrev_b64 v[112:113], 4, v[112:113]
	s_waitcnt vmcnt(3)
	v_fma_f64 v[158:159], v[9:10], v[116:117], v[158:159]
	v_fma_f64 v[164:165], v[11:12], v[116:117], v[164:165]
	v_add_co_u32 v166, vcc_lo, s6, v112
	v_add_co_ci_u32_e64 v167, null, s7, v113, vcc_lo
	v_fma_f64 v[83:84], v[13:14], v[116:117], v[83:84]
	v_fma_f64 v[160:161], v[15:16], v[116:117], v[160:161]
	global_load_dwordx4 v[112:115], v[166:167], off
	v_fma_f64 v[158:159], -v[11:12], v[118:119], v[158:159]
	v_fma_f64 v[164:165], v[9:10], v[118:119], v[164:165]
	global_load_dwordx4 v[9:12], v[166:167], off offset:16
	v_fma_f64 v[168:169], -v[15:16], v[118:119], v[83:84]
	v_fma_f64 v[83:84], v[85:86], v[116:117], v[154:155]
	v_fma_f64 v[154:155], v[87:88], v[116:117], v[170:171]
	;; [unrolled: 1-line block ×3, first 2 shown]
	global_load_dwordx4 v[13:16], v[166:167], off offset:32
	v_fma_f64 v[87:88], -v[87:88], v[118:119], v[83:84]
	v_fma_f64 v[170:171], v[85:86], v[118:119], v[154:155]
	v_fma_f64 v[154:155], v[93:94], v[116:117], v[156:157]
	;; [unrolled: 1-line block ×3, first 2 shown]
	global_load_dwordx4 v[83:86], v[81:82], off offset:1152
	v_fma_f64 v[162:163], -v[95:96], v[118:119], v[154:155]
	v_fma_f64 v[172:173], v[93:94], v[118:119], v[116:117]
	v_subrev_nc_u32_e32 v116, s2, v129
	s_clause 0x1
	global_load_dwordx4 v[154:157], v[81:82], off offset:1216
	global_load_dwordx4 v[93:96], v[81:82], off offset:1232
	v_lshlrev_b32_e32 v128, 2, v116
	global_load_dwordx4 v[116:119], v[166:167], off offset:48
	v_ashrrev_i32_e32 v129, 31, v128
	v_lshlrev_b64 v[128:129], 4, v[128:129]
	v_add_co_u32 v128, vcc_lo, s6, v128
	v_add_co_ci_u32_e64 v129, null, s7, v129, vcc_lo
	v_add_co_u32 v122, vcc_lo, v122, 16
	v_add_co_ci_u32_e64 v123, null, 0, v123, vcc_lo
	;; [unrolled: 2-line block ×3, first 2 shown]
	v_cmp_ge_i64_e32 vcc_lo, v[122:123], v[100:101]
	s_or_b32 s9, vcc_lo, s9
	s_waitcnt vmcnt(6)
	v_fma_f64 v[158:159], v[104:105], v[112:113], v[158:159]
	v_fma_f64 v[164:165], v[106:107], v[112:113], v[164:165]
	;; [unrolled: 1-line block ×5, first 2 shown]
	v_fma_f64 v[158:159], -v[106:107], v[114:115], v[158:159]
	v_fma_f64 v[164:165], v[104:105], v[114:115], v[164:165]
	global_load_dwordx4 v[104:107], v[128:129], off
	v_fma_f64 v[166:167], -v[55:56], v[114:115], v[166:167]
	v_fma_f64 v[168:169], v[53:54], v[114:115], v[160:161]
	global_load_dwordx4 v[53:56], v[128:129], off offset:16
	v_fma_f64 v[160:161], v[31:32], v[112:113], v[170:171]
	v_fma_f64 v[87:88], -v[31:32], v[114:115], v[87:88]
	s_waitcnt vmcnt(7)
	v_fma_f64 v[158:159], v[108:109], v[9:10], v[158:159]
	v_fma_f64 v[170:171], v[29:30], v[114:115], v[160:161]
	;; [unrolled: 1-line block ×4, first 2 shown]
	global_load_dwordx4 v[29:32], v[81:82], off offset:1184
	v_fma_f64 v[162:163], v[49:50], v[9:10], v[166:167]
	v_fma_f64 v[172:173], -v[144:145], v[114:115], v[160:161]
	v_fma_f64 v[174:175], v[142:143], v[114:115], v[112:113]
	global_load_dwordx4 v[112:115], v[81:82], off offset:1248
	global_load_dwordx4 v[142:145], v[128:129], off offset:32
	v_fma_f64 v[160:161], v[110:111], v[9:10], v[164:165]
	v_fma_f64 v[164:165], v[51:52], v[9:10], v[168:169]
	v_fma_f64 v[110:111], -v[110:111], v[11:12], v[158:159]
	v_fma_f64 v[166:167], -v[51:52], v[11:12], v[162:163]
	v_fma_f64 v[108:109], v[108:109], v[11:12], v[160:161]
	global_load_dwordx4 v[158:161], v[81:82], off offset:1200
	v_fma_f64 v[168:169], v[49:50], v[11:12], v[164:165]
	global_load_dwordx4 v[49:52], v[81:82], off offset:1264
	global_load_dwordx4 v[162:165], v[128:129], off offset:48
	v_fma_f64 v[81:82], v[21:22], v[9:10], v[87:88]
	v_fma_f64 v[87:88], v[23:24], v[9:10], v[170:171]
	;; [unrolled: 1-line block ×4, first 2 shown]
	v_fma_f64 v[23:24], -v[23:24], v[11:12], v[81:82]
	v_fma_f64 v[21:22], v[21:22], v[11:12], v[87:88]
	v_fma_f64 v[81:82], -v[132:133], v[11:12], v[128:129]
	v_fma_f64 v[9:10], v[130:131], v[11:12], v[9:10]
	s_waitcnt vmcnt(12)
	v_fma_f64 v[11:12], v[45:46], v[13:14], v[110:111]
	v_fma_f64 v[87:88], v[47:48], v[13:14], v[108:109]
	v_fma_f64 v[108:109], v[25:26], v[13:14], v[166:167]
	v_fma_f64 v[110:111], v[27:28], v[13:14], v[168:169]
	v_fma_f64 v[23:24], v[73:74], v[13:14], v[23:24]
	v_fma_f64 v[21:22], v[75:76], v[13:14], v[21:22]
	v_fma_f64 v[81:82], v[57:58], v[13:14], v[81:82]
	v_fma_f64 v[9:10], v[59:60], v[13:14], v[9:10]
	v_fma_f64 v[11:12], -v[47:48], v[15:16], v[11:12]
	v_fma_f64 v[13:14], v[45:46], v[15:16], v[87:88]
	v_fma_f64 v[27:28], -v[27:28], v[15:16], v[108:109]
	v_fma_f64 v[25:26], v[25:26], v[15:16], v[110:111]
	v_fma_f64 v[23:24], -v[75:76], v[15:16], v[23:24]
	v_fma_f64 v[21:22], v[73:74], v[15:16], v[21:22]
	v_fma_f64 v[45:46], -v[59:60], v[15:16], v[81:82]
	v_fma_f64 v[9:10], v[57:58], v[15:16], v[9:10]
	s_waitcnt vmcnt(8)
	v_fma_f64 v[11:12], v[61:62], v[116:117], v[11:12]
	v_fma_f64 v[13:14], v[63:64], v[116:117], v[13:14]
	v_fma_f64 v[15:16], v[65:66], v[116:117], v[27:28]
	v_fma_f64 v[25:26], v[67:68], v[116:117], v[25:26]
	v_fma_f64 v[23:24], v[69:70], v[116:117], v[23:24]
	v_fma_f64 v[21:22], v[71:72], v[116:117], v[21:22]
	v_fma_f64 v[27:28], v[33:34], v[116:117], v[45:46]
	v_fma_f64 v[9:10], v[35:36], v[116:117], v[9:10]
	v_fma_f64 v[11:12], -v[63:64], v[118:119], v[11:12]
	v_fma_f64 v[13:14], v[61:62], v[118:119], v[13:14]
	v_fma_f64 v[15:16], -v[67:68], v[118:119], v[15:16]
	v_fma_f64 v[25:26], v[65:66], v[118:119], v[25:26]
	v_fma_f64 v[23:24], -v[71:72], v[118:119], v[23:24]
	v_fma_f64 v[21:22], v[69:70], v[118:119], v[21:22]
	v_fma_f64 v[27:28], -v[35:36], v[118:119], v[27:28]
	v_fma_f64 v[9:10], v[33:34], v[118:119], v[9:10]
	s_waitcnt vmcnt(7)
	v_fma_f64 v[11:12], v[138:139], v[104:105], v[11:12]
	v_fma_f64 v[13:14], v[140:141], v[104:105], v[13:14]
	v_fma_f64 v[15:16], v[134:135], v[104:105], v[15:16]
	v_fma_f64 v[25:26], v[136:137], v[104:105], v[25:26]
	v_fma_f64 v[23:24], v[83:84], v[104:105], v[23:24]
	v_fma_f64 v[21:22], v[85:86], v[104:105], v[21:22]
	v_fma_f64 v[27:28], v[154:155], v[104:105], v[27:28]
	v_fma_f64 v[9:10], v[156:157], v[104:105], v[9:10]
	v_fma_f64 v[11:12], -v[140:141], v[106:107], v[11:12]
	v_fma_f64 v[13:14], v[138:139], v[106:107], v[13:14]
	v_fma_f64 v[15:16], -v[136:137], v[106:107], v[15:16]
	v_fma_f64 v[25:26], v[134:135], v[106:107], v[25:26]
	v_fma_f64 v[23:24], -v[85:86], v[106:107], v[23:24]
	v_fma_f64 v[21:22], v[83:84], v[106:107], v[21:22]
	v_fma_f64 v[27:28], -v[156:157], v[106:107], v[27:28]
	v_fma_f64 v[9:10], v[154:155], v[106:107], v[9:10]
	s_waitcnt vmcnt(6)
	v_fma_f64 v[11:12], v[37:38], v[53:54], v[11:12]
	v_fma_f64 v[13:14], v[39:40], v[53:54], v[13:14]
	v_fma_f64 v[15:16], v[17:18], v[53:54], v[15:16]
	v_fma_f64 v[25:26], v[19:20], v[53:54], v[25:26]
	v_fma_f64 v[23:24], v[146:147], v[53:54], v[23:24]
	v_fma_f64 v[21:22], v[148:149], v[53:54], v[21:22]
	v_fma_f64 v[27:28], v[93:94], v[53:54], v[27:28]
	v_fma_f64 v[9:10], v[95:96], v[53:54], v[9:10]
	v_fma_f64 v[11:12], -v[39:40], v[55:56], v[11:12]
	v_fma_f64 v[13:14], v[37:38], v[55:56], v[13:14]
	v_fma_f64 v[15:16], -v[19:20], v[55:56], v[15:16]
	v_fma_f64 v[17:18], v[17:18], v[55:56], v[25:26]
	v_fma_f64 v[19:20], -v[148:149], v[55:56], v[23:24]
	v_fma_f64 v[21:22], v[146:147], v[55:56], v[21:22]
	v_fma_f64 v[23:24], -v[95:96], v[55:56], v[27:28]
	v_fma_f64 v[9:10], v[93:94], v[55:56], v[9:10]
	s_waitcnt vmcnt(3)
	v_fma_f64 v[11:12], v[89:90], v[142:143], v[11:12]
	v_fma_f64 v[13:14], v[91:92], v[142:143], v[13:14]
	v_fma_f64 v[15:16], v[77:78], v[142:143], v[15:16]
	v_fma_f64 v[17:18], v[79:80], v[142:143], v[17:18]
	v_fma_f64 v[19:20], v[29:30], v[142:143], v[19:20]
	v_fma_f64 v[21:22], v[31:32], v[142:143], v[21:22]
	v_fma_f64 v[23:24], v[112:113], v[142:143], v[23:24]
	v_fma_f64 v[9:10], v[114:115], v[142:143], v[9:10]
	v_fma_f64 v[11:12], -v[91:92], v[144:145], v[11:12]
	v_fma_f64 v[13:14], v[89:90], v[144:145], v[13:14]
	v_fma_f64 v[15:16], -v[79:80], v[144:145], v[15:16]
	v_fma_f64 v[17:18], v[77:78], v[144:145], v[17:18]
	v_fma_f64 v[19:20], -v[31:32], v[144:145], v[19:20]
	v_fma_f64 v[21:22], v[29:30], v[144:145], v[21:22]
	v_fma_f64 v[23:24], -v[114:115], v[144:145], v[23:24]
	v_fma_f64 v[9:10], v[112:113], v[144:145], v[9:10]
	s_waitcnt vmcnt(0)
	v_fma_f64 v[11:12], v[41:42], v[162:163], v[11:12]
	v_fma_f64 v[13:14], v[43:44], v[162:163], v[13:14]
	v_fma_f64 v[15:16], v[150:151], v[162:163], v[15:16]
	v_fma_f64 v[17:18], v[152:153], v[162:163], v[17:18]
	v_fma_f64 v[19:20], v[158:159], v[162:163], v[19:20]
	v_fma_f64 v[21:22], v[160:161], v[162:163], v[21:22]
	v_fma_f64 v[23:24], v[49:50], v[162:163], v[23:24]
	v_fma_f64 v[9:10], v[51:52], v[162:163], v[9:10]
	v_fma_f64 v[118:119], -v[43:44], v[164:165], v[11:12]
	v_fma_f64 v[114:115], v[41:42], v[164:165], v[13:14]
	v_fma_f64 v[116:117], -v[152:153], v[164:165], v[15:16]
	v_fma_f64 v[108:109], v[150:151], v[164:165], v[17:18]
	v_fma_f64 v[112:113], -v[160:161], v[164:165], v[19:20]
	v_fma_f64 v[110:111], v[158:159], v[164:165], v[21:22]
	v_fma_f64 v[104:105], -v[51:52], v[164:165], v[23:24]
	v_fma_f64 v[106:107], v[49:50], v[164:165], v[9:10]
	s_andn2_b32 exec_lo, exec_lo, s9
	s_cbranch_execnz .LBB35_19
; %bb.20:
	s_or_b32 exec_lo, exec_lo, s9
.LBB35_21:
	s_or_b32 exec_lo, exec_lo, s8
.LBB35_22:
	s_or_b32 exec_lo, exec_lo, s3
	s_cbranch_execz .LBB35_24
	s_branch .LBB35_35
.LBB35_23:
                                        ; implicit-def: $vgpr114_vgpr115
                                        ; implicit-def: $vgpr118_vgpr119
                                        ; implicit-def: $vgpr104_vgpr105
                                        ; implicit-def: $vgpr106_vgpr107
                                        ; implicit-def: $vgpr112_vgpr113
                                        ; implicit-def: $vgpr110_vgpr111
                                        ; implicit-def: $vgpr116_vgpr117
                                        ; implicit-def: $vgpr108_vgpr109
.LBB35_24:
	v_mov_b32_e32 v114, 0
	v_mov_b32_e32 v118, 0
	;; [unrolled: 1-line block ×16, first 2 shown]
	s_and_saveexec_b32 s1, s0
	s_cbranch_execz .LBB35_34
; %bb.25:
	v_or_b32_e32 v9, 4, v0
	v_not_b32_e32 v13, v120
	v_not_b32_e32 v11, v121
	v_mov_b32_e32 v108, 0
	v_mov_b32_e32 v116, 0
	v_sub_co_u32 v9, s0, v9, s2
	v_sub_co_ci_u32_e64 v10, null, 0, 0, s0
	v_sub_co_u32 v14, s0, s2, v0
	v_add_co_u32 v9, vcc_lo, v9, v120
	v_add_co_ci_u32_e64 v10, null, v10, v121, vcc_lo
	v_sub_co_ci_u32_e64 v15, null, 0, 0, s0
	v_add_co_u32 v13, s0, v14, v13
	v_cmp_gt_i64_e32 vcc_lo, v[9:10], v[100:101]
	v_add_co_ci_u32_e64 v11, null, v15, v11, s0
	v_mov_b32_e32 v110, 0
	v_mov_b32_e32 v112, 0
	;; [unrolled: 1-line block ×3, first 2 shown]
	v_cndmask_b32_e32 v9, v100, v9, vcc_lo
	v_cndmask_b32_e32 v10, v101, v10, vcc_lo
	v_mov_b32_e32 v104, 0
	v_mov_b32_e32 v118, 0
	;; [unrolled: 1-line block ×3, first 2 shown]
	v_add_co_u32 v9, vcc_lo, v13, v9
	v_mov_b32_e32 v12, 0
	v_mov_b32_e32 v109, 0
	;; [unrolled: 1-line block ×4, first 2 shown]
	v_add_co_ci_u32_e64 v10, null, v11, v10, vcc_lo
	v_and_b32_e32 v11, 12, v9
	v_mov_b32_e32 v113, 0
	v_mov_b32_e32 v107, 0
	;; [unrolled: 1-line block ×5, first 2 shown]
	s_mov_b32 s3, exec_lo
	v_cmpx_ne_u64_e32 12, v[11:12]
	s_cbranch_execz .LBB35_29
; %bb.26:
	v_lshrrev_b32_e32 v13, 2, v9
	v_lshlrev_b64 v[11:12], 2, v[98:99]
	v_mov_b32_e32 v114, 0
	v_mov_b32_e32 v118, 0
	;; [unrolled: 1-line block ×3, first 2 shown]
	v_add_nc_u32_e32 v13, 1, v13
	v_mov_b32_e32 v106, 0
	v_add_co_u32 v11, vcc_lo, s12, v11
	v_mov_b32_e32 v112, 0
	v_and_b32_e32 v13, 3, v13
	v_mov_b32_e32 v110, 0
	v_mov_b32_e32 v116, 0
	;; [unrolled: 1-line block ×4, first 2 shown]
	v_sub_co_u32 v13, s0, 0, v13
	v_mov_b32_e32 v119, 0
	v_mov_b32_e32 v105, 0
	v_add_co_ci_u32_e64 v12, null, s13, v12, vcc_lo
	v_mov_b32_e32 v107, 0
	v_mov_b32_e32 v113, 0
	;; [unrolled: 1-line block ×5, first 2 shown]
	v_sub_co_ci_u32_e64 v14, null, 0, 0, s0
	s_mov_b32 s8, 0
.LBB35_27:                              ; =>This Inner Loop Header: Depth=1
	global_load_dword v31, v[11:12], off
	s_clause 0x3
	global_load_dwordx4 v[15:18], v[102:103], off offset:48
	global_load_dwordx4 v[19:22], v[102:103], off offset:32
	;; [unrolled: 1-line block ×3, first 2 shown]
	global_load_dwordx4 v[27:30], v[102:103], off
	v_add_co_u32 v11, s0, v11, 16
	v_add_co_ci_u32_e64 v12, null, 0, v12, s0
	s_waitcnt vmcnt(4)
	v_subrev_nc_u32_e32 v31, s2, v31
	v_lshlrev_b32_e32 v31, 2, v31
	v_ashrrev_i32_e32 v32, 31, v31
	v_lshlrev_b64 v[31:32], 4, v[31:32]
	v_add_co_u32 v75, vcc_lo, s6, v31
	v_add_co_ci_u32_e64 v76, null, s7, v32, vcc_lo
	global_load_dwordx4 v[31:34], v[75:76], off
	s_clause 0x3
	global_load_dwordx4 v[35:38], v[102:103], off offset:64
	global_load_dwordx4 v[39:42], v[102:103], off offset:80
	;; [unrolled: 1-line block ×5, first 2 shown]
	s_clause 0x3
	global_load_dwordx4 v[55:58], v[102:103], off offset:176
	global_load_dwordx4 v[59:62], v[102:103], off offset:160
	;; [unrolled: 1-line block ×4, first 2 shown]
	s_clause 0x1
	global_load_dwordx4 v[71:74], v[75:76], off offset:32
	global_load_dwordx4 v[75:78], v[75:76], off offset:48
	s_clause 0x3
	global_load_dwordx4 v[79:82], v[102:103], off offset:192
	global_load_dwordx4 v[83:86], v[102:103], off offset:208
	;; [unrolled: 1-line block ×4, first 2 shown]
	v_add_co_u32 v102, vcc_lo, 0x400, v102
	v_add_co_ci_u32_e64 v103, null, 0, v103, vcc_lo
	v_add_co_u32 v13, vcc_lo, v13, 1
	v_add_co_ci_u32_e64 v14, null, 0, v14, vcc_lo
	;; [unrolled: 2-line block ×3, first 2 shown]
	v_cmp_eq_u64_e32 vcc_lo, 0, v[13:14]
	s_or_b32 s8, vcc_lo, s8
	s_waitcnt vmcnt(15)
	v_fma_f64 v[95:96], v[27:28], v[31:32], v[118:119]
	v_fma_f64 v[114:115], v[29:30], v[31:32], v[114:115]
	v_fma_f64 v[116:117], v[23:24], v[31:32], v[116:117]
	v_fma_f64 v[108:109], v[25:26], v[31:32], v[108:109]
	v_fma_f64 v[112:113], v[19:20], v[31:32], v[112:113]
	v_fma_f64 v[110:111], v[21:22], v[31:32], v[110:111]
	v_fma_f64 v[104:105], v[15:16], v[31:32], v[104:105]
	v_fma_f64 v[31:32], v[17:18], v[31:32], v[106:107]
	v_fma_f64 v[29:30], -v[29:30], v[33:34], v[95:96]
	v_fma_f64 v[27:28], v[27:28], v[33:34], v[114:115]
	v_fma_f64 v[25:26], -v[25:26], v[33:34], v[116:117]
	v_fma_f64 v[23:24], v[23:24], v[33:34], v[108:109]
	v_fma_f64 v[21:22], -v[21:22], v[33:34], v[112:113]
	v_fma_f64 v[19:20], v[19:20], v[33:34], v[110:111]
	v_fma_f64 v[17:18], -v[17:18], v[33:34], v[104:105]
	v_fma_f64 v[15:16], v[15:16], v[33:34], v[31:32]
	s_waitcnt vmcnt(10)
	v_fma_f64 v[29:30], v[35:36], v[51:52], v[29:30]
	v_fma_f64 v[27:28], v[37:38], v[51:52], v[27:28]
	v_fma_f64 v[25:26], v[39:40], v[51:52], v[25:26]
	v_fma_f64 v[23:24], v[41:42], v[51:52], v[23:24]
	v_fma_f64 v[21:22], v[43:44], v[51:52], v[21:22]
	v_fma_f64 v[19:20], v[45:46], v[51:52], v[19:20]
	v_fma_f64 v[17:18], v[47:48], v[51:52], v[17:18]
	v_fma_f64 v[15:16], v[49:50], v[51:52], v[15:16]
	v_fma_f64 v[29:30], -v[37:38], v[53:54], v[29:30]
	v_fma_f64 v[27:28], v[35:36], v[53:54], v[27:28]
	v_fma_f64 v[25:26], -v[41:42], v[53:54], v[25:26]
	v_fma_f64 v[23:24], v[39:40], v[53:54], v[23:24]
	v_fma_f64 v[21:22], -v[45:46], v[53:54], v[21:22]
	v_fma_f64 v[19:20], v[43:44], v[53:54], v[19:20]
	v_fma_f64 v[17:18], -v[49:50], v[53:54], v[17:18]
	v_fma_f64 v[15:16], v[47:48], v[53:54], v[15:16]
	s_waitcnt vmcnt(5)
	v_fma_f64 v[29:30], v[67:68], v[71:72], v[29:30]
	v_fma_f64 v[27:28], v[69:70], v[71:72], v[27:28]
	v_fma_f64 v[25:26], v[63:64], v[71:72], v[25:26]
	v_fma_f64 v[23:24], v[65:66], v[71:72], v[23:24]
	v_fma_f64 v[21:22], v[59:60], v[71:72], v[21:22]
	v_fma_f64 v[19:20], v[61:62], v[71:72], v[19:20]
	v_fma_f64 v[17:18], v[55:56], v[71:72], v[17:18]
	v_fma_f64 v[15:16], v[57:58], v[71:72], v[15:16]
	v_fma_f64 v[29:30], -v[69:70], v[73:74], v[29:30]
	v_fma_f64 v[27:28], v[67:68], v[73:74], v[27:28]
	v_fma_f64 v[25:26], -v[65:66], v[73:74], v[25:26]
	v_fma_f64 v[23:24], v[63:64], v[73:74], v[23:24]
	v_fma_f64 v[21:22], -v[61:62], v[73:74], v[21:22]
	v_fma_f64 v[19:20], v[59:60], v[73:74], v[19:20]
	v_fma_f64 v[17:18], -v[57:58], v[73:74], v[17:18]
	v_fma_f64 v[15:16], v[55:56], v[73:74], v[15:16]
	s_waitcnt vmcnt(3)
	v_fma_f64 v[29:30], v[79:80], v[75:76], v[29:30]
	v_fma_f64 v[27:28], v[81:82], v[75:76], v[27:28]
	s_waitcnt vmcnt(2)
	v_fma_f64 v[25:26], v[83:84], v[75:76], v[25:26]
	v_fma_f64 v[23:24], v[85:86], v[75:76], v[23:24]
	;; [unrolled: 3-line block ×4, first 2 shown]
	v_fma_f64 v[118:119], -v[81:82], v[77:78], v[29:30]
	v_fma_f64 v[114:115], v[79:80], v[77:78], v[27:28]
	v_fma_f64 v[116:117], -v[85:86], v[77:78], v[25:26]
	v_fma_f64 v[108:109], v[83:84], v[77:78], v[23:24]
	;; [unrolled: 2-line block ×4, first 2 shown]
	s_andn2_b32 exec_lo, exec_lo, s8
	s_cbranch_execnz .LBB35_27
; %bb.28:
	s_or_b32 exec_lo, exec_lo, s8
.LBB35_29:
	s_or_b32 exec_lo, exec_lo, s3
	s_mov_b32 s3, exec_lo
	v_cmpx_lt_u64_e32 11, v[9:10]
	s_cbranch_execz .LBB35_33
; %bb.30:
	v_lshlrev_b64 v[9:10], 2, v[98:99]
	s_mov_b32 s8, 0
	v_add_co_u32 v9, vcc_lo, s12, v9
	v_add_co_ci_u32_e64 v10, null, s13, v10, vcc_lo
	v_add_co_u32 v81, vcc_lo, v9, 32
	v_add_co_ci_u32_e64 v82, null, 0, v10, vcc_lo
.LBB35_31:                              ; =>This Inner Loop Header: Depth=1
	global_load_dword v84, v[81:82], off offset:-32
	s_clause 0x11
	global_load_dwordx4 v[9:12], v[102:103], off offset:48
	global_load_dwordx4 v[17:20], v[102:103], off offset:32
	;; [unrolled: 1-line block ×3, first 2 shown]
	global_load_dwordx4 v[49:52], v[102:103], off
	global_load_dwordx4 v[37:40], v[102:103], off offset:112
	global_load_dwordx4 v[53:56], v[102:103], off offset:96
	;; [unrolled: 1-line block ×14, first 2 shown]
	s_clause 0x2
	global_load_dword v85, v[81:82], off offset:-16
	global_load_dword v83, v[81:82], off
	global_load_dword v96, v[81:82], off offset:16
	s_clause 0x6
	global_load_dwordx4 v[86:89], v[102:103], off offset:1040
	global_load_dwordx4 v[90:93], v[102:103], off offset:1024
	;; [unrolled: 1-line block ×7, first 2 shown]
	s_waitcnt vmcnt(28)
	v_subrev_nc_u32_e32 v84, s2, v84
	v_lshlrev_b32_e32 v94, 2, v84
	v_ashrrev_i32_e32 v95, 31, v94
	v_lshlrev_b64 v[94:95], 4, v[94:95]
	s_waitcnt vmcnt(9)
	v_subrev_nc_u32_e32 v84, s2, v85
	s_waitcnt vmcnt(8)
	v_subrev_nc_u32_e32 v83, s2, v83
	v_add_co_u32 v94, vcc_lo, s6, v94
	v_add_co_ci_u32_e64 v95, null, s7, v95, vcc_lo
	v_add_co_u32 v150, vcc_lo, 0x800, v102
	v_add_co_ci_u32_e64 v151, null, 0, v103, vcc_lo
	s_clause 0x1
	global_load_dwordx4 v[140:143], v[94:95], off
	global_load_dwordx4 v[144:147], v[94:95], off offset:16
	v_lshlrev_b32_e32 v84, 2, v84
	s_waitcnt vmcnt(9)
	v_subrev_nc_u32_e32 v96, s2, v96
	v_ashrrev_i32_e32 v85, 31, v84
	v_lshlrev_b64 v[84:85], 4, v[84:85]
	s_waitcnt vmcnt(1)
	v_fma_f64 v[108:109], v[35:36], v[140:141], v[108:109]
	v_fma_f64 v[112:113], v[17:18], v[140:141], v[112:113]
	v_fma_f64 v[110:111], v[19:20], v[140:141], v[110:111]
	v_fma_f64 v[118:119], v[49:50], v[140:141], v[118:119]
	v_fma_f64 v[114:115], v[51:52], v[140:141], v[114:115]
	v_fma_f64 v[116:117], v[33:34], v[140:141], v[116:117]
	v_fma_f64 v[104:105], v[9:10], v[140:141], v[104:105]
	v_fma_f64 v[106:107], v[11:12], v[140:141], v[106:107]
	v_fma_f64 v[108:109], v[33:34], v[142:143], v[108:109]
	v_fma_f64 v[112:113], -v[19:20], v[142:143], v[112:113]
	v_fma_f64 v[110:111], v[17:18], v[142:143], v[110:111]
	v_fma_f64 v[118:119], -v[51:52], v[142:143], v[118:119]
	v_fma_f64 v[114:115], v[49:50], v[142:143], v[114:115]
	v_fma_f64 v[116:117], -v[35:36], v[142:143], v[116:117]
	v_fma_f64 v[140:141], -v[11:12], v[142:143], v[104:105]
	v_fma_f64 v[142:143], v[9:10], v[142:143], v[106:107]
	s_clause 0x4
	global_load_dwordx4 v[49:52], v[102:103], off offset:1184
	global_load_dwordx4 v[33:36], v[102:103], off offset:1168
	;; [unrolled: 1-line block ×5, first 2 shown]
	s_waitcnt vmcnt(5)
	v_fma_f64 v[108:109], v[71:72], v[144:145], v[108:109]
	v_fma_f64 v[110:111], v[55:56], v[144:145], v[110:111]
	;; [unrolled: 1-line block ×9, first 2 shown]
	v_fma_f64 v[118:119], -v[75:76], v[146:147], v[118:119]
	v_fma_f64 v[114:115], v[73:74], v[146:147], v[114:115]
	global_load_dwordx4 v[73:76], v[102:103], off offset:1232
	v_fma_f64 v[116:117], -v[71:72], v[146:147], v[116:117]
	global_load_dwordx4 v[69:72], v[102:103], off offset:1216
	v_add_co_u32 v102, s0, 0x1000, v102
	v_add_co_ci_u32_e64 v103, null, 0, v103, s0
	v_fma_f64 v[112:113], -v[55:56], v[146:147], v[108:109]
	v_fma_f64 v[108:109], v[37:38], v[144:145], v[140:141]
	global_load_dwordx4 v[53:56], v[150:151], off
	v_fma_f64 v[142:143], v[37:38], v[146:147], v[110:111]
	v_fma_f64 v[140:141], -v[39:40], v[146:147], v[108:109]
	s_clause 0x1
	global_load_dwordx4 v[37:40], v[94:95], off offset:32
	global_load_dwordx4 v[108:111], v[94:95], off offset:48
	v_add_co_u32 v146, vcc_lo, s6, v84
	v_add_co_ci_u32_e64 v147, null, s7, v85, vcc_lo
	s_waitcnt vmcnt(1)
	v_fma_f64 v[94:95], v[77:78], v[37:38], v[118:119]
	v_fma_f64 v[114:115], v[79:80], v[37:38], v[114:115]
	;; [unrolled: 1-line block ×8, first 2 shown]
	v_fma_f64 v[94:95], -v[79:80], v[39:40], v[94:95]
	v_fma_f64 v[114:115], v[77:78], v[39:40], v[114:115]
	v_fma_f64 v[116:117], -v[67:68], v[39:40], v[116:117]
	v_fma_f64 v[118:119], v[65:66], v[39:40], v[118:119]
	;; [unrolled: 2-line block ×4, first 2 shown]
	s_clause 0x4
	global_load_dwordx4 v[77:80], v[150:151], off offset:48
	global_load_dwordx4 v[65:68], v[150:151], off offset:32
	;; [unrolled: 1-line block ×5, first 2 shown]
	s_waitcnt vmcnt(5)
	v_fma_f64 v[94:95], v[61:62], v[108:109], v[94:95]
	v_fma_f64 v[114:115], v[63:64], v[108:109], v[114:115]
	;; [unrolled: 1-line block ×8, first 2 shown]
	v_fma_f64 v[94:95], -v[63:64], v[110:111], v[94:95]
	v_fma_f64 v[114:115], v[61:62], v[110:111], v[114:115]
	global_load_dwordx4 v[61:64], v[150:151], off offset:80
	v_fma_f64 v[116:117], -v[59:60], v[110:111], v[116:117]
	v_fma_f64 v[118:119], v[57:58], v[110:111], v[118:119]
	global_load_dwordx4 v[57:60], v[150:151], off offset:64
	;; [unrolled: 3-line block ×3, first 2 shown]
	v_fma_f64 v[140:141], -v[15:16], v[110:111], v[84:85]
	v_fma_f64 v[142:143], v[13:14], v[110:111], v[108:109]
	s_clause 0x1
	global_load_dwordx4 v[13:16], v[146:147], off
	global_load_dwordx4 v[108:111], v[146:147], off offset:16
	s_waitcnt vmcnt(1)
	v_fma_f64 v[84:85], v[90:91], v[13:14], v[94:95]
	v_fma_f64 v[94:95], v[92:93], v[13:14], v[114:115]
	v_fma_f64 v[112:113], v[29:30], v[13:14], v[112:113]
	v_fma_f64 v[114:115], -v[92:93], v[15:16], v[84:85]
	v_fma_f64 v[84:85], v[86:87], v[13:14], v[116:117]
	v_fma_f64 v[116:117], v[88:89], v[13:14], v[118:119]
	;; [unrolled: 1-line block ×4, first 2 shown]
	v_fma_f64 v[144:145], -v[31:32], v[15:16], v[112:113]
	v_fma_f64 v[112:113], v[21:22], v[13:14], v[140:141]
	v_fma_f64 v[13:14], v[23:24], v[13:14], v[142:143]
	global_load_dwordx4 v[90:93], v[150:151], off offset:160
	v_fma_f64 v[88:89], -v[88:89], v[15:16], v[84:85]
	v_fma_f64 v[116:117], v[86:87], v[15:16], v[116:117]
	s_waitcnt vmcnt(1)
	v_fma_f64 v[94:95], v[134:135], v[108:109], v[94:95]
	v_fma_f64 v[148:149], v[29:30], v[15:16], v[118:119]
	s_clause 0x1
	global_load_dwordx4 v[84:87], v[150:151], off offset:144
	global_load_dwordx4 v[29:32], v[150:151], off offset:128
	v_fma_f64 v[140:141], -v[23:24], v[15:16], v[112:113]
	v_fma_f64 v[142:143], v[21:22], v[15:16], v[13:14]
	v_fma_f64 v[112:113], v[132:133], v[108:109], v[114:115]
	s_clause 0x1
	global_load_dwordx4 v[13:16], v[150:151], off offset:240
	global_load_dwordx4 v[21:24], v[150:151], off offset:224
	v_fma_f64 v[88:89], v[128:129], v[108:109], v[88:89]
	v_fma_f64 v[116:117], v[130:131], v[108:109], v[116:117]
	;; [unrolled: 1-line block ×3, first 2 shown]
	v_fma_f64 v[134:135], -v[134:135], v[110:111], v[112:113]
	global_load_dwordx4 v[112:115], v[150:151], off offset:208
	v_fma_f64 v[88:89], -v[130:131], v[110:111], v[88:89]
	v_fma_f64 v[132:133], v[128:129], v[110:111], v[116:117]
	v_fma_f64 v[128:129], v[124:125], v[108:109], v[144:145]
	;; [unrolled: 1-line block ×3, first 2 shown]
	global_load_dwordx4 v[116:119], v[150:151], off offset:192
	v_fma_f64 v[144:145], -v[126:127], v[110:111], v[128:129]
	v_fma_f64 v[128:129], v[120:121], v[108:109], v[140:141]
	v_fma_f64 v[108:109], v[122:123], v[108:109], v[142:143]
	;; [unrolled: 1-line block ×3, first 2 shown]
	global_load_dwordx4 v[124:127], v[150:151], off offset:1072
	v_fma_f64 v[140:141], -v[122:123], v[110:111], v[128:129]
	v_fma_f64 v[142:143], v[120:121], v[110:111], v[108:109]
	global_load_dwordx4 v[108:111], v[150:151], off offset:1056
	s_clause 0x1
	global_load_dwordx4 v[120:123], v[146:147], off offset:32
	global_load_dwordx4 v[128:131], v[146:147], off offset:48
	s_waitcnt vmcnt(1)
	v_fma_f64 v[134:135], v[17:18], v[120:121], v[134:135]
	v_fma_f64 v[132:133], v[35:36], v[120:121], v[132:133]
	;; [unrolled: 1-line block ×4, first 2 shown]
	v_fma_f64 v[146:147], -v[19:20], v[122:123], v[134:135]
	v_fma_f64 v[134:135], v[51:52], v[120:121], v[148:149]
	v_fma_f64 v[152:153], v[33:34], v[122:123], v[132:133]
	;; [unrolled: 1-line block ×4, first 2 shown]
	v_fma_f64 v[88:89], -v[35:36], v[122:123], v[88:89]
	s_clause 0x1
	global_load_dwordx4 v[17:20], v[150:151], off offset:1040
	global_load_dwordx4 v[33:36], v[150:151], off offset:1024
	v_fma_f64 v[148:149], v[49:50], v[122:123], v[134:135]
	v_fma_f64 v[144:145], -v[51:52], v[122:123], v[132:133]
	v_fma_f64 v[132:133], v[136:137], v[120:121], v[140:141]
	v_fma_f64 v[120:121], v[138:139], v[120:121], v[142:143]
	s_waitcnt vmcnt(2)
	v_fma_f64 v[140:141], v[69:70], v[128:129], v[146:147]
	v_fma_f64 v[142:143], v[75:76], v[128:129], v[152:153]
	;; [unrolled: 1-line block ×4, first 2 shown]
	global_load_dwordx4 v[49:52], v[150:151], off offset:1136
	v_fma_f64 v[146:147], v[106:107], v[128:129], v[148:149]
	v_lshlrev_b32_e32 v148, 2, v96
	v_fma_f64 v[144:145], v[104:105], v[128:129], v[144:145]
	v_fma_f64 v[138:139], -v[138:139], v[122:123], v[132:133]
	v_fma_f64 v[136:137], v[136:137], v[122:123], v[120:121]
	s_clause 0x1
	global_load_dwordx4 v[120:123], v[150:151], off offset:1120
	global_load_dwordx4 v[132:135], v[150:151], off offset:1104
	v_fma_f64 v[140:141], -v[71:72], v[130:131], v[140:141]
	v_fma_f64 v[94:95], v[69:70], v[130:131], v[94:95]
	global_load_dwordx4 v[69:72], v[150:151], off offset:1088
	v_fma_f64 v[88:89], -v[75:76], v[130:131], v[88:89]
	v_fma_f64 v[142:143], v[73:74], v[130:131], v[142:143]
	global_load_dwordx4 v[73:76], v[150:151], off offset:1200
	v_ashrrev_i32_e32 v149, 31, v148
	v_fma_f64 v[146:147], v[104:105], v[130:131], v[146:147]
	v_lshlrev_b32_e32 v104, 2, v83
	v_fma_f64 v[144:145], -v[106:107], v[130:131], v[144:145]
	v_fma_f64 v[106:107], v[11:12], v[128:129], v[136:137]
	v_ashrrev_i32_e32 v105, 31, v104
	v_lshlrev_b64 v[104:105], 4, v[104:105]
	v_add_co_u32 v152, vcc_lo, s6, v104
	v_add_co_ci_u32_e64 v153, null, s7, v105, vcc_lo
	v_fma_f64 v[104:105], v[9:10], v[128:129], v[138:139]
	v_fma_f64 v[138:139], v[9:10], v[130:131], v[106:107]
	v_fma_f64 v[136:137], -v[11:12], v[130:131], v[104:105]
	s_clause 0x1
	global_load_dwordx4 v[9:12], v[152:153], off
	global_load_dwordx4 v[104:107], v[152:153], off offset:16
	s_waitcnt vmcnt(1)
	v_fma_f64 v[128:129], v[53:54], v[9:10], v[140:141]
	v_fma_f64 v[94:95], v[55:56], v[9:10], v[94:95]
	;; [unrolled: 1-line block ×8, first 2 shown]
	v_fma_f64 v[140:141], -v[55:56], v[11:12], v[128:129]
	v_fma_f64 v[94:95], v[53:54], v[11:12], v[94:95]
	global_load_dwordx4 v[53:56], v[152:153], off offset:32
	v_lshlrev_b64 v[128:129], 4, v[148:149]
	v_fma_f64 v[88:89], -v[47:48], v[11:12], v[88:89]
	v_fma_f64 v[142:143], v[45:46], v[11:12], v[142:143]
	v_fma_f64 v[144:145], -v[67:68], v[11:12], v[144:145]
	v_fma_f64 v[146:147], v[65:66], v[11:12], v[146:147]
	v_fma_f64 v[136:137], -v[79:80], v[11:12], v[136:137]
	v_add_co_u32 v148, vcc_lo, s6, v128
	v_add_co_ci_u32_e64 v149, null, s7, v129, vcc_lo
	global_load_dwordx4 v[128:131], v[152:153], off offset:48
	v_fma_f64 v[138:139], v[77:78], v[11:12], v[9:10]
	v_add_co_u32 v98, vcc_lo, v98, 16
	s_clause 0x1
	global_load_dwordx4 v[45:48], v[148:149], off offset:16
	global_load_dwordx4 v[65:68], v[148:149], off
	s_clause 0x1
	global_load_dwordx4 v[9:12], v[150:151], off offset:1184
	global_load_dwordx4 v[77:80], v[150:151], off offset:1168
	v_add_co_ci_u32_e64 v99, null, 0, v99, vcc_lo
	s_waitcnt vmcnt(6)
	v_fma_f64 v[140:141], v[57:58], v[104:105], v[140:141]
	v_fma_f64 v[94:95], v[59:60], v[104:105], v[94:95]
	v_add_co_u32 v81, vcc_lo, v81, 64
	v_fma_f64 v[88:89], v[61:62], v[104:105], v[88:89]
	v_fma_f64 v[142:143], v[63:64], v[104:105], v[142:143]
	;; [unrolled: 1-line block ×5, first 2 shown]
	v_add_co_ci_u32_e64 v82, null, 0, v82, vcc_lo
	v_cmp_ge_i64_e32 vcc_lo, v[98:99], v[100:101]
	v_fma_f64 v[104:105], v[27:28], v[104:105], v[138:139]
	s_or_b32 s8, vcc_lo, s8
	v_fma_f64 v[140:141], -v[59:60], v[106:107], v[140:141]
	v_fma_f64 v[94:95], v[57:58], v[106:107], v[94:95]
	global_load_dwordx4 v[57:60], v[150:151], off offset:1152
	v_fma_f64 v[88:89], -v[63:64], v[106:107], v[88:89]
	v_fma_f64 v[142:143], v[61:62], v[106:107], v[142:143]
	global_load_dwordx4 v[61:64], v[148:149], off offset:48
	v_fma_f64 v[144:145], -v[39:40], v[106:107], v[144:145]
	v_fma_f64 v[146:147], v[37:38], v[106:107], v[146:147]
	global_load_dwordx4 v[37:40], v[148:149], off offset:32
	v_fma_f64 v[148:149], -v[27:28], v[106:107], v[136:137]
	v_fma_f64 v[152:153], v[25:26], v[106:107], v[104:105]
	s_clause 0x1
	global_load_dwordx4 v[25:28], v[150:151], off offset:1232
	global_load_dwordx4 v[104:107], v[150:151], off offset:1216
	s_waitcnt vmcnt(10)
	v_fma_f64 v[136:137], v[29:30], v[53:54], v[140:141]
	v_fma_f64 v[94:95], v[31:32], v[53:54], v[94:95]
	;; [unrolled: 1-line block ×8, first 2 shown]
	v_fma_f64 v[140:141], -v[31:32], v[55:56], v[136:137]
	v_fma_f64 v[94:95], v[29:30], v[55:56], v[94:95]
	s_clause 0x1
	global_load_dwordx4 v[29:32], v[150:151], off offset:1248
	global_load_dwordx4 v[136:139], v[150:151], off offset:1264
	v_fma_f64 v[86:87], -v[86:87], v[55:56], v[88:89]
	v_fma_f64 v[83:84], v[84:85], v[55:56], v[142:143]
	v_fma_f64 v[88:89], -v[92:93], v[55:56], v[144:145]
	v_fma_f64 v[90:91], v[90:91], v[55:56], v[146:147]
	v_fma_f64 v[43:44], -v[43:44], v[55:56], v[148:149]
	v_fma_f64 v[41:42], v[41:42], v[55:56], v[53:54]
	s_waitcnt vmcnt(11)
	v_fma_f64 v[53:54], v[116:117], v[128:129], v[140:141]
	v_fma_f64 v[55:56], v[118:119], v[128:129], v[94:95]
	;; [unrolled: 1-line block ×8, first 2 shown]
	v_fma_f64 v[53:54], -v[118:119], v[130:131], v[53:54]
	v_fma_f64 v[55:56], v[116:117], v[130:131], v[55:56]
	v_fma_f64 v[85:86], -v[114:115], v[130:131], v[85:86]
	v_fma_f64 v[83:84], v[112:113], v[130:131], v[83:84]
	;; [unrolled: 2-line block ×4, first 2 shown]
	s_waitcnt vmcnt(9)
	v_fma_f64 v[41:42], v[33:34], v[65:66], v[53:54]
	v_fma_f64 v[43:44], v[35:36], v[65:66], v[55:56]
	;; [unrolled: 1-line block ×8, first 2 shown]
	v_fma_f64 v[35:36], -v[35:36], v[67:68], v[41:42]
	v_fma_f64 v[33:34], v[33:34], v[67:68], v[43:44]
	v_fma_f64 v[19:20], -v[19:20], v[67:68], v[53:54]
	v_fma_f64 v[17:18], v[17:18], v[67:68], v[55:56]
	;; [unrolled: 2-line block ×4, first 2 shown]
	v_fma_f64 v[35:36], v[69:70], v[45:46], v[35:36]
	v_fma_f64 v[33:34], v[71:72], v[45:46], v[33:34]
	;; [unrolled: 1-line block ×8, first 2 shown]
	v_fma_f64 v[35:36], -v[71:72], v[47:48], v[35:36]
	v_fma_f64 v[33:34], v[69:70], v[47:48], v[33:34]
	v_fma_f64 v[19:20], -v[134:135], v[47:48], v[19:20]
	v_fma_f64 v[17:18], v[132:133], v[47:48], v[17:18]
	;; [unrolled: 2-line block ×4, first 2 shown]
	s_waitcnt vmcnt(4)
	v_fma_f64 v[35:36], v[57:58], v[37:38], v[35:36]
	v_fma_f64 v[33:34], v[59:60], v[37:38], v[33:34]
	;; [unrolled: 1-line block ×8, first 2 shown]
	v_fma_f64 v[35:36], -v[59:60], v[39:40], v[35:36]
	v_fma_f64 v[33:34], v[57:58], v[39:40], v[33:34]
	v_fma_f64 v[19:20], -v[79:80], v[39:40], v[19:20]
	v_fma_f64 v[17:18], v[77:78], v[39:40], v[17:18]
	;; [unrolled: 2-line block ×4, first 2 shown]
	s_waitcnt vmcnt(2)
	v_fma_f64 v[21:22], v[104:105], v[61:62], v[35:36]
	v_fma_f64 v[23:24], v[106:107], v[61:62], v[33:34]
	v_fma_f64 v[19:20], v[25:26], v[61:62], v[19:20]
	v_fma_f64 v[17:18], v[27:28], v[61:62], v[17:18]
	v_fma_f64 v[118:119], -v[106:107], v[63:64], v[21:22]
	v_fma_f64 v[114:115], v[104:105], v[63:64], v[23:24]
	v_fma_f64 v[116:117], -v[27:28], v[63:64], v[19:20]
	v_fma_f64 v[108:109], v[25:26], v[63:64], v[17:18]
	s_waitcnt vmcnt(1)
	v_fma_f64 v[11:12], v[29:30], v[61:62], v[11:12]
	v_fma_f64 v[9:10], v[31:32], v[61:62], v[9:10]
	s_waitcnt vmcnt(0)
	v_fma_f64 v[15:16], v[136:137], v[61:62], v[15:16]
	v_fma_f64 v[13:14], v[138:139], v[61:62], v[13:14]
	v_fma_f64 v[112:113], -v[31:32], v[63:64], v[11:12]
	v_fma_f64 v[110:111], v[29:30], v[63:64], v[9:10]
	v_fma_f64 v[104:105], -v[138:139], v[63:64], v[15:16]
	v_fma_f64 v[106:107], v[136:137], v[63:64], v[13:14]
	s_andn2_b32 exec_lo, exec_lo, s8
	s_cbranch_execnz .LBB35_31
; %bb.32:
	s_or_b32 exec_lo, exec_lo, s8
.LBB35_33:
	s_or_b32 exec_lo, exec_lo, s3
.LBB35_34:
	s_or_b32 exec_lo, exec_lo, s1
.LBB35_35:
	v_mbcnt_lo_u32_b32 v29, -1, 0
	v_xor_b32_e32 v9, 2, v29
	v_xor_b32_e32 v30, 1, v29
	v_cmp_gt_i32_e32 vcc_lo, 32, v9
	v_cndmask_b32_e32 v9, v29, v9, vcc_lo
	v_cmp_gt_i32_e32 vcc_lo, 32, v30
	v_lshlrev_b32_e32 v23, 2, v9
	v_cndmask_b32_e32 v29, v29, v30, vcc_lo
	v_cmp_eq_u32_e32 vcc_lo, 3, v0
	ds_bpermute_b32 v9, v23, v118
	ds_bpermute_b32 v10, v23, v119
	;; [unrolled: 1-line block ×16, first 2 shown]
	v_lshlrev_b32_e32 v34, 2, v29
	s_waitcnt lgkmcnt(14)
	v_add_f64 v[9:10], v[118:119], v[9:10]
	s_waitcnt lgkmcnt(12)
	v_add_f64 v[27:28], v[114:115], v[11:12]
	;; [unrolled: 2-line block ×8, first 2 shown]
	ds_bpermute_b32 v21, v34, v9
	ds_bpermute_b32 v22, v34, v10
	;; [unrolled: 1-line block ×16, first 2 shown]
	s_and_b32 exec_lo, exec_lo, vcc_lo
	s_cbranch_execz .LBB35_8
; %bb.36:
	s_waitcnt lgkmcnt(12)
	v_add_f64 v[27:28], v[27:28], v[39:40]
	s_waitcnt lgkmcnt(8)
	v_add_f64 v[23:24], v[23:24], v[37:38]
	;; [unrolled: 2-line block ×4, first 2 shown]
	v_add_f64 v[9:10], v[9:10], v[21:22]
	v_add_f64 v[11:12], v[11:12], v[25:26]
	v_add_f64 v[21:22], v[13:14], v[29:30]
	v_add_f64 v[25:26], v[15:16], v[31:32]
	v_cmp_eq_f64_e32 vcc_lo, 0, v[1:2]
	v_cmp_eq_f64_e64 s0, 0, v[3:4]
	s_load_dwordx2 s[2:3], s[4:5], 0x60
	v_mul_f64 v[13:14], v[27:28], -v[7:8]
	v_mul_f64 v[15:16], v[5:6], v[27:28]
	v_mul_f64 v[27:28], v[23:24], -v[7:8]
	v_mul_f64 v[23:24], v[5:6], v[23:24]
	;; [unrolled: 2-line block ×4, first 2 shown]
	s_and_b32 s0, vcc_lo, s0
	v_fma_f64 v[17:18], v[5:6], v[9:10], v[13:14]
	v_fma_f64 v[19:20], v[7:8], v[9:10], v[15:16]
	;; [unrolled: 1-line block ×8, first 2 shown]
	v_lshlrev_b32_e32 v21, 2, v97
	s_and_saveexec_b32 s1, s0
	s_xor_b32 s0, exec_lo, s1
	s_cbranch_execz .LBB35_38
; %bb.37:
	v_ashrrev_i32_e32 v22, 31, v21
	v_lshlrev_b64 v[0:1], 4, v[21:22]
                                        ; implicit-def: $vgpr21
	s_waitcnt lgkmcnt(0)
	v_add_co_u32 v0, vcc_lo, s2, v0
	v_add_co_ci_u32_e64 v1, null, s3, v1, vcc_lo
	global_store_dwordx4 v[0:1], v[17:20], off
	global_store_dwordx4 v[0:1], v[13:16], off offset:16
	global_store_dwordx4 v[0:1], v[9:12], off offset:32
	;; [unrolled: 1-line block ×3, first 2 shown]
                                        ; implicit-def: $vgpr3_vgpr4
                                        ; implicit-def: $vgpr17_vgpr18
                                        ; implicit-def: $vgpr13_vgpr14
                                        ; implicit-def: $vgpr9_vgpr10
                                        ; implicit-def: $vgpr5_vgpr6
.LBB35_38:
	s_andn2_saveexec_b32 s0, s0
	s_cbranch_execz .LBB35_8
; %bb.39:
	v_ashrrev_i32_e32 v22, 31, v21
	v_lshlrev_b64 v[21:22], 4, v[21:22]
	s_waitcnt lgkmcnt(0)
	v_add_co_u32 v37, vcc_lo, s2, v21
	v_add_co_ci_u32_e64 v38, null, s3, v22, vcc_lo
	s_clause 0x3
	global_load_dwordx4 v[21:24], v[37:38], off
	global_load_dwordx4 v[25:28], v[37:38], off offset:16
	global_load_dwordx4 v[29:32], v[37:38], off offset:32
	;; [unrolled: 1-line block ×3, first 2 shown]
	s_waitcnt vmcnt(3)
	v_fma_f64 v[17:18], v[1:2], v[21:22], v[17:18]
	v_fma_f64 v[19:20], v[3:4], v[21:22], v[19:20]
	s_waitcnt vmcnt(2)
	v_fma_f64 v[13:14], v[1:2], v[25:26], v[13:14]
	v_fma_f64 v[15:16], v[3:4], v[25:26], v[15:16]
	;; [unrolled: 3-line block ×4, first 2 shown]
	v_fma_f64 v[5:6], -v[3:4], v[23:24], v[17:18]
	v_fma_f64 v[7:8], v[1:2], v[23:24], v[19:20]
	v_fma_f64 v[9:10], -v[3:4], v[27:28], v[13:14]
	v_fma_f64 v[11:12], v[1:2], v[27:28], v[15:16]
	;; [unrolled: 2-line block ×4, first 2 shown]
	global_store_dwordx4 v[37:38], v[5:8], off
	global_store_dwordx4 v[37:38], v[9:12], off offset:16
	global_store_dwordx4 v[37:38], v[13:16], off offset:32
	;; [unrolled: 1-line block ×3, first 2 shown]
	s_endpgm
	.section	.rodata,"a",@progbits
	.p2align	6, 0x0
	.amdhsa_kernel _ZN9rocsparseL18bsrxmvn_4x4_kernelILj128ELj4E21rocsparse_complex_numIdEliS2_S2_S2_EEvT3_20rocsparse_direction_NS_24const_host_device_scalarIT1_EES3_PKS3_PKT2_SC_S9_PKT4_PKT5_S7_PT6_21rocsparse_index_base_b
		.amdhsa_group_segment_fixed_size 0
		.amdhsa_private_segment_fixed_size 0
		.amdhsa_kernarg_size 112
		.amdhsa_user_sgpr_count 6
		.amdhsa_user_sgpr_private_segment_buffer 1
		.amdhsa_user_sgpr_dispatch_ptr 0
		.amdhsa_user_sgpr_queue_ptr 0
		.amdhsa_user_sgpr_kernarg_segment_ptr 1
		.amdhsa_user_sgpr_dispatch_id 0
		.amdhsa_user_sgpr_flat_scratch_init 0
		.amdhsa_user_sgpr_private_segment_size 0
		.amdhsa_wavefront_size32 1
		.amdhsa_uses_dynamic_stack 0
		.amdhsa_system_sgpr_private_segment_wavefront_offset 0
		.amdhsa_system_sgpr_workgroup_id_x 1
		.amdhsa_system_sgpr_workgroup_id_y 0
		.amdhsa_system_sgpr_workgroup_id_z 0
		.amdhsa_system_sgpr_workgroup_info 0
		.amdhsa_system_vgpr_workitem_id 0
		.amdhsa_next_free_vgpr 178
		.amdhsa_next_free_sgpr 16
		.amdhsa_reserve_vcc 1
		.amdhsa_reserve_flat_scratch 0
		.amdhsa_float_round_mode_32 0
		.amdhsa_float_round_mode_16_64 0
		.amdhsa_float_denorm_mode_32 3
		.amdhsa_float_denorm_mode_16_64 3
		.amdhsa_dx10_clamp 1
		.amdhsa_ieee_mode 1
		.amdhsa_fp16_overflow 0
		.amdhsa_workgroup_processor_mode 1
		.amdhsa_memory_ordered 1
		.amdhsa_forward_progress 1
		.amdhsa_shared_vgpr_count 0
		.amdhsa_exception_fp_ieee_invalid_op 0
		.amdhsa_exception_fp_denorm_src 0
		.amdhsa_exception_fp_ieee_div_zero 0
		.amdhsa_exception_fp_ieee_overflow 0
		.amdhsa_exception_fp_ieee_underflow 0
		.amdhsa_exception_fp_ieee_inexact 0
		.amdhsa_exception_int_div_zero 0
	.end_amdhsa_kernel
	.section	.text._ZN9rocsparseL18bsrxmvn_4x4_kernelILj128ELj4E21rocsparse_complex_numIdEliS2_S2_S2_EEvT3_20rocsparse_direction_NS_24const_host_device_scalarIT1_EES3_PKS3_PKT2_SC_S9_PKT4_PKT5_S7_PT6_21rocsparse_index_base_b,"axG",@progbits,_ZN9rocsparseL18bsrxmvn_4x4_kernelILj128ELj4E21rocsparse_complex_numIdEliS2_S2_S2_EEvT3_20rocsparse_direction_NS_24const_host_device_scalarIT1_EES3_PKS3_PKT2_SC_S9_PKT4_PKT5_S7_PT6_21rocsparse_index_base_b,comdat
.Lfunc_end35:
	.size	_ZN9rocsparseL18bsrxmvn_4x4_kernelILj128ELj4E21rocsparse_complex_numIdEliS2_S2_S2_EEvT3_20rocsparse_direction_NS_24const_host_device_scalarIT1_EES3_PKS3_PKT2_SC_S9_PKT4_PKT5_S7_PT6_21rocsparse_index_base_b, .Lfunc_end35-_ZN9rocsparseL18bsrxmvn_4x4_kernelILj128ELj4E21rocsparse_complex_numIdEliS2_S2_S2_EEvT3_20rocsparse_direction_NS_24const_host_device_scalarIT1_EES3_PKS3_PKT2_SC_S9_PKT4_PKT5_S7_PT6_21rocsparse_index_base_b
                                        ; -- End function
	.set _ZN9rocsparseL18bsrxmvn_4x4_kernelILj128ELj4E21rocsparse_complex_numIdEliS2_S2_S2_EEvT3_20rocsparse_direction_NS_24const_host_device_scalarIT1_EES3_PKS3_PKT2_SC_S9_PKT4_PKT5_S7_PT6_21rocsparse_index_base_b.num_vgpr, 178
	.set _ZN9rocsparseL18bsrxmvn_4x4_kernelILj128ELj4E21rocsparse_complex_numIdEliS2_S2_S2_EEvT3_20rocsparse_direction_NS_24const_host_device_scalarIT1_EES3_PKS3_PKT2_SC_S9_PKT4_PKT5_S7_PT6_21rocsparse_index_base_b.num_agpr, 0
	.set _ZN9rocsparseL18bsrxmvn_4x4_kernelILj128ELj4E21rocsparse_complex_numIdEliS2_S2_S2_EEvT3_20rocsparse_direction_NS_24const_host_device_scalarIT1_EES3_PKS3_PKT2_SC_S9_PKT4_PKT5_S7_PT6_21rocsparse_index_base_b.numbered_sgpr, 16
	.set _ZN9rocsparseL18bsrxmvn_4x4_kernelILj128ELj4E21rocsparse_complex_numIdEliS2_S2_S2_EEvT3_20rocsparse_direction_NS_24const_host_device_scalarIT1_EES3_PKS3_PKT2_SC_S9_PKT4_PKT5_S7_PT6_21rocsparse_index_base_b.num_named_barrier, 0
	.set _ZN9rocsparseL18bsrxmvn_4x4_kernelILj128ELj4E21rocsparse_complex_numIdEliS2_S2_S2_EEvT3_20rocsparse_direction_NS_24const_host_device_scalarIT1_EES3_PKS3_PKT2_SC_S9_PKT4_PKT5_S7_PT6_21rocsparse_index_base_b.private_seg_size, 0
	.set _ZN9rocsparseL18bsrxmvn_4x4_kernelILj128ELj4E21rocsparse_complex_numIdEliS2_S2_S2_EEvT3_20rocsparse_direction_NS_24const_host_device_scalarIT1_EES3_PKS3_PKT2_SC_S9_PKT4_PKT5_S7_PT6_21rocsparse_index_base_b.uses_vcc, 1
	.set _ZN9rocsparseL18bsrxmvn_4x4_kernelILj128ELj4E21rocsparse_complex_numIdEliS2_S2_S2_EEvT3_20rocsparse_direction_NS_24const_host_device_scalarIT1_EES3_PKS3_PKT2_SC_S9_PKT4_PKT5_S7_PT6_21rocsparse_index_base_b.uses_flat_scratch, 0
	.set _ZN9rocsparseL18bsrxmvn_4x4_kernelILj128ELj4E21rocsparse_complex_numIdEliS2_S2_S2_EEvT3_20rocsparse_direction_NS_24const_host_device_scalarIT1_EES3_PKS3_PKT2_SC_S9_PKT4_PKT5_S7_PT6_21rocsparse_index_base_b.has_dyn_sized_stack, 0
	.set _ZN9rocsparseL18bsrxmvn_4x4_kernelILj128ELj4E21rocsparse_complex_numIdEliS2_S2_S2_EEvT3_20rocsparse_direction_NS_24const_host_device_scalarIT1_EES3_PKS3_PKT2_SC_S9_PKT4_PKT5_S7_PT6_21rocsparse_index_base_b.has_recursion, 0
	.set _ZN9rocsparseL18bsrxmvn_4x4_kernelILj128ELj4E21rocsparse_complex_numIdEliS2_S2_S2_EEvT3_20rocsparse_direction_NS_24const_host_device_scalarIT1_EES3_PKS3_PKT2_SC_S9_PKT4_PKT5_S7_PT6_21rocsparse_index_base_b.has_indirect_call, 0
	.section	.AMDGPU.csdata,"",@progbits
; Kernel info:
; codeLenInByte = 10356
; TotalNumSgprs: 18
; NumVgprs: 178
; ScratchSize: 0
; MemoryBound: 1
; FloatMode: 240
; IeeeMode: 1
; LDSByteSize: 0 bytes/workgroup (compile time only)
; SGPRBlocks: 0
; VGPRBlocks: 22
; NumSGPRsForWavesPerEU: 18
; NumVGPRsForWavesPerEU: 178
; Occupancy: 5
; WaveLimiterHint : 1
; COMPUTE_PGM_RSRC2:SCRATCH_EN: 0
; COMPUTE_PGM_RSRC2:USER_SGPR: 6
; COMPUTE_PGM_RSRC2:TRAP_HANDLER: 0
; COMPUTE_PGM_RSRC2:TGID_X_EN: 1
; COMPUTE_PGM_RSRC2:TGID_Y_EN: 0
; COMPUTE_PGM_RSRC2:TGID_Z_EN: 0
; COMPUTE_PGM_RSRC2:TIDIG_COMP_CNT: 0
	.section	.text._ZN9rocsparseL18bsrxmvn_4x4_kernelILj128ELj8E21rocsparse_complex_numIdEliS2_S2_S2_EEvT3_20rocsparse_direction_NS_24const_host_device_scalarIT1_EES3_PKS3_PKT2_SC_S9_PKT4_PKT5_S7_PT6_21rocsparse_index_base_b,"axG",@progbits,_ZN9rocsparseL18bsrxmvn_4x4_kernelILj128ELj8E21rocsparse_complex_numIdEliS2_S2_S2_EEvT3_20rocsparse_direction_NS_24const_host_device_scalarIT1_EES3_PKS3_PKT2_SC_S9_PKT4_PKT5_S7_PT6_21rocsparse_index_base_b,comdat
	.globl	_ZN9rocsparseL18bsrxmvn_4x4_kernelILj128ELj8E21rocsparse_complex_numIdEliS2_S2_S2_EEvT3_20rocsparse_direction_NS_24const_host_device_scalarIT1_EES3_PKS3_PKT2_SC_S9_PKT4_PKT5_S7_PT6_21rocsparse_index_base_b ; -- Begin function _ZN9rocsparseL18bsrxmvn_4x4_kernelILj128ELj8E21rocsparse_complex_numIdEliS2_S2_S2_EEvT3_20rocsparse_direction_NS_24const_host_device_scalarIT1_EES3_PKS3_PKT2_SC_S9_PKT4_PKT5_S7_PT6_21rocsparse_index_base_b
	.p2align	8
	.type	_ZN9rocsparseL18bsrxmvn_4x4_kernelILj128ELj8E21rocsparse_complex_numIdEliS2_S2_S2_EEvT3_20rocsparse_direction_NS_24const_host_device_scalarIT1_EES3_PKS3_PKT2_SC_S9_PKT4_PKT5_S7_PT6_21rocsparse_index_base_b,@function
_ZN9rocsparseL18bsrxmvn_4x4_kernelILj128ELj8E21rocsparse_complex_numIdEliS2_S2_S2_EEvT3_20rocsparse_direction_NS_24const_host_device_scalarIT1_EES3_PKS3_PKT2_SC_S9_PKT4_PKT5_S7_PT6_21rocsparse_index_base_b: ; @_ZN9rocsparseL18bsrxmvn_4x4_kernelILj128ELj8E21rocsparse_complex_numIdEliS2_S2_S2_EEvT3_20rocsparse_direction_NS_24const_host_device_scalarIT1_EES3_PKS3_PKT2_SC_S9_PKT4_PKT5_S7_PT6_21rocsparse_index_base_b
; %bb.0:
	s_clause 0x1
	s_load_dwordx2 s[2:3], s[4:5], 0x68
	s_load_dwordx2 s[0:1], s[4:5], 0x8
	s_add_u32 s7, s4, 8
	s_addc_u32 s10, s5, 0
	s_add_u32 s11, s4, 0x50
	s_addc_u32 s12, s5, 0
	s_load_dwordx2 s[8:9], s[4:5], 0x50
	s_waitcnt lgkmcnt(0)
	s_bitcmp1_b32 s3, 0
	s_cselect_b32 s0, s7, s0
	s_cselect_b32 s1, s10, s1
	v_mov_b32_e32 v1, s0
	v_mov_b32_e32 v2, s1
	s_cselect_b32 s0, s11, s8
	s_cselect_b32 s1, s12, s9
	flat_load_dwordx4 v[5:8], v[1:2]
	v_mov_b32_e32 v1, s0
	v_mov_b32_e32 v2, s1
	flat_load_dwordx4 v[1:4], v[1:2]
	s_waitcnt vmcnt(1) lgkmcnt(1)
	v_cmp_eq_f64_e32 vcc_lo, 0, v[5:6]
	v_cmp_eq_f64_e64 s0, 0, v[7:8]
	s_and_b32 s3, vcc_lo, s0
	s_mov_b32 s0, -1
	s_and_saveexec_b32 s1, s3
	s_cbranch_execz .LBB36_2
; %bb.1:
	s_waitcnt vmcnt(0) lgkmcnt(0)
	v_cmp_neq_f64_e32 vcc_lo, 1.0, v[1:2]
	v_cmp_neq_f64_e64 s0, 0, v[3:4]
	s_or_b32 s0, vcc_lo, s0
	s_orn2_b32 s0, s0, exec_lo
.LBB36_2:
	s_or_b32 exec_lo, exec_lo, s1
	s_and_saveexec_b32 s1, s0
	s_cbranch_execz .LBB36_8
; %bb.3:
	s_clause 0x1
	s_load_dwordx2 s[8:9], s[4:5], 0x20
	s_load_dwordx2 s[0:1], s[4:5], 0x0
	v_lshrrev_b32_e32 v9, 3, v0
	v_lshl_or_b32 v73, s6, 4, v9
	s_waitcnt lgkmcnt(0)
	s_cmp_lg_u64 s[8:9], 0
	s_cbranch_scc0 .LBB36_9
; %bb.4:
	s_load_dword s3, s[4:5], 0x18
	s_mov_b32 s6, 0
                                        ; implicit-def: $vgpr9
	s_waitcnt lgkmcnt(0)
	v_cmp_gt_i32_e32 vcc_lo, s3, v73
	s_mov_b32 s3, 0
	s_and_saveexec_b32 s7, vcc_lo
	s_xor_b32 s7, exec_lo, s7
	s_cbranch_execz .LBB36_6
; %bb.5:
	v_ashrrev_i32_e32 v74, 31, v73
	s_mov_b32 s3, exec_lo
	v_lshlrev_b64 v[9:10], 2, v[73:74]
	v_add_co_u32 v9, vcc_lo, s8, v9
	v_add_co_ci_u32_e64 v10, null, s9, v10, vcc_lo
	global_load_dword v9, v[9:10], off
	s_waitcnt vmcnt(0)
	v_subrev_nc_u32_e32 v9, s2, v9
.LBB36_6:
	s_or_b32 exec_lo, exec_lo, s7
	s_and_b32 vcc_lo, exec_lo, s6
	s_cbranch_vccz .LBB36_10
.LBB36_7:
	v_cmp_gt_i32_e32 vcc_lo, s0, v73
	s_andn2_b32 s0, s3, exec_lo
	s_and_b32 s3, vcc_lo, exec_lo
	s_or_b32 s3, s0, s3
	s_and_b32 exec_lo, exec_lo, s3
	s_cbranch_execnz .LBB36_11
.LBB36_8:
	s_endpgm
.LBB36_9:
	s_mov_b32 s3, 0
                                        ; implicit-def: $vgpr9
	s_cbranch_execnz .LBB36_7
.LBB36_10:
	v_mov_b32_e32 v73, v9
	s_and_b32 exec_lo, exec_lo, s3
	s_cbranch_execz .LBB36_8
.LBB36_11:
	s_load_dwordx8 s[8:15], s[4:5], 0x28
	v_ashrrev_i32_e32 v74, 31, v73
	v_and_b32_e32 v0, 7, v0
	s_load_dwordx2 s[6:7], s[4:5], 0x48
	v_lshlrev_b64 v[9:10], 3, v[73:74]
	s_waitcnt lgkmcnt(0)
	v_add_co_u32 v11, vcc_lo, s8, v9
	v_add_co_ci_u32_e64 v12, null, s9, v10, vcc_lo
	v_add_co_u32 v9, vcc_lo, s10, v9
	v_add_co_ci_u32_e64 v10, null, s11, v10, vcc_lo
	;; [unrolled: 2-line block ×3, first 2 shown]
	global_load_dwordx2 v[96:97], v[11:12], off
	s_cmp_eq_u64 s[10:11], 0
	s_cselect_b32 vcc_lo, -1, 0
	s_cmp_eq_u32 s1, 1
	v_cndmask_b32_e32 v10, v10, v14, vcc_lo
	v_cndmask_b32_e32 v9, v9, v13, vcc_lo
	global_load_dwordx2 v[9:10], v[9:10], off
	s_waitcnt vmcnt(1)
	v_sub_co_u32 v11, vcc_lo, v96, s2
	v_subrev_co_ci_u32_e64 v12, null, 0, v97, vcc_lo
	v_add_co_u32 v74, vcc_lo, v11, v0
	v_add_co_ci_u32_e64 v75, null, 0, v12, vcc_lo
	s_waitcnt vmcnt(0)
	v_sub_co_u32 v76, vcc_lo, v9, s2
	v_subrev_co_ci_u32_e64 v77, null, 0, v10, vcc_lo
	v_lshlrev_b64 v[9:10], 8, v[74:75]
	v_cmp_lt_i64_e64 s0, v[74:75], v[76:77]
	v_add_co_u32 v78, vcc_lo, s14, v9
	v_add_co_ci_u32_e64 v79, null, s15, v10, vcc_lo
	s_cbranch_scc1 .LBB36_23
; %bb.12:
	v_mov_b32_e32 v90, 0
	v_mov_b32_e32 v94, 0
	v_mov_b32_e32 v80, 0
	v_mov_b32_e32 v82, 0
	v_mov_b32_e32 v88, 0
	v_mov_b32_e32 v86, 0
	v_mov_b32_e32 v92, 0
	v_mov_b32_e32 v84, 0
	v_mov_b32_e32 v91, 0
	v_mov_b32_e32 v95, 0
	v_mov_b32_e32 v81, 0
	v_mov_b32_e32 v83, 0
	v_mov_b32_e32 v89, 0
	v_mov_b32_e32 v87, 0
	v_mov_b32_e32 v93, 0
	v_mov_b32_e32 v85, 0
	s_and_saveexec_b32 s3, s0
	s_cbranch_execz .LBB36_22
; %bb.13:
	v_or_b32_e32 v9, 8, v0
	v_not_b32_e32 v13, v96
	v_not_b32_e32 v11, v97
	v_mov_b32_e32 v84, 0
	v_mov_b32_e32 v92, 0
	v_sub_co_u32 v9, s1, v9, s2
	v_sub_co_ci_u32_e64 v10, null, 0, 0, s1
	v_sub_co_u32 v14, s1, s2, v0
	v_add_co_u32 v9, vcc_lo, v9, v96
	v_add_co_ci_u32_e64 v10, null, v10, v97, vcc_lo
	v_sub_co_ci_u32_e64 v15, null, 0, 0, s1
	v_add_co_u32 v13, s1, v14, v13
	v_cmp_gt_i64_e32 vcc_lo, v[9:10], v[76:77]
	v_add_co_ci_u32_e64 v11, null, v15, v11, s1
	v_mov_b32_e32 v86, 0
	v_mov_b32_e32 v88, 0
	;; [unrolled: 1-line block ×3, first 2 shown]
	v_cndmask_b32_e32 v9, v76, v9, vcc_lo
	v_cndmask_b32_e32 v10, v77, v10, vcc_lo
	v_mov_b32_e32 v80, 0
	v_mov_b32_e32 v94, 0
	;; [unrolled: 1-line block ×3, first 2 shown]
	v_add_co_u32 v9, vcc_lo, v13, v9
	v_mov_b32_e32 v101, v79
	v_mov_b32_e32 v99, v75
	;; [unrolled: 1-line block ×7, first 2 shown]
	v_add_co_ci_u32_e64 v10, null, v11, v10, vcc_lo
	v_and_b32_e32 v11, 24, v9
	v_mov_b32_e32 v83, 0
	v_mov_b32_e32 v81, 0
	;; [unrolled: 1-line block ×6, first 2 shown]
	s_mov_b32 s8, exec_lo
	v_cmpx_ne_u64_e32 24, v[11:12]
	s_cbranch_execz .LBB36_17
; %bb.14:
	v_lshrrev_b32_e32 v13, 3, v9
	v_lshlrev_b64 v[11:12], 2, v[74:75]
	v_mov_b32_e32 v90, 0
	v_mov_b32_e32 v99, v75
	;; [unrolled: 1-line block ×3, first 2 shown]
	v_add_nc_u32_e32 v13, 1, v13
	v_mov_b32_e32 v80, 0
	v_add_co_u32 v11, vcc_lo, s12, v11
	v_mov_b32_e32 v82, 0
	v_and_b32_e32 v13, 3, v13
	v_mov_b32_e32 v88, 0
	v_mov_b32_e32 v86, 0
	;; [unrolled: 1-line block ×4, first 2 shown]
	v_sub_co_u32 v13, s1, 0, v13
	v_mov_b32_e32 v101, v79
	v_mov_b32_e32 v91, 0
	;; [unrolled: 1-line block ×5, first 2 shown]
	v_add_co_ci_u32_e64 v12, null, s13, v12, vcc_lo
	v_sub_co_ci_u32_e64 v14, null, 0, 0, s1
	v_mov_b32_e32 v83, 0
	v_mov_b32_e32 v89, 0
	;; [unrolled: 1-line block ×6, first 2 shown]
	s_mov_b32 s9, 0
.LBB36_15:                              ; =>This Inner Loop Header: Depth=1
	global_load_dword v43, v[11:12], off
	s_clause 0x6
	global_load_dwordx4 v[15:18], v[100:101], off offset:16
	global_load_dwordx4 v[19:22], v[100:101], off
	global_load_dwordx4 v[23:26], v[100:101], off offset:80
	global_load_dwordx4 v[27:30], v[100:101], off offset:64
	;; [unrolled: 1-line block ×5, first 2 shown]
	v_add_co_u32 v11, s1, v11, 32
	v_add_co_ci_u32_e64 v12, null, 0, v12, s1
	s_waitcnt vmcnt(7)
	v_subrev_nc_u32_e32 v43, s2, v43
	v_lshlrev_b32_e32 v43, 2, v43
	v_ashrrev_i32_e32 v44, 31, v43
	v_lshlrev_b64 v[43:44], 4, v[43:44]
	v_add_co_u32 v71, vcc_lo, s6, v43
	v_add_co_ci_u32_e64 v72, null, s7, v44, vcc_lo
	global_load_dwordx4 v[43:46], v[71:72], off
	global_load_dwordx4 v[47:50], v[100:101], off offset:208
	global_load_dwordx4 v[51:54], v[71:72], off offset:16
	s_clause 0x6
	global_load_dwordx4 v[55:58], v[100:101], off offset:48
	global_load_dwordx4 v[59:62], v[100:101], off offset:32
	;; [unrolled: 1-line block ×10, first 2 shown]
	v_add_co_u32 v100, vcc_lo, 0x800, v100
	v_add_co_ci_u32_e64 v101, null, 0, v101, vcc_lo
	v_add_co_u32 v13, vcc_lo, v13, 1
	v_add_co_ci_u32_e64 v14, null, 0, v14, vcc_lo
	;; [unrolled: 2-line block ×3, first 2 shown]
	v_cmp_eq_u64_e32 vcc_lo, 0, v[13:14]
	s_or_b32 s9, vcc_lo, s9
	s_waitcnt vmcnt(12)
	v_fma_f64 v[71:72], v[19:20], v[43:44], v[94:95]
	v_fma_f64 v[90:91], v[21:22], v[43:44], v[90:91]
	v_fma_f64 v[92:93], v[27:28], v[43:44], v[92:93]
	v_fma_f64 v[84:85], v[29:30], v[43:44], v[84:85]
	v_fma_f64 v[88:89], v[35:36], v[43:44], v[88:89]
	v_fma_f64 v[86:87], v[37:38], v[43:44], v[86:87]
	v_fma_f64 v[80:81], v[39:40], v[43:44], v[80:81]
	v_fma_f64 v[43:44], v[41:42], v[43:44], v[82:83]
	v_fma_f64 v[21:22], -v[21:22], v[45:46], v[71:72]
	v_fma_f64 v[19:20], v[19:20], v[45:46], v[90:91]
	v_fma_f64 v[29:30], -v[29:30], v[45:46], v[92:93]
	v_fma_f64 v[27:28], v[27:28], v[45:46], v[84:85]
	v_fma_f64 v[37:38], -v[37:38], v[45:46], v[88:89]
	v_fma_f64 v[35:36], v[35:36], v[45:46], v[86:87]
	v_fma_f64 v[41:42], -v[41:42], v[45:46], v[80:81]
	v_fma_f64 v[39:40], v[39:40], v[45:46], v[43:44]
	s_waitcnt vmcnt(10)
	v_fma_f64 v[21:22], v[15:16], v[51:52], v[21:22]
	v_fma_f64 v[19:20], v[17:18], v[51:52], v[19:20]
	v_fma_f64 v[29:30], v[23:24], v[51:52], v[29:30]
	v_fma_f64 v[27:28], v[25:26], v[51:52], v[27:28]
	v_fma_f64 v[37:38], v[31:32], v[51:52], v[37:38]
	v_fma_f64 v[35:36], v[33:34], v[51:52], v[35:36]
	v_fma_f64 v[41:42], v[47:48], v[51:52], v[41:42]
	v_fma_f64 v[39:40], v[49:50], v[51:52], v[39:40]
	v_fma_f64 v[17:18], -v[17:18], v[53:54], v[21:22]
	v_fma_f64 v[15:16], v[15:16], v[53:54], v[19:20]
	v_fma_f64 v[19:20], -v[25:26], v[53:54], v[29:30]
	v_fma_f64 v[21:22], v[23:24], v[53:54], v[27:28]
	v_fma_f64 v[23:24], -v[33:34], v[53:54], v[37:38]
	v_fma_f64 v[25:26], v[31:32], v[53:54], v[35:36]
	v_fma_f64 v[27:28], -v[49:50], v[53:54], v[41:42]
	v_fma_f64 v[29:30], v[47:48], v[53:54], v[39:40]
	;; [unrolled: 17-line block ×4, first 2 shown]
	s_andn2_b32 exec_lo, exec_lo, s9
	s_cbranch_execnz .LBB36_15
; %bb.16:
	s_or_b32 exec_lo, exec_lo, s9
.LBB36_17:
	s_or_b32 exec_lo, exec_lo, s8
	s_mov_b32 s8, exec_lo
	v_cmpx_lt_u64_e32 23, v[9:10]
	s_cbranch_execz .LBB36_21
; %bb.18:
	v_lshlrev_b64 v[9:10], 2, v[98:99]
	s_mov_b32 s9, 0
	v_add_co_u32 v9, vcc_lo, s12, v9
	v_add_co_ci_u32_e64 v10, null, s13, v10, vcc_lo
	v_add_co_u32 v102, vcc_lo, v9, 64
	v_add_co_ci_u32_e64 v103, null, 0, v10, vcc_lo
.LBB36_19:                              ; =>This Inner Loop Header: Depth=1
	global_load_dword v107, v[102:103], off offset:-64
	s_clause 0xf
	global_load_dwordx4 v[9:12], v[100:101], off offset:48
	global_load_dwordx4 v[13:16], v[100:101], off offset:32
	;; [unrolled: 1-line block ×3, first 2 shown]
	global_load_dwordx4 v[41:44], v[100:101], off
	global_load_dwordx4 v[17:20], v[100:101], off offset:112
	global_load_dwordx4 v[33:36], v[100:101], off offset:96
	global_load_dwordx4 v[45:48], v[100:101], off offset:80
	global_load_dwordx4 v[57:60], v[100:101], off offset:64
	global_load_dwordx4 v[21:24], v[100:101], off offset:176
	global_load_dwordx4 v[37:40], v[100:101], off offset:160
	global_load_dwordx4 v[53:56], v[100:101], off offset:144
	global_load_dwordx4 v[65:68], v[100:101], off offset:128
	global_load_dwordx4 v[29:32], v[100:101], off offset:240
	global_load_dwordx4 v[49:52], v[100:101], off offset:224
	global_load_dwordx4 v[61:64], v[100:101], off offset:208
	global_load_dwordx4 v[69:72], v[100:101], off offset:192
	s_clause 0x2
	global_load_dword v177, v[102:103], off offset:-32
	global_load_dword v106, v[102:103], off
	global_load_dword v108, v[102:103], off offset:32
	v_add_co_u32 v165, vcc_lo, 0x800, v100
	v_add_co_ci_u32_e64 v166, null, 0, v101, vcc_lo
	v_add_co_u32 v167, vcc_lo, v100, 0x1000
	v_add_co_ci_u32_e64 v168, null, 0, v101, vcc_lo
	;; [unrolled: 2-line block ×4, first 2 shown]
	s_clause 0xa
	global_load_dwordx4 v[109:112], v[165:166], off offset:32
	global_load_dwordx4 v[113:116], v[165:166], off offset:16
	;; [unrolled: 1-line block ×11, first 2 shown]
	v_add_co_u32 v100, s1, 0x2000, v100
	v_add_co_ci_u32_e64 v101, null, 0, v101, s1
	s_waitcnt vmcnt(30)
	v_subrev_nc_u32_e32 v107, s2, v107
	v_lshlrev_b32_e32 v153, 2, v107
	v_ashrrev_i32_e32 v154, 31, v153
	v_lshlrev_b64 v[153:154], 4, v[153:154]
	s_waitcnt vmcnt(11)
	v_subrev_nc_u32_e32 v108, s2, v108
	v_add_co_u32 v171, vcc_lo, s6, v153
	v_add_co_ci_u32_e64 v172, null, s7, v154, vcc_lo
	s_clause 0x1
	global_load_dwordx4 v[153:156], v[171:172], off
	global_load_dwordx4 v[157:160], v[171:172], off offset:16
	global_load_dwordx4 v[161:164], v[165:166], off offset:224
	s_waitcnt vmcnt(2)
	v_fma_f64 v[94:95], v[41:42], v[153:154], v[94:95]
	v_fma_f64 v[90:91], v[43:44], v[153:154], v[90:91]
	;; [unrolled: 1-line block ×6, first 2 shown]
	v_fma_f64 v[43:44], -v[43:44], v[155:156], v[94:95]
	v_fma_f64 v[41:42], v[41:42], v[155:156], v[90:91]
	v_fma_f64 v[90:91], v[57:58], v[153:154], v[92:93]
	;; [unrolled: 1-line block ×5, first 2 shown]
	v_fma_f64 v[153:154], -v[71:72], v[155:156], v[80:81]
	s_waitcnt vmcnt(1)
	v_fma_f64 v[43:44], v[25:26], v[157:158], v[43:44]
	v_fma_f64 v[41:42], v[27:28], v[157:158], v[41:42]
	v_fma_f64 v[90:91], -v[59:60], v[155:156], v[90:91]
	global_load_dwordx4 v[57:60], v[165:166], off offset:208
	v_fma_f64 v[88:89], -v[67:68], v[155:156], v[84:85]
	s_clause 0x1
	global_load_dwordx4 v[65:68], v[165:166], off offset:176
	global_load_dwordx4 v[84:87], v[165:166], off offset:192
	v_fma_f64 v[155:156], v[69:70], v[155:156], v[82:83]
	s_clause 0x1
	global_load_dwordx4 v[69:72], v[167:168], off offset:-2048
	global_load_dwordx4 v[80:83], v[167:168], off
	v_fma_f64 v[165:166], -v[27:28], v[159:160], v[43:44]
	v_fma_f64 v[167:168], v[25:26], v[159:160], v[41:42]
	v_fma_f64 v[41:42], v[45:46], v[157:158], v[90:91]
	v_fma_f64 v[43:44], v[47:48], v[157:158], v[92:93]
	global_load_dwordx4 v[25:28], v[169:170], off offset:48
	v_fma_f64 v[92:93], -v[47:48], v[159:160], v[41:42]
	v_fma_f64 v[173:174], v[45:46], v[159:160], v[43:44]
	v_fma_f64 v[45:46], v[53:54], v[157:158], v[88:89]
	v_fma_f64 v[47:48], v[55:56], v[157:158], v[94:95]
	global_load_dwordx4 v[41:44], v[169:170], off offset:32
	;; [unrolled: 5-line block ×3, first 2 shown]
	v_fma_f64 v[153:154], -v[63:64], v[159:160], v[45:46]
	v_fma_f64 v[155:156], v[61:62], v[159:160], v[47:48]
	global_load_dwordx4 v[45:48], v[169:170], off offset:112
	s_clause 0x1
	global_load_dwordx4 v[61:64], v[171:172], off offset:32
	global_load_dwordx4 v[88:91], v[171:172], off offset:48
	s_waitcnt vmcnt(1)
	v_fma_f64 v[94:95], v[37:38], v[61:62], v[94:95]
	v_fma_f64 v[157:158], v[13:14], v[61:62], v[165:166]
	;; [unrolled: 1-line block ×8, first 2 shown]
	v_fma_f64 v[94:95], -v[39:40], v[63:64], v[94:95]
	v_fma_f64 v[157:158], -v[15:16], v[63:64], v[157:158]
	v_fma_f64 v[159:160], v[13:14], v[63:64], v[159:160]
	v_fma_f64 v[92:93], -v[35:36], v[63:64], v[92:93]
	v_fma_f64 v[165:166], v[33:34], v[63:64], v[165:166]
	v_fma_f64 v[167:168], v[37:38], v[63:64], v[167:168]
	v_fma_f64 v[153:154], -v[51:52], v[63:64], v[153:154]
	v_fma_f64 v[155:156], v[49:50], v[63:64], v[61:62]
	v_subrev_nc_u32_e32 v61, s2, v177
	s_clause 0x3
	global_load_dwordx4 v[13:16], v[169:170], off offset:96
	global_load_dwordx4 v[33:36], v[169:170], off offset:80
	;; [unrolled: 1-line block ×4, first 2 shown]
	v_lshlrev_b32_e32 v61, 2, v61
	v_ashrrev_i32_e32 v62, 31, v61
	s_waitcnt vmcnt(4)
	v_fma_f64 v[94:95], v[21:22], v[88:89], v[94:95]
	v_fma_f64 v[157:158], v[9:10], v[88:89], v[157:158]
	;; [unrolled: 1-line block ×6, first 2 shown]
	v_lshlrev_b64 v[61:62], 4, v[61:62]
	v_add_co_u32 v171, vcc_lo, s6, v61
	v_add_co_ci_u32_e64 v172, null, s7, v62, vcc_lo
	global_load_dwordx4 v[61:64], v[169:170], off offset:160
	v_fma_f64 v[173:174], -v[23:24], v[90:91], v[94:95]
	v_fma_f64 v[94:95], v[29:30], v[88:89], v[153:154]
	v_fma_f64 v[88:89], v[31:32], v[88:89], v[155:156]
	v_fma_f64 v[157:158], -v[11:12], v[90:91], v[157:158]
	v_fma_f64 v[159:160], v[9:10], v[90:91], v[159:160]
	global_load_dwordx4 v[9:12], v[169:170], off offset:144
	v_fma_f64 v[92:93], -v[19:20], v[90:91], v[92:93]
	v_fma_f64 v[165:166], v[17:18], v[90:91], v[165:166]
	global_load_dwordx4 v[17:20], v[169:170], off offset:128
	v_fma_f64 v[167:168], v[21:22], v[90:91], v[167:168]
	global_load_dwordx4 v[21:24], v[169:170], off offset:240
	v_fma_f64 v[153:154], -v[31:32], v[90:91], v[94:95]
	v_fma_f64 v[155:156], v[29:30], v[90:91], v[88:89]
	s_clause 0x1
	global_load_dwordx4 v[29:32], v[171:172], off
	global_load_dwordx4 v[88:91], v[171:172], off offset:16
	s_waitcnt vmcnt(1)
	v_fma_f64 v[94:95], v[69:70], v[29:30], v[157:158]
	v_fma_f64 v[92:93], v[129:130], v[29:30], v[92:93]
	;; [unrolled: 1-line block ×4, first 2 shown]
	v_fma_f64 v[159:160], -v[71:72], v[31:32], v[94:95]
	v_fma_f64 v[94:95], v[131:132], v[29:30], v[165:166]
	v_fma_f64 v[165:166], -v[131:132], v[31:32], v[92:93]
	v_fma_f64 v[131:132], v[147:148], v[29:30], v[167:168]
	v_fma_f64 v[157:158], v[69:70], v[31:32], v[157:158]
	v_fma_f64 v[153:154], -v[86:87], v[31:32], v[153:154]
	global_load_dwordx4 v[69:72], v[169:170], off offset:224
	s_waitcnt vmcnt(1)
	v_fma_f64 v[159:160], v[113:114], v[88:89], v[159:160]
	v_fma_f64 v[175:176], v[129:130], v[31:32], v[94:95]
	;; [unrolled: 1-line block ×7, first 2 shown]
	global_load_dwordx4 v[92:95], v[169:170], off offset:208
	v_fma_f64 v[159:160], -v[115:116], v[90:91], v[159:160]
	v_fma_f64 v[167:168], v[123:124], v[88:89], v[175:176]
	v_fma_f64 v[147:148], -v[147:148], v[31:32], v[129:130]
	v_fma_f64 v[145:146], v[139:140], v[88:89], v[145:146]
	v_fma_f64 v[155:156], v[84:85], v[31:32], v[29:30]
	s_clause 0x2
	global_load_dwordx4 v[129:132], v[169:170], off offset:192
	global_load_dwordx4 v[29:32], v[104:105], off
	global_load_dwordx4 v[84:87], v[104:105], off offset:48
	v_fma_f64 v[157:158], v[113:114], v[90:91], v[157:158]
	global_load_dwordx4 v[113:116], v[104:105], off offset:32
	v_fma_f64 v[165:166], -v[123:124], v[90:91], v[165:166]
	v_fma_f64 v[167:168], v[121:122], v[90:91], v[167:168]
	v_fma_f64 v[147:148], v[137:138], v[88:89], v[147:148]
	;; [unrolled: 1-line block ×5, first 2 shown]
	global_load_dwordx4 v[121:124], v[104:105], off offset:16
	v_fma_f64 v[169:170], -v[139:140], v[90:91], v[147:148]
	global_load_dwordx4 v[137:140], v[104:105], off offset:112
	v_fma_f64 v[153:154], -v[59:60], v[90:91], v[145:146]
	v_fma_f64 v[155:156], v[57:58], v[90:91], v[88:89]
	global_load_dwordx4 v[57:60], v[104:105], off offset:96
	s_clause 0x1
	global_load_dwordx4 v[88:91], v[171:172], off offset:32
	global_load_dwordx4 v[145:148], v[171:172], off offset:48
	s_waitcnt vmcnt(1)
	v_fma_f64 v[159:160], v[109:110], v[88:89], v[159:160]
	v_fma_f64 v[157:158], v[111:112], v[88:89], v[157:158]
	;; [unrolled: 1-line block ×6, first 2 shown]
	v_subrev_nc_u32_e32 v173, s2, v106
	v_fma_f64 v[106:107], v[161:162], v[88:89], v[153:154]
	v_fma_f64 v[88:89], v[163:164], v[88:89], v[155:156]
	v_fma_f64 v[159:160], -v[111:112], v[90:91], v[159:160]
	v_fma_f64 v[157:158], v[109:110], v[90:91], v[157:158]
	v_fma_f64 v[165:166], -v[119:120], v[90:91], v[165:166]
	;; [unrolled: 2-line block ×3, first 2 shown]
	v_fma_f64 v[171:172], v[133:134], v[90:91], v[171:172]
	s_clause 0x1
	global_load_dwordx4 v[109:112], v[104:105], off offset:80
	global_load_dwordx4 v[117:120], v[104:105], off offset:64
	v_fma_f64 v[153:154], v[161:162], v[90:91], v[88:89]
	v_lshlrev_b32_e32 v88, 2, v173
	v_fma_f64 v[106:107], -v[163:164], v[90:91], v[106:107]
	global_load_dwordx4 v[133:136], v[104:105], off offset:144
	v_ashrrev_i32_e32 v89, 31, v88
	v_lshlrev_b64 v[88:89], 4, v[88:89]
	s_waitcnt vmcnt(3)
	v_fma_f64 v[159:160], v[125:126], v[145:146], v[159:160]
	v_fma_f64 v[157:158], v[127:128], v[145:146], v[157:158]
	;; [unrolled: 1-line block ×3, first 2 shown]
	v_add_co_u32 v155, vcc_lo, s6, v88
	v_add_co_ci_u32_e64 v156, null, s7, v89, vcc_lo
	v_fma_f64 v[163:164], v[143:144], v[145:146], v[167:168]
	v_fma_f64 v[165:166], v[65:66], v[145:146], v[169:170]
	;; [unrolled: 1-line block ×3, first 2 shown]
	global_load_dwordx4 v[88:91], v[155:156], off
	v_fma_f64 v[106:107], v[149:150], v[145:146], v[106:107]
	v_fma_f64 v[145:146], v[151:152], v[145:146], v[153:154]
	v_lshlrev_b32_e32 v153, 2, v108
	v_ashrrev_i32_e32 v154, 31, v153
	v_fma_f64 v[159:160], -v[127:128], v[147:148], v[159:160]
	v_fma_f64 v[157:158], v[125:126], v[147:148], v[157:158]
	global_load_dwordx4 v[125:128], v[155:156], off offset:16
	v_fma_f64 v[161:162], -v[143:144], v[147:148], v[161:162]
	v_lshlrev_b64 v[153:154], 4, v[153:154]
	v_fma_f64 v[163:164], v[141:142], v[147:148], v[163:164]
	global_load_dwordx4 v[141:144], v[155:156], off offset:32
	v_fma_f64 v[165:166], -v[67:68], v[147:148], v[165:166]
	v_add_co_u32 v171, vcc_lo, s6, v153
	v_fma_f64 v[106:107], -v[151:152], v[147:148], v[106:107]
	v_fma_f64 v[169:170], v[149:150], v[147:148], v[145:146]
	global_load_dwordx4 v[149:152], v[155:156], off offset:48
	v_add_co_ci_u32_e64 v172, null, s7, v154, vcc_lo
	v_fma_f64 v[167:168], v[65:66], v[147:148], v[167:168]
	s_clause 0x2
	global_load_dwordx4 v[65:68], v[104:105], off offset:128
	global_load_dwordx4 v[153:156], v[104:105], off offset:192
	;; [unrolled: 1-line block ×3, first 2 shown]
	v_add_co_u32 v98, vcc_lo, v98, 32
	v_add_co_ci_u32_e64 v99, null, 0, v99, vcc_lo
	v_add_co_u32 v102, vcc_lo, 0x80, v102
	v_add_co_ci_u32_e64 v103, null, 0, v103, vcc_lo
	v_cmp_ge_i64_e32 vcc_lo, v[98:99], v[76:77]
	s_or_b32 s9, vcc_lo, s9
	s_waitcnt vmcnt(6)
	v_fma_f64 v[159:160], v[80:81], v[88:89], v[159:160]
	v_fma_f64 v[157:158], v[82:83], v[88:89], v[157:158]
	;; [unrolled: 1-line block ×8, first 2 shown]
	v_fma_f64 v[159:160], -v[82:83], v[90:91], v[159:160]
	v_fma_f64 v[157:158], v[80:81], v[90:91], v[157:158]
	global_load_dwordx4 v[80:83], v[171:172], off
	v_fma_f64 v[161:162], -v[39:40], v[90:91], v[161:162]
	v_fma_f64 v[163:164], v[37:38], v[90:91], v[163:164]
	global_load_dwordx4 v[37:40], v[171:172], off offset:16
	v_fma_f64 v[165:166], -v[19:20], v[90:91], v[165:166]
	v_fma_f64 v[167:168], v[17:18], v[90:91], v[167:168]
	global_load_dwordx4 v[17:20], v[104:105], off offset:160
	;; [unrolled: 3-line block ×3, first 2 shown]
	global_load_dwordx4 v[129:132], v[171:172], off offset:32
	s_waitcnt vmcnt(10)
	v_fma_f64 v[106:107], v[53:54], v[125:126], v[159:160]
	v_fma_f64 v[157:158], v[55:56], v[125:126], v[157:158]
	;; [unrolled: 1-line block ×5, first 2 shown]
	v_fma_f64 v[159:160], -v[55:56], v[127:128], v[106:107]
	v_fma_f64 v[106:107], v[33:34], v[125:126], v[161:162]
	v_fma_f64 v[161:162], v[35:36], v[125:126], v[163:164]
	;; [unrolled: 1-line block ×3, first 2 shown]
	global_load_dwordx4 v[53:56], v[104:105], off offset:176
	v_fma_f64 v[125:126], v[94:95], v[125:126], v[173:174]
	v_fma_f64 v[11:12], -v[11:12], v[127:128], v[165:166]
	v_fma_f64 v[9:10], v[9:10], v[127:128], v[167:168]
	v_fma_f64 v[94:95], -v[94:95], v[127:128], v[169:170]
	v_fma_f64 v[163:164], -v[35:36], v[127:128], v[106:107]
	v_fma_f64 v[161:162], v[33:34], v[127:128], v[161:162]
	global_load_dwordx4 v[33:36], v[104:105], off offset:240
	global_load_dwordx4 v[104:107], v[171:172], off offset:48
	v_fma_f64 v[92:93], v[92:93], v[127:128], v[125:126]
	s_waitcnt vmcnt(12)
	v_fma_f64 v[125:126], v[41:42], v[141:142], v[159:160]
	v_fma_f64 v[127:128], v[43:44], v[141:142], v[157:158]
	;; [unrolled: 1-line block ×8, first 2 shown]
	v_fma_f64 v[43:44], -v[43:44], v[143:144], v[125:126]
	v_fma_f64 v[41:42], v[41:42], v[143:144], v[127:128]
	v_fma_f64 v[11:12], -v[63:64], v[143:144], v[11:12]
	v_fma_f64 v[9:10], v[61:62], v[143:144], v[9:10]
	v_fma_f64 v[61:62], -v[71:72], v[143:144], v[94:95]
	v_fma_f64 v[15:16], -v[15:16], v[143:144], v[157:158]
	v_fma_f64 v[13:14], v[13:14], v[143:144], v[159:160]
	v_fma_f64 v[63:64], v[69:70], v[143:144], v[92:93]
	s_waitcnt vmcnt(11)
	v_fma_f64 v[43:44], v[25:26], v[149:150], v[43:44]
	v_fma_f64 v[41:42], v[27:28], v[149:150], v[41:42]
	;; [unrolled: 1-line block ×8, first 2 shown]
	v_fma_f64 v[27:28], -v[27:28], v[151:152], v[43:44]
	v_fma_f64 v[25:26], v[25:26], v[151:152], v[41:42]
	v_fma_f64 v[11:12], -v[51:52], v[151:152], v[11:12]
	v_fma_f64 v[9:10], v[49:50], v[151:152], v[9:10]
	v_fma_f64 v[23:24], -v[23:24], v[151:152], v[61:62]
	v_fma_f64 v[15:16], -v[47:48], v[151:152], v[15:16]
	v_fma_f64 v[13:14], v[45:46], v[151:152], v[13:14]
	v_fma_f64 v[21:22], v[21:22], v[151:152], v[63:64]
	s_waitcnt vmcnt(7)
	v_fma_f64 v[27:28], v[29:30], v[80:81], v[27:28]
	v_fma_f64 v[25:26], v[31:32], v[80:81], v[25:26]
	v_fma_f64 v[15:16], v[117:118], v[80:81], v[15:16]
	v_fma_f64 v[13:14], v[119:120], v[80:81], v[13:14]
	v_fma_f64 v[11:12], v[65:66], v[80:81], v[11:12]
	v_fma_f64 v[9:10], v[67:68], v[80:81], v[9:10]
	v_fma_f64 v[23:24], v[153:154], v[80:81], v[23:24]
	v_fma_f64 v[21:22], v[155:156], v[80:81], v[21:22]
	v_fma_f64 v[27:28], -v[31:32], v[82:83], v[27:28]
	v_fma_f64 v[25:26], v[29:30], v[82:83], v[25:26]
	v_fma_f64 v[15:16], -v[119:120], v[82:83], v[15:16]
	v_fma_f64 v[13:14], v[117:118], v[82:83], v[13:14]
	v_fma_f64 v[11:12], -v[67:68], v[82:83], v[11:12]
	v_fma_f64 v[9:10], v[65:66], v[82:83], v[9:10]
	v_fma_f64 v[23:24], -v[155:156], v[82:83], v[23:24]
	v_fma_f64 v[21:22], v[153:154], v[82:83], v[21:22]
	s_waitcnt vmcnt(6)
	v_fma_f64 v[27:28], v[121:122], v[37:38], v[27:28]
	v_fma_f64 v[25:26], v[123:124], v[37:38], v[25:26]
	v_fma_f64 v[15:16], v[109:110], v[37:38], v[15:16]
	v_fma_f64 v[13:14], v[111:112], v[37:38], v[13:14]
	v_fma_f64 v[11:12], v[133:134], v[37:38], v[11:12]
	v_fma_f64 v[9:10], v[135:136], v[37:38], v[9:10]
	v_fma_f64 v[23:24], v[145:146], v[37:38], v[23:24]
	v_fma_f64 v[21:22], v[147:148], v[37:38], v[21:22]
	v_fma_f64 v[27:28], -v[123:124], v[39:40], v[27:28]
	v_fma_f64 v[25:26], v[121:122], v[39:40], v[25:26]
	v_fma_f64 v[15:16], -v[111:112], v[39:40], v[15:16]
	v_fma_f64 v[13:14], v[109:110], v[39:40], v[13:14]
	v_fma_f64 v[11:12], -v[135:136], v[39:40], v[11:12]
	v_fma_f64 v[9:10], v[133:134], v[39:40], v[9:10]
	v_fma_f64 v[23:24], -v[147:148], v[39:40], v[23:24]
	;; [unrolled: 17-line block ×4, first 2 shown]
	v_fma_f64 v[82:83], v[33:34], v[106:107], v[19:20]
	s_andn2_b32 exec_lo, exec_lo, s9
	s_cbranch_execnz .LBB36_19
; %bb.20:
	s_or_b32 exec_lo, exec_lo, s9
.LBB36_21:
	s_or_b32 exec_lo, exec_lo, s8
.LBB36_22:
	s_or_b32 exec_lo, exec_lo, s3
	s_cbranch_execz .LBB36_24
	s_branch .LBB36_35
.LBB36_23:
                                        ; implicit-def: $vgpr90_vgpr91
                                        ; implicit-def: $vgpr94_vgpr95
                                        ; implicit-def: $vgpr80_vgpr81
                                        ; implicit-def: $vgpr82_vgpr83
                                        ; implicit-def: $vgpr88_vgpr89
                                        ; implicit-def: $vgpr86_vgpr87
                                        ; implicit-def: $vgpr92_vgpr93
                                        ; implicit-def: $vgpr84_vgpr85
.LBB36_24:
	v_mov_b32_e32 v90, 0
	v_mov_b32_e32 v94, 0
	;; [unrolled: 1-line block ×16, first 2 shown]
	s_and_saveexec_b32 s1, s0
	s_cbranch_execz .LBB36_34
; %bb.25:
	v_or_b32_e32 v9, 8, v0
	v_not_b32_e32 v13, v96
	v_not_b32_e32 v11, v97
	v_mov_b32_e32 v84, 0
	v_mov_b32_e32 v92, 0
	v_sub_co_u32 v9, s0, v9, s2
	v_sub_co_ci_u32_e64 v10, null, 0, 0, s0
	v_sub_co_u32 v14, s0, s2, v0
	v_add_co_u32 v9, vcc_lo, v9, v96
	v_add_co_ci_u32_e64 v10, null, v10, v97, vcc_lo
	v_sub_co_ci_u32_e64 v15, null, 0, 0, s0
	v_add_co_u32 v13, s0, v14, v13
	v_cmp_gt_i64_e32 vcc_lo, v[9:10], v[76:77]
	v_add_co_ci_u32_e64 v11, null, v15, v11, s0
	v_mov_b32_e32 v86, 0
	v_mov_b32_e32 v88, 0
	;; [unrolled: 1-line block ×3, first 2 shown]
	v_cndmask_b32_e32 v9, v76, v9, vcc_lo
	v_cndmask_b32_e32 v10, v77, v10, vcc_lo
	v_mov_b32_e32 v80, 0
	v_mov_b32_e32 v94, 0
	;; [unrolled: 1-line block ×3, first 2 shown]
	v_add_co_u32 v9, vcc_lo, v13, v9
	v_mov_b32_e32 v12, 0
	v_mov_b32_e32 v85, 0
	;; [unrolled: 1-line block ×4, first 2 shown]
	v_add_co_ci_u32_e64 v10, null, v11, v10, vcc_lo
	v_and_b32_e32 v11, 24, v9
	v_mov_b32_e32 v89, 0
	v_mov_b32_e32 v83, 0
	;; [unrolled: 1-line block ×5, first 2 shown]
	s_mov_b32 s3, exec_lo
	v_cmpx_ne_u64_e32 24, v[11:12]
	s_cbranch_execz .LBB36_29
; %bb.26:
	v_lshrrev_b32_e32 v13, 3, v9
	v_lshlrev_b64 v[11:12], 2, v[74:75]
	v_mov_b32_e32 v90, 0
	v_mov_b32_e32 v94, 0
	;; [unrolled: 1-line block ×3, first 2 shown]
	v_add_nc_u32_e32 v13, 1, v13
	v_mov_b32_e32 v82, 0
	v_add_co_u32 v11, vcc_lo, s12, v11
	v_mov_b32_e32 v88, 0
	v_and_b32_e32 v13, 3, v13
	v_mov_b32_e32 v86, 0
	v_mov_b32_e32 v92, 0
	;; [unrolled: 1-line block ×4, first 2 shown]
	v_sub_co_u32 v13, s0, 0, v13
	v_mov_b32_e32 v95, 0
	v_mov_b32_e32 v81, 0
	v_add_co_ci_u32_e64 v12, null, s13, v12, vcc_lo
	v_mov_b32_e32 v83, 0
	v_mov_b32_e32 v89, 0
	v_mov_b32_e32 v87, 0
	v_mov_b32_e32 v93, 0
	v_mov_b32_e32 v85, 0
	v_sub_co_ci_u32_e64 v14, null, 0, 0, s0
	s_mov_b32 s8, 0
.LBB36_27:                              ; =>This Inner Loop Header: Depth=1
	global_load_dword v31, v[11:12], off
	s_clause 0x3
	global_load_dwordx4 v[15:18], v[78:79], off offset:48
	global_load_dwordx4 v[19:22], v[78:79], off offset:32
	global_load_dwordx4 v[23:26], v[78:79], off offset:16
	global_load_dwordx4 v[27:30], v[78:79], off
	v_add_co_u32 v11, s0, v11, 32
	v_add_co_ci_u32_e64 v12, null, 0, v12, s0
	s_waitcnt vmcnt(4)
	v_subrev_nc_u32_e32 v31, s2, v31
	v_lshlrev_b32_e32 v31, 2, v31
	v_ashrrev_i32_e32 v32, 31, v31
	v_lshlrev_b64 v[31:32], 4, v[31:32]
	v_add_co_u32 v71, vcc_lo, s6, v31
	v_add_co_ci_u32_e64 v72, null, s7, v32, vcc_lo
	global_load_dwordx4 v[31:34], v[71:72], off
	s_clause 0x3
	global_load_dwordx4 v[35:38], v[78:79], off offset:64
	global_load_dwordx4 v[39:42], v[78:79], off offset:80
	;; [unrolled: 1-line block ×5, first 2 shown]
	s_clause 0x3
	global_load_dwordx4 v[55:58], v[78:79], off offset:176
	global_load_dwordx4 v[59:62], v[78:79], off offset:160
	;; [unrolled: 1-line block ×4, first 2 shown]
	s_clause 0x1
	global_load_dwordx4 v[96:99], v[71:72], off offset:32
	global_load_dwordx4 v[100:103], v[71:72], off offset:48
	s_clause 0x3
	global_load_dwordx4 v[104:107], v[78:79], off offset:192
	global_load_dwordx4 v[108:111], v[78:79], off offset:208
	;; [unrolled: 1-line block ×4, first 2 shown]
	v_add_co_u32 v78, vcc_lo, 0x800, v78
	v_add_co_ci_u32_e64 v79, null, 0, v79, vcc_lo
	v_add_co_u32 v13, vcc_lo, v13, 1
	v_add_co_ci_u32_e64 v14, null, 0, v14, vcc_lo
	;; [unrolled: 2-line block ×3, first 2 shown]
	v_cmp_eq_u64_e32 vcc_lo, 0, v[13:14]
	s_or_b32 s8, vcc_lo, s8
	s_waitcnt vmcnt(15)
	v_fma_f64 v[71:72], v[27:28], v[31:32], v[94:95]
	v_fma_f64 v[90:91], v[29:30], v[31:32], v[90:91]
	v_fma_f64 v[92:93], v[23:24], v[31:32], v[92:93]
	v_fma_f64 v[84:85], v[25:26], v[31:32], v[84:85]
	v_fma_f64 v[88:89], v[19:20], v[31:32], v[88:89]
	v_fma_f64 v[86:87], v[21:22], v[31:32], v[86:87]
	v_fma_f64 v[80:81], v[15:16], v[31:32], v[80:81]
	v_fma_f64 v[31:32], v[17:18], v[31:32], v[82:83]
	v_fma_f64 v[29:30], -v[29:30], v[33:34], v[71:72]
	v_fma_f64 v[27:28], v[27:28], v[33:34], v[90:91]
	v_fma_f64 v[25:26], -v[25:26], v[33:34], v[92:93]
	v_fma_f64 v[23:24], v[23:24], v[33:34], v[84:85]
	v_fma_f64 v[21:22], -v[21:22], v[33:34], v[88:89]
	v_fma_f64 v[19:20], v[19:20], v[33:34], v[86:87]
	v_fma_f64 v[17:18], -v[17:18], v[33:34], v[80:81]
	v_fma_f64 v[15:16], v[15:16], v[33:34], v[31:32]
	s_waitcnt vmcnt(10)
	v_fma_f64 v[29:30], v[35:36], v[51:52], v[29:30]
	v_fma_f64 v[27:28], v[37:38], v[51:52], v[27:28]
	v_fma_f64 v[25:26], v[39:40], v[51:52], v[25:26]
	v_fma_f64 v[23:24], v[41:42], v[51:52], v[23:24]
	v_fma_f64 v[21:22], v[43:44], v[51:52], v[21:22]
	v_fma_f64 v[19:20], v[45:46], v[51:52], v[19:20]
	v_fma_f64 v[17:18], v[47:48], v[51:52], v[17:18]
	v_fma_f64 v[15:16], v[49:50], v[51:52], v[15:16]
	v_fma_f64 v[29:30], -v[37:38], v[53:54], v[29:30]
	v_fma_f64 v[27:28], v[35:36], v[53:54], v[27:28]
	v_fma_f64 v[25:26], -v[41:42], v[53:54], v[25:26]
	v_fma_f64 v[23:24], v[39:40], v[53:54], v[23:24]
	v_fma_f64 v[21:22], -v[45:46], v[53:54], v[21:22]
	v_fma_f64 v[19:20], v[43:44], v[53:54], v[19:20]
	v_fma_f64 v[17:18], -v[49:50], v[53:54], v[17:18]
	v_fma_f64 v[15:16], v[47:48], v[53:54], v[15:16]
	;; [unrolled: 17-line block ×3, first 2 shown]
	s_waitcnt vmcnt(3)
	v_fma_f64 v[29:30], v[104:105], v[100:101], v[29:30]
	v_fma_f64 v[27:28], v[106:107], v[100:101], v[27:28]
	s_waitcnt vmcnt(2)
	v_fma_f64 v[25:26], v[108:109], v[100:101], v[25:26]
	v_fma_f64 v[23:24], v[110:111], v[100:101], v[23:24]
	;; [unrolled: 3-line block ×4, first 2 shown]
	v_fma_f64 v[94:95], -v[106:107], v[102:103], v[29:30]
	v_fma_f64 v[90:91], v[104:105], v[102:103], v[27:28]
	v_fma_f64 v[92:93], -v[110:111], v[102:103], v[25:26]
	v_fma_f64 v[84:85], v[108:109], v[102:103], v[23:24]
	;; [unrolled: 2-line block ×4, first 2 shown]
	s_andn2_b32 exec_lo, exec_lo, s8
	s_cbranch_execnz .LBB36_27
; %bb.28:
	s_or_b32 exec_lo, exec_lo, s8
.LBB36_29:
	s_or_b32 exec_lo, exec_lo, s3
	s_mov_b32 s3, exec_lo
	v_cmpx_lt_u64_e32 23, v[9:10]
	s_cbranch_execz .LBB36_33
; %bb.30:
	v_lshlrev_b64 v[9:10], 2, v[74:75]
	s_mov_b32 s8, 0
	v_add_co_u32 v9, vcc_lo, s12, v9
	v_add_co_ci_u32_e64 v10, null, s13, v10, vcc_lo
	v_add_co_u32 v96, vcc_lo, v9, 64
	v_add_co_ci_u32_e64 v97, null, 0, v10, vcc_lo
.LBB36_31:                              ; =>This Inner Loop Header: Depth=1
	global_load_dword v101, v[96:97], off offset:-64
	s_clause 0xf
	global_load_dwordx4 v[9:12], v[78:79], off offset:48
	global_load_dwordx4 v[17:20], v[78:79], off offset:32
	;; [unrolled: 1-line block ×3, first 2 shown]
	global_load_dwordx4 v[45:48], v[78:79], off
	global_load_dwordx4 v[33:36], v[78:79], off offset:112
	global_load_dwordx4 v[49:52], v[78:79], off offset:96
	;; [unrolled: 1-line block ×12, first 2 shown]
	v_add_co_u32 v138, vcc_lo, 0x800, v78
	v_add_co_ci_u32_e64 v139, null, 0, v79, vcc_lo
	v_add_co_u32 v140, vcc_lo, v78, 0x1000
	v_add_co_ci_u32_e64 v141, null, 0, v79, vcc_lo
	;; [unrolled: 2-line block ×4, first 2 shown]
	s_clause 0x2
	global_load_dword v156, v[96:97], off offset:-32
	global_load_dword v100, v[96:97], off
	global_load_dword v157, v[96:97], off offset:32
	s_clause 0x6
	global_load_dwordx4 v[102:105], v[138:139], off offset:32
	global_load_dwordx4 v[106:109], v[138:139], off offset:16
	;; [unrolled: 1-line block ×7, first 2 shown]
	v_add_co_u32 v78, s0, 0x2000, v78
	v_add_co_ci_u32_e64 v79, null, 0, v79, s0
	s_waitcnt vmcnt(26)
	v_subrev_nc_u32_e32 v101, s2, v101
	v_lshlrev_b32_e32 v130, 2, v101
	v_ashrrev_i32_e32 v131, 31, v130
	v_lshlrev_b64 v[130:131], 4, v[130:131]
	v_add_co_u32 v144, vcc_lo, s6, v130
	v_add_co_ci_u32_e64 v145, null, s7, v131, vcc_lo
	s_clause 0x1
	global_load_dwordx4 v[130:133], v[144:145], off
	global_load_dwordx4 v[134:137], v[144:145], off offset:16
	s_waitcnt vmcnt(10)
	v_subrev_nc_u32_e32 v100, s2, v100
	s_waitcnt vmcnt(1)
	v_fma_f64 v[94:95], v[45:46], v[130:131], v[94:95]
	v_fma_f64 v[90:91], v[47:48], v[130:131], v[90:91]
	;; [unrolled: 1-line block ×8, first 2 shown]
	v_fma_f64 v[94:95], -v[47:48], v[132:133], v[94:95]
	v_fma_f64 v[90:91], v[45:46], v[132:133], v[90:91]
	v_fma_f64 v[92:93], -v[27:28], v[132:133], v[92:93]
	v_fma_f64 v[84:85], v[25:26], v[132:133], v[84:85]
	;; [unrolled: 2-line block ×4, first 2 shown]
	s_clause 0x4
	global_load_dwordx4 v[45:48], v[138:139], off offset:160
	global_load_dwordx4 v[25:28], v[138:139], off offset:144
	;; [unrolled: 1-line block ×5, first 2 shown]
	s_waitcnt vmcnt(5)
	v_fma_f64 v[86:87], v[65:66], v[134:135], v[94:95]
	v_fma_f64 v[90:91], v[67:68], v[134:135], v[90:91]
	;; [unrolled: 1-line block ×4, first 2 shown]
	v_fma_f64 v[148:149], -v[67:68], v[136:137], v[86:87]
	v_fma_f64 v[150:151], v[65:66], v[136:137], v[90:91]
	v_fma_f64 v[86:87], v[57:58], v[134:135], v[92:93]
	v_fma_f64 v[90:91], v[51:52], v[134:135], v[146:147]
	global_load_dwordx4 v[65:68], v[138:139], off offset:208
	v_fma_f64 v[154:155], v[57:58], v[136:137], v[84:85]
	v_fma_f64 v[152:153], -v[59:60], v[136:137], v[86:87]
	s_clause 0x1
	global_load_dwordx4 v[57:60], v[138:139], off offset:176
	global_load_dwordx4 v[84:87], v[138:139], off offset:192
	v_fma_f64 v[138:139], -v[51:52], v[136:137], v[88:89]
	v_fma_f64 v[146:147], v[49:50], v[136:137], v[90:91]
	v_fma_f64 v[88:89], v[33:34], v[134:135], v[130:131]
	;; [unrolled: 1-line block ×3, first 2 shown]
	global_load_dwordx4 v[49:52], v[140:141], off offset:-2048
	v_fma_f64 v[130:131], -v[35:36], v[136:137], v[88:89]
	v_fma_f64 v[132:133], v[33:34], v[136:137], v[90:91]
	global_load_dwordx4 v[33:36], v[140:141], off
	s_clause 0x1
	global_load_dwordx4 v[88:91], v[144:145], off offset:32
	global_load_dwordx4 v[92:95], v[144:145], off offset:48
	s_waitcnt vmcnt(1)
	v_fma_f64 v[134:135], v[69:70], v[88:89], v[148:149]
	v_fma_f64 v[136:137], v[71:72], v[88:89], v[150:151]
	;; [unrolled: 1-line block ×8, first 2 shown]
	v_fma_f64 v[134:135], -v[71:72], v[90:91], v[134:135]
	v_fma_f64 v[136:137], v[69:70], v[90:91], v[136:137]
	v_fma_f64 v[140:141], -v[63:64], v[90:91], v[140:141]
	v_fma_f64 v[144:145], v[61:62], v[90:91], v[144:145]
	;; [unrolled: 2-line block ×4, first 2 shown]
	v_subrev_nc_u32_e32 v88, s2, v156
	s_clause 0x3
	global_load_dwordx4 v[69:72], v[142:143], off offset:48
	global_load_dwordx4 v[61:64], v[142:143], off offset:32
	;; [unrolled: 1-line block ×4, first 2 shown]
	v_lshlrev_b32_e32 v88, 2, v88
	v_ashrrev_i32_e32 v89, 31, v88
	s_waitcnt vmcnt(4)
	v_fma_f64 v[134:135], v[53:54], v[92:93], v[134:135]
	v_fma_f64 v[136:137], v[55:56], v[92:93], v[136:137]
	;; [unrolled: 1-line block ×8, first 2 shown]
	v_lshlrev_b64 v[88:89], 4, v[88:89]
	v_add_co_u32 v148, vcc_lo, s6, v88
	v_add_co_ci_u32_e64 v149, null, s7, v89, vcc_lo
	global_load_dwordx4 v[88:91], v[142:143], off offset:96
	v_fma_f64 v[134:135], -v[55:56], v[94:95], v[134:135]
	v_fma_f64 v[136:137], v[53:54], v[94:95], v[136:137]
	global_load_dwordx4 v[53:56], v[142:143], off offset:80
	v_fma_f64 v[140:141], -v[39:40], v[94:95], v[140:141]
	v_fma_f64 v[144:145], v[37:38], v[94:95], v[144:145]
	;; [unrolled: 3-line block ×4, first 2 shown]
	s_clause 0x1
	global_load_dwordx4 v[13:16], v[148:149], off
	global_load_dwordx4 v[92:95], v[148:149], off offset:16
	s_waitcnt vmcnt(1)
	v_fma_f64 v[134:135], v[49:50], v[13:14], v[134:135]
	v_fma_f64 v[136:137], v[51:52], v[13:14], v[136:137]
	v_fma_f64 v[140:141], v[106:107], v[13:14], v[140:141]
	v_fma_f64 v[144:145], v[108:109], v[13:14], v[144:145]
	v_fma_f64 v[138:139], v[102:103], v[13:14], v[138:139]
	v_fma_f64 v[146:147], v[104:105], v[13:14], v[146:147]
	v_fma_f64 v[130:131], v[122:123], v[13:14], v[130:131]
	v_fma_f64 v[13:14], v[124:125], v[13:14], v[132:133]
	v_fma_f64 v[134:135], -v[51:52], v[15:16], v[134:135]
	v_fma_f64 v[136:137], v[49:50], v[15:16], v[136:137]
	v_fma_f64 v[140:141], -v[108:109], v[15:16], v[140:141]
	v_fma_f64 v[144:145], v[106:107], v[15:16], v[144:145]
	v_fma_f64 v[138:139], -v[104:105], v[15:16], v[138:139]
	v_fma_f64 v[146:147], v[102:103], v[15:16], v[146:147]
	v_fma_f64 v[130:131], -v[124:125], v[15:16], v[130:131]
	v_fma_f64 v[132:133], v[122:123], v[15:16], v[13:14]
	s_clause 0x4
	global_load_dwordx4 v[49:52], v[142:143], off offset:144
	global_load_dwordx4 v[106:109], v[142:143], off offset:128
	;; [unrolled: 1-line block ×5, first 2 shown]
	v_subrev_nc_u32_e32 v105, s2, v157
	s_waitcnt vmcnt(5)
	v_fma_f64 v[134:135], v[126:127], v[92:93], v[134:135]
	v_fma_f64 v[136:137], v[128:129], v[92:93], v[136:137]
	;; [unrolled: 1-line block ×6, first 2 shown]
	v_fma_f64 v[134:135], -v[128:129], v[94:95], v[134:135]
	v_fma_f64 v[136:137], v[126:127], v[94:95], v[136:137]
	global_load_dwordx4 v[126:129], v[142:143], off offset:176
	v_fma_f64 v[140:141], -v[120:121], v[94:95], v[140:141]
	v_fma_f64 v[144:145], v[118:119], v[94:95], v[144:145]
	global_load_dwordx4 v[118:121], v[142:143], off offset:192
	v_fma_f64 v[142:143], v[116:117], v[92:93], v[146:147]
	v_fma_f64 v[92:93], v[112:113], v[92:93], v[132:133]
	v_fma_f64 v[138:139], -v[116:117], v[94:95], v[138:139]
	v_fma_f64 v[146:147], -v[112:113], v[94:95], v[130:131]
	v_fma_f64 v[142:143], v[114:115], v[94:95], v[142:143]
	global_load_dwordx4 v[114:117], v[98:99], off
	v_fma_f64 v[150:151], v[110:111], v[94:95], v[92:93]
	global_load_dwordx4 v[92:95], v[98:99], off offset:48
	s_clause 0x1
	global_load_dwordx4 v[110:113], v[148:149], off offset:32
	global_load_dwordx4 v[130:133], v[148:149], off offset:48
	s_waitcnt vmcnt(1)
	v_fma_f64 v[142:143], v[47:48], v[110:111], v[142:143]
	v_fma_f64 v[138:139], v[45:46], v[110:111], v[138:139]
	;; [unrolled: 1-line block ×8, first 2 shown]
	v_lshlrev_b32_e32 v150, 2, v105
	v_ashrrev_i32_e32 v151, 31, v150
	v_fma_f64 v[142:143], v[45:46], v[112:113], v[142:143]
	v_fma_f64 v[138:139], -v[47:48], v[112:113], v[138:139]
	v_fma_f64 v[134:135], -v[19:20], v[112:113], v[134:135]
	v_fma_f64 v[136:137], v[17:18], v[112:113], v[136:137]
	v_fma_f64 v[140:141], -v[27:28], v[112:113], v[140:141]
	v_fma_f64 v[144:145], v[25:26], v[112:113], v[144:145]
	;; [unrolled: 2-line block ×3, first 2 shown]
	s_clause 0x4
	global_load_dwordx4 v[17:20], v[98:99], off offset:32
	global_load_dwordx4 v[25:28], v[98:99], off offset:16
	;; [unrolled: 1-line block ×5, first 2 shown]
	s_waitcnt vmcnt(5)
	v_fma_f64 v[142:143], v[82:83], v[130:131], v[142:143]
	v_fma_f64 v[138:139], v[80:81], v[130:131], v[138:139]
	;; [unrolled: 1-line block ×7, first 2 shown]
	v_lshlrev_b32_e32 v80, 2, v100
	v_fma_f64 v[138:139], -v[82:83], v[132:133], v[138:139]
	v_fma_f64 v[82:83], v[11:12], v[130:131], v[148:149]
	v_fma_f64 v[134:135], -v[86:87], v[132:133], v[134:135]
	v_fma_f64 v[136:137], v[84:85], v[132:133], v[136:137]
	v_ashrrev_i32_e32 v81, 31, v80
	global_load_dwordx4 v[84:87], v[98:99], off offset:64
	v_fma_f64 v[140:141], -v[67:68], v[132:133], v[140:141]
	v_fma_f64 v[144:145], v[65:66], v[132:133], v[144:145]
	global_load_dwordx4 v[65:68], v[98:99], off offset:176
	v_lshlrev_b64 v[80:81], 4, v[80:81]
	v_add_co_u32 v152, vcc_lo, s6, v80
	v_add_co_ci_u32_e64 v153, null, s7, v81, vcc_lo
	v_fma_f64 v[80:81], v[9:10], v[130:131], v[146:147]
	v_fma_f64 v[148:149], v[9:10], v[132:133], v[82:83]
	v_fma_f64 v[146:147], -v[11:12], v[132:133], v[80:81]
	s_clause 0x1
	global_load_dwordx4 v[9:12], v[152:153], off
	global_load_dwordx4 v[80:83], v[152:153], off offset:16
	s_waitcnt vmcnt(1)
	v_fma_f64 v[130:131], v[33:34], v[9:10], v[134:135]
	v_fma_f64 v[132:133], v[35:36], v[9:10], v[136:137]
	;; [unrolled: 1-line block ×8, first 2 shown]
	v_fma_f64 v[134:135], -v[35:36], v[11:12], v[130:131]
	v_fma_f64 v[136:137], v[33:34], v[11:12], v[132:133]
	global_load_dwordx4 v[33:36], v[152:153], off offset:32
	v_lshlrev_b64 v[130:131], 4, v[150:151]
	v_fma_f64 v[140:141], -v[43:44], v[11:12], v[140:141]
	v_fma_f64 v[144:145], v[41:42], v[11:12], v[144:145]
	v_fma_f64 v[138:139], -v[63:64], v[11:12], v[138:139]
	v_fma_f64 v[142:143], v[61:62], v[11:12], v[142:143]
	v_fma_f64 v[146:147], -v[71:72], v[11:12], v[146:147]
	v_add_co_u32 v150, vcc_lo, s6, v130
	v_add_co_ci_u32_e64 v151, null, s7, v131, vcc_lo
	global_load_dwordx4 v[130:133], v[152:153], off offset:48
	v_fma_f64 v[148:149], v[69:70], v[11:12], v[9:10]
	v_add_co_u32 v74, vcc_lo, v74, 32
	s_clause 0x1
	global_load_dwordx4 v[41:44], v[150:151], off offset:16
	global_load_dwordx4 v[61:64], v[150:151], off
	s_clause 0x1
	global_load_dwordx4 v[9:12], v[98:99], off offset:160
	global_load_dwordx4 v[69:72], v[98:99], off offset:144
	v_add_co_ci_u32_e64 v75, null, 0, v75, vcc_lo
	s_waitcnt vmcnt(6)
	v_fma_f64 v[134:135], v[37:38], v[80:81], v[134:135]
	v_fma_f64 v[136:137], v[39:40], v[80:81], v[136:137]
	v_add_co_u32 v96, vcc_lo, 0x80, v96
	v_fma_f64 v[140:141], v[53:54], v[80:81], v[140:141]
	v_fma_f64 v[144:145], v[55:56], v[80:81], v[144:145]
	;; [unrolled: 1-line block ×5, first 2 shown]
	v_add_co_ci_u32_e64 v97, null, 0, v97, vcc_lo
	v_cmp_ge_i64_e32 vcc_lo, v[74:75], v[76:77]
	v_fma_f64 v[80:81], v[31:32], v[80:81], v[148:149]
	s_or_b32 s8, vcc_lo, s8
	v_fma_f64 v[134:135], -v[39:40], v[82:83], v[134:135]
	v_fma_f64 v[136:137], v[37:38], v[82:83], v[136:137]
	global_load_dwordx4 v[37:40], v[98:99], off offset:128
	v_fma_f64 v[140:141], -v[55:56], v[82:83], v[140:141]
	v_fma_f64 v[144:145], v[53:54], v[82:83], v[144:145]
	global_load_dwordx4 v[53:56], v[150:151], off offset:48
	;; [unrolled: 3-line block ×3, first 2 shown]
	v_fma_f64 v[146:147], -v[31:32], v[82:83], v[146:147]
	v_fma_f64 v[148:149], v[29:30], v[82:83], v[80:81]
	s_clause 0x1
	global_load_dwordx4 v[29:32], v[98:99], off offset:208
	global_load_dwordx4 v[80:83], v[98:99], off offset:192
	s_waitcnt vmcnt(10)
	v_fma_f64 v[134:135], v[106:107], v[33:34], v[134:135]
	v_fma_f64 v[136:137], v[108:109], v[33:34], v[136:137]
	;; [unrolled: 1-line block ×4, first 2 shown]
	v_fma_f64 v[150:151], -v[108:109], v[35:36], v[134:135]
	v_fma_f64 v[152:153], v[106:107], v[35:36], v[136:137]
	s_clause 0x1
	global_load_dwordx4 v[105:108], v[98:99], off offset:224
	global_load_dwordx4 v[134:137], v[98:99], off offset:240
	v_fma_f64 v[98:99], v[49:50], v[33:34], v[140:141]
	v_fma_f64 v[140:141], v[51:52], v[33:34], v[144:145]
	;; [unrolled: 1-line block ×4, first 2 shown]
	v_fma_f64 v[23:24], -v[23:24], v[35:36], v[138:139]
	v_fma_f64 v[21:22], v[21:22], v[35:36], v[142:143]
	v_fma_f64 v[51:52], -v[51:52], v[35:36], v[98:99]
	v_fma_f64 v[49:50], v[49:50], v[35:36], v[140:141]
	;; [unrolled: 2-line block ×3, first 2 shown]
	s_waitcnt vmcnt(11)
	v_fma_f64 v[35:36], v[118:119], v[130:131], v[150:151]
	v_fma_f64 v[126:127], v[120:121], v[130:131], v[152:153]
	;; [unrolled: 1-line block ×8, first 2 shown]
	v_fma_f64 v[35:36], -v[120:121], v[132:133], v[35:36]
	v_fma_f64 v[118:119], v[118:119], v[132:133], v[126:127]
	v_fma_f64 v[15:16], -v[15:16], v[132:133], v[23:24]
	v_fma_f64 v[13:14], v[13:14], v[132:133], v[21:22]
	v_fma_f64 v[51:52], -v[124:125], v[132:133], v[51:52]
	v_fma_f64 v[49:50], v[122:123], v[132:133], v[49:50]
	v_fma_f64 v[21:22], -v[103:104], v[132:133], v[98:99]
	v_fma_f64 v[23:24], v[101:102], v[132:133], v[33:34]
	s_waitcnt vmcnt(9)
	v_fma_f64 v[33:34], v[114:115], v[61:62], v[35:36]
	v_fma_f64 v[35:36], v[116:117], v[61:62], v[118:119]
	;; [unrolled: 1-line block ×8, first 2 shown]
	v_fma_f64 v[33:34], -v[116:117], v[63:64], v[33:34]
	v_fma_f64 v[35:36], v[114:115], v[63:64], v[35:36]
	v_fma_f64 v[15:16], -v[19:20], v[63:64], v[15:16]
	v_fma_f64 v[13:14], v[17:18], v[63:64], v[13:14]
	;; [unrolled: 2-line block ×4, first 2 shown]
	v_fma_f64 v[21:22], v[84:85], v[41:42], v[33:34]
	v_fma_f64 v[23:24], v[86:87], v[41:42], v[35:36]
	;; [unrolled: 1-line block ×8, first 2 shown]
	v_fma_f64 v[21:22], -v[86:87], v[43:44], v[21:22]
	v_fma_f64 v[23:24], v[84:85], v[43:44], v[23:24]
	v_fma_f64 v[15:16], -v[59:60], v[43:44], v[15:16]
	v_fma_f64 v[13:14], v[57:58], v[43:44], v[13:14]
	;; [unrolled: 2-line block ×4, first 2 shown]
	s_waitcnt vmcnt(4)
	v_fma_f64 v[21:22], v[37:38], v[88:89], v[21:22]
	v_fma_f64 v[23:24], v[39:40], v[88:89], v[23:24]
	;; [unrolled: 1-line block ×8, first 2 shown]
	v_fma_f64 v[21:22], -v[39:40], v[90:91], v[21:22]
	v_fma_f64 v[23:24], v[37:38], v[90:91], v[23:24]
	v_fma_f64 v[11:12], -v[11:12], v[90:91], v[15:16]
	v_fma_f64 v[9:10], v[9:10], v[90:91], v[13:14]
	;; [unrolled: 2-line block ×4, first 2 shown]
	s_waitcnt vmcnt(2)
	v_fma_f64 v[17:18], v[80:81], v[53:54], v[21:22]
	v_fma_f64 v[19:20], v[82:83], v[53:54], v[23:24]
	;; [unrolled: 1-line block ×4, first 2 shown]
	v_fma_f64 v[94:95], -v[82:83], v[55:56], v[17:18]
	v_fma_f64 v[90:91], v[80:81], v[55:56], v[19:20]
	v_fma_f64 v[92:93], -v[31:32], v[55:56], v[21:22]
	v_fma_f64 v[84:85], v[29:30], v[55:56], v[23:24]
	s_waitcnt vmcnt(1)
	v_fma_f64 v[11:12], v[105:106], v[53:54], v[11:12]
	v_fma_f64 v[9:10], v[107:108], v[53:54], v[9:10]
	s_waitcnt vmcnt(0)
	v_fma_f64 v[13:14], v[134:135], v[53:54], v[13:14]
	v_fma_f64 v[15:16], v[136:137], v[53:54], v[15:16]
	v_fma_f64 v[88:89], -v[107:108], v[55:56], v[11:12]
	v_fma_f64 v[86:87], v[105:106], v[55:56], v[9:10]
	v_fma_f64 v[80:81], -v[136:137], v[55:56], v[13:14]
	v_fma_f64 v[82:83], v[134:135], v[55:56], v[15:16]
	s_andn2_b32 exec_lo, exec_lo, s8
	s_cbranch_execnz .LBB36_31
; %bb.32:
	s_or_b32 exec_lo, exec_lo, s8
.LBB36_33:
	s_or_b32 exec_lo, exec_lo, s3
.LBB36_34:
	s_or_b32 exec_lo, exec_lo, s1
.LBB36_35:
	v_mbcnt_lo_u32_b32 v41, -1, 0
	v_xor_b32_e32 v9, 4, v41
	v_xor_b32_e32 v25, 2, v41
	v_cmp_gt_i32_e32 vcc_lo, 32, v9
	v_cndmask_b32_e32 v9, v41, v9, vcc_lo
	v_cmp_gt_i32_e32 vcc_lo, 32, v25
	v_lshlrev_b32_e32 v24, 2, v9
	v_cndmask_b32_e32 v27, v41, v25, vcc_lo
	ds_bpermute_b32 v9, v24, v94
	ds_bpermute_b32 v10, v24, v95
	;; [unrolled: 1-line block ×16, first 2 shown]
	v_lshlrev_b32_e32 v40, 2, v27
	s_waitcnt lgkmcnt(14)
	v_add_f64 v[9:10], v[94:95], v[9:10]
	s_waitcnt lgkmcnt(12)
	v_add_f64 v[11:12], v[90:91], v[11:12]
	;; [unrolled: 2-line block ×8, first 2 shown]
	ds_bpermute_b32 v23, v40, v9
	ds_bpermute_b32 v24, v40, v10
	;; [unrolled: 1-line block ×16, first 2 shown]
	s_waitcnt lgkmcnt(14)
	v_add_f64 v[9:10], v[9:10], v[23:24]
	s_waitcnt lgkmcnt(12)
	v_add_f64 v[27:28], v[11:12], v[27:28]
	;; [unrolled: 2-line block ×3, first 2 shown]
	v_xor_b32_e32 v29, 1, v41
	s_waitcnt lgkmcnt(8)
	v_add_f64 v[23:24], v[15:16], v[31:32]
	s_waitcnt lgkmcnt(6)
	v_add_f64 v[13:14], v[17:18], v[33:34]
	;; [unrolled: 2-line block ×3, first 2 shown]
	v_cmp_gt_i32_e32 vcc_lo, 32, v29
	s_waitcnt lgkmcnt(2)
	v_add_f64 v[15:16], v[21:22], v[37:38]
	s_waitcnt lgkmcnt(0)
	v_add_f64 v[19:20], v[25:26], v[39:40]
	v_cndmask_b32_e32 v29, v41, v29, vcc_lo
	v_cmp_eq_u32_e32 vcc_lo, 7, v0
	v_lshlrev_b32_e32 v34, 2, v29
	ds_bpermute_b32 v21, v34, v9
	ds_bpermute_b32 v22, v34, v10
	;; [unrolled: 1-line block ×16, first 2 shown]
	s_and_b32 exec_lo, exec_lo, vcc_lo
	s_cbranch_execz .LBB36_8
; %bb.36:
	s_waitcnt lgkmcnt(12)
	v_add_f64 v[27:28], v[27:28], v[39:40]
	s_waitcnt lgkmcnt(8)
	v_add_f64 v[23:24], v[23:24], v[37:38]
	;; [unrolled: 2-line block ×4, first 2 shown]
	v_add_f64 v[9:10], v[9:10], v[21:22]
	v_add_f64 v[11:12], v[11:12], v[25:26]
	;; [unrolled: 1-line block ×4, first 2 shown]
	v_cmp_eq_f64_e32 vcc_lo, 0, v[1:2]
	v_cmp_eq_f64_e64 s0, 0, v[3:4]
	s_load_dwordx2 s[2:3], s[4:5], 0x60
	v_mul_f64 v[13:14], v[27:28], -v[7:8]
	v_mul_f64 v[15:16], v[5:6], v[27:28]
	v_mul_f64 v[27:28], v[23:24], -v[7:8]
	v_mul_f64 v[23:24], v[5:6], v[23:24]
	;; [unrolled: 2-line block ×4, first 2 shown]
	s_and_b32 s0, vcc_lo, s0
	v_fma_f64 v[17:18], v[5:6], v[9:10], v[13:14]
	v_fma_f64 v[19:20], v[7:8], v[9:10], v[15:16]
	;; [unrolled: 1-line block ×8, first 2 shown]
	v_lshlrev_b32_e32 v21, 2, v73
	s_and_saveexec_b32 s1, s0
	s_xor_b32 s0, exec_lo, s1
	s_cbranch_execz .LBB36_38
; %bb.37:
	v_ashrrev_i32_e32 v22, 31, v21
	v_lshlrev_b64 v[0:1], 4, v[21:22]
                                        ; implicit-def: $vgpr21
	s_waitcnt lgkmcnt(0)
	v_add_co_u32 v0, vcc_lo, s2, v0
	v_add_co_ci_u32_e64 v1, null, s3, v1, vcc_lo
	global_store_dwordx4 v[0:1], v[17:20], off
	global_store_dwordx4 v[0:1], v[13:16], off offset:16
	global_store_dwordx4 v[0:1], v[9:12], off offset:32
	;; [unrolled: 1-line block ×3, first 2 shown]
                                        ; implicit-def: $vgpr3_vgpr4
                                        ; implicit-def: $vgpr17_vgpr18
                                        ; implicit-def: $vgpr13_vgpr14
                                        ; implicit-def: $vgpr9_vgpr10
                                        ; implicit-def: $vgpr5_vgpr6
.LBB36_38:
	s_andn2_saveexec_b32 s0, s0
	s_cbranch_execz .LBB36_8
; %bb.39:
	v_ashrrev_i32_e32 v22, 31, v21
	v_lshlrev_b64 v[21:22], 4, v[21:22]
	s_waitcnt lgkmcnt(0)
	v_add_co_u32 v37, vcc_lo, s2, v21
	v_add_co_ci_u32_e64 v38, null, s3, v22, vcc_lo
	s_clause 0x3
	global_load_dwordx4 v[21:24], v[37:38], off
	global_load_dwordx4 v[25:28], v[37:38], off offset:16
	global_load_dwordx4 v[29:32], v[37:38], off offset:32
	;; [unrolled: 1-line block ×3, first 2 shown]
	s_waitcnt vmcnt(3)
	v_fma_f64 v[17:18], v[1:2], v[21:22], v[17:18]
	v_fma_f64 v[19:20], v[3:4], v[21:22], v[19:20]
	s_waitcnt vmcnt(2)
	v_fma_f64 v[13:14], v[1:2], v[25:26], v[13:14]
	v_fma_f64 v[15:16], v[3:4], v[25:26], v[15:16]
	;; [unrolled: 3-line block ×4, first 2 shown]
	v_fma_f64 v[5:6], -v[3:4], v[23:24], v[17:18]
	v_fma_f64 v[7:8], v[1:2], v[23:24], v[19:20]
	v_fma_f64 v[9:10], -v[3:4], v[27:28], v[13:14]
	v_fma_f64 v[11:12], v[1:2], v[27:28], v[15:16]
	v_fma_f64 v[13:14], -v[3:4], v[31:32], v[21:22]
	v_fma_f64 v[15:16], v[1:2], v[31:32], v[25:26]
	v_fma_f64 v[17:18], -v[3:4], v[35:36], v[29:30]
	v_fma_f64 v[19:20], v[1:2], v[35:36], v[33:34]
	global_store_dwordx4 v[37:38], v[5:8], off
	global_store_dwordx4 v[37:38], v[9:12], off offset:16
	global_store_dwordx4 v[37:38], v[13:16], off offset:32
	global_store_dwordx4 v[37:38], v[17:20], off offset:48
	s_endpgm
	.section	.rodata,"a",@progbits
	.p2align	6, 0x0
	.amdhsa_kernel _ZN9rocsparseL18bsrxmvn_4x4_kernelILj128ELj8E21rocsparse_complex_numIdEliS2_S2_S2_EEvT3_20rocsparse_direction_NS_24const_host_device_scalarIT1_EES3_PKS3_PKT2_SC_S9_PKT4_PKT5_S7_PT6_21rocsparse_index_base_b
		.amdhsa_group_segment_fixed_size 0
		.amdhsa_private_segment_fixed_size 0
		.amdhsa_kernarg_size 112
		.amdhsa_user_sgpr_count 6
		.amdhsa_user_sgpr_private_segment_buffer 1
		.amdhsa_user_sgpr_dispatch_ptr 0
		.amdhsa_user_sgpr_queue_ptr 0
		.amdhsa_user_sgpr_kernarg_segment_ptr 1
		.amdhsa_user_sgpr_dispatch_id 0
		.amdhsa_user_sgpr_flat_scratch_init 0
		.amdhsa_user_sgpr_private_segment_size 0
		.amdhsa_wavefront_size32 1
		.amdhsa_uses_dynamic_stack 0
		.amdhsa_system_sgpr_private_segment_wavefront_offset 0
		.amdhsa_system_sgpr_workgroup_id_x 1
		.amdhsa_system_sgpr_workgroup_id_y 0
		.amdhsa_system_sgpr_workgroup_id_z 0
		.amdhsa_system_sgpr_workgroup_info 0
		.amdhsa_system_vgpr_workitem_id 0
		.amdhsa_next_free_vgpr 178
		.amdhsa_next_free_sgpr 16
		.amdhsa_reserve_vcc 1
		.amdhsa_reserve_flat_scratch 0
		.amdhsa_float_round_mode_32 0
		.amdhsa_float_round_mode_16_64 0
		.amdhsa_float_denorm_mode_32 3
		.amdhsa_float_denorm_mode_16_64 3
		.amdhsa_dx10_clamp 1
		.amdhsa_ieee_mode 1
		.amdhsa_fp16_overflow 0
		.amdhsa_workgroup_processor_mode 1
		.amdhsa_memory_ordered 1
		.amdhsa_forward_progress 1
		.amdhsa_shared_vgpr_count 0
		.amdhsa_exception_fp_ieee_invalid_op 0
		.amdhsa_exception_fp_denorm_src 0
		.amdhsa_exception_fp_ieee_div_zero 0
		.amdhsa_exception_fp_ieee_overflow 0
		.amdhsa_exception_fp_ieee_underflow 0
		.amdhsa_exception_fp_ieee_inexact 0
		.amdhsa_exception_int_div_zero 0
	.end_amdhsa_kernel
	.section	.text._ZN9rocsparseL18bsrxmvn_4x4_kernelILj128ELj8E21rocsparse_complex_numIdEliS2_S2_S2_EEvT3_20rocsparse_direction_NS_24const_host_device_scalarIT1_EES3_PKS3_PKT2_SC_S9_PKT4_PKT5_S7_PT6_21rocsparse_index_base_b,"axG",@progbits,_ZN9rocsparseL18bsrxmvn_4x4_kernelILj128ELj8E21rocsparse_complex_numIdEliS2_S2_S2_EEvT3_20rocsparse_direction_NS_24const_host_device_scalarIT1_EES3_PKS3_PKT2_SC_S9_PKT4_PKT5_S7_PT6_21rocsparse_index_base_b,comdat
.Lfunc_end36:
	.size	_ZN9rocsparseL18bsrxmvn_4x4_kernelILj128ELj8E21rocsparse_complex_numIdEliS2_S2_S2_EEvT3_20rocsparse_direction_NS_24const_host_device_scalarIT1_EES3_PKS3_PKT2_SC_S9_PKT4_PKT5_S7_PT6_21rocsparse_index_base_b, .Lfunc_end36-_ZN9rocsparseL18bsrxmvn_4x4_kernelILj128ELj8E21rocsparse_complex_numIdEliS2_S2_S2_EEvT3_20rocsparse_direction_NS_24const_host_device_scalarIT1_EES3_PKS3_PKT2_SC_S9_PKT4_PKT5_S7_PT6_21rocsparse_index_base_b
                                        ; -- End function
	.set _ZN9rocsparseL18bsrxmvn_4x4_kernelILj128ELj8E21rocsparse_complex_numIdEliS2_S2_S2_EEvT3_20rocsparse_direction_NS_24const_host_device_scalarIT1_EES3_PKS3_PKT2_SC_S9_PKT4_PKT5_S7_PT6_21rocsparse_index_base_b.num_vgpr, 178
	.set _ZN9rocsparseL18bsrxmvn_4x4_kernelILj128ELj8E21rocsparse_complex_numIdEliS2_S2_S2_EEvT3_20rocsparse_direction_NS_24const_host_device_scalarIT1_EES3_PKS3_PKT2_SC_S9_PKT4_PKT5_S7_PT6_21rocsparse_index_base_b.num_agpr, 0
	.set _ZN9rocsparseL18bsrxmvn_4x4_kernelILj128ELj8E21rocsparse_complex_numIdEliS2_S2_S2_EEvT3_20rocsparse_direction_NS_24const_host_device_scalarIT1_EES3_PKS3_PKT2_SC_S9_PKT4_PKT5_S7_PT6_21rocsparse_index_base_b.numbered_sgpr, 16
	.set _ZN9rocsparseL18bsrxmvn_4x4_kernelILj128ELj8E21rocsparse_complex_numIdEliS2_S2_S2_EEvT3_20rocsparse_direction_NS_24const_host_device_scalarIT1_EES3_PKS3_PKT2_SC_S9_PKT4_PKT5_S7_PT6_21rocsparse_index_base_b.num_named_barrier, 0
	.set _ZN9rocsparseL18bsrxmvn_4x4_kernelILj128ELj8E21rocsparse_complex_numIdEliS2_S2_S2_EEvT3_20rocsparse_direction_NS_24const_host_device_scalarIT1_EES3_PKS3_PKT2_SC_S9_PKT4_PKT5_S7_PT6_21rocsparse_index_base_b.private_seg_size, 0
	.set _ZN9rocsparseL18bsrxmvn_4x4_kernelILj128ELj8E21rocsparse_complex_numIdEliS2_S2_S2_EEvT3_20rocsparse_direction_NS_24const_host_device_scalarIT1_EES3_PKS3_PKT2_SC_S9_PKT4_PKT5_S7_PT6_21rocsparse_index_base_b.uses_vcc, 1
	.set _ZN9rocsparseL18bsrxmvn_4x4_kernelILj128ELj8E21rocsparse_complex_numIdEliS2_S2_S2_EEvT3_20rocsparse_direction_NS_24const_host_device_scalarIT1_EES3_PKS3_PKT2_SC_S9_PKT4_PKT5_S7_PT6_21rocsparse_index_base_b.uses_flat_scratch, 0
	.set _ZN9rocsparseL18bsrxmvn_4x4_kernelILj128ELj8E21rocsparse_complex_numIdEliS2_S2_S2_EEvT3_20rocsparse_direction_NS_24const_host_device_scalarIT1_EES3_PKS3_PKT2_SC_S9_PKT4_PKT5_S7_PT6_21rocsparse_index_base_b.has_dyn_sized_stack, 0
	.set _ZN9rocsparseL18bsrxmvn_4x4_kernelILj128ELj8E21rocsparse_complex_numIdEliS2_S2_S2_EEvT3_20rocsparse_direction_NS_24const_host_device_scalarIT1_EES3_PKS3_PKT2_SC_S9_PKT4_PKT5_S7_PT6_21rocsparse_index_base_b.has_recursion, 0
	.set _ZN9rocsparseL18bsrxmvn_4x4_kernelILj128ELj8E21rocsparse_complex_numIdEliS2_S2_S2_EEvT3_20rocsparse_direction_NS_24const_host_device_scalarIT1_EES3_PKS3_PKT2_SC_S9_PKT4_PKT5_S7_PT6_21rocsparse_index_base_b.has_indirect_call, 0
	.section	.AMDGPU.csdata,"",@progbits
; Kernel info:
; codeLenInByte = 10716
; TotalNumSgprs: 18
; NumVgprs: 178
; ScratchSize: 0
; MemoryBound: 1
; FloatMode: 240
; IeeeMode: 1
; LDSByteSize: 0 bytes/workgroup (compile time only)
; SGPRBlocks: 0
; VGPRBlocks: 22
; NumSGPRsForWavesPerEU: 18
; NumVGPRsForWavesPerEU: 178
; Occupancy: 5
; WaveLimiterHint : 1
; COMPUTE_PGM_RSRC2:SCRATCH_EN: 0
; COMPUTE_PGM_RSRC2:USER_SGPR: 6
; COMPUTE_PGM_RSRC2:TRAP_HANDLER: 0
; COMPUTE_PGM_RSRC2:TGID_X_EN: 1
; COMPUTE_PGM_RSRC2:TGID_Y_EN: 0
; COMPUTE_PGM_RSRC2:TGID_Z_EN: 0
; COMPUTE_PGM_RSRC2:TIDIG_COMP_CNT: 0
	.section	.text._ZN9rocsparseL18bsrxmvn_4x4_kernelILj128ELj16E21rocsparse_complex_numIdEliS2_S2_S2_EEvT3_20rocsparse_direction_NS_24const_host_device_scalarIT1_EES3_PKS3_PKT2_SC_S9_PKT4_PKT5_S7_PT6_21rocsparse_index_base_b,"axG",@progbits,_ZN9rocsparseL18bsrxmvn_4x4_kernelILj128ELj16E21rocsparse_complex_numIdEliS2_S2_S2_EEvT3_20rocsparse_direction_NS_24const_host_device_scalarIT1_EES3_PKS3_PKT2_SC_S9_PKT4_PKT5_S7_PT6_21rocsparse_index_base_b,comdat
	.globl	_ZN9rocsparseL18bsrxmvn_4x4_kernelILj128ELj16E21rocsparse_complex_numIdEliS2_S2_S2_EEvT3_20rocsparse_direction_NS_24const_host_device_scalarIT1_EES3_PKS3_PKT2_SC_S9_PKT4_PKT5_S7_PT6_21rocsparse_index_base_b ; -- Begin function _ZN9rocsparseL18bsrxmvn_4x4_kernelILj128ELj16E21rocsparse_complex_numIdEliS2_S2_S2_EEvT3_20rocsparse_direction_NS_24const_host_device_scalarIT1_EES3_PKS3_PKT2_SC_S9_PKT4_PKT5_S7_PT6_21rocsparse_index_base_b
	.p2align	8
	.type	_ZN9rocsparseL18bsrxmvn_4x4_kernelILj128ELj16E21rocsparse_complex_numIdEliS2_S2_S2_EEvT3_20rocsparse_direction_NS_24const_host_device_scalarIT1_EES3_PKS3_PKT2_SC_S9_PKT4_PKT5_S7_PT6_21rocsparse_index_base_b,@function
_ZN9rocsparseL18bsrxmvn_4x4_kernelILj128ELj16E21rocsparse_complex_numIdEliS2_S2_S2_EEvT3_20rocsparse_direction_NS_24const_host_device_scalarIT1_EES3_PKS3_PKT2_SC_S9_PKT4_PKT5_S7_PT6_21rocsparse_index_base_b: ; @_ZN9rocsparseL18bsrxmvn_4x4_kernelILj128ELj16E21rocsparse_complex_numIdEliS2_S2_S2_EEvT3_20rocsparse_direction_NS_24const_host_device_scalarIT1_EES3_PKS3_PKT2_SC_S9_PKT4_PKT5_S7_PT6_21rocsparse_index_base_b
; %bb.0:
	s_clause 0x1
	s_load_dwordx2 s[2:3], s[4:5], 0x68
	s_load_dwordx2 s[0:1], s[4:5], 0x8
	s_add_u32 s7, s4, 8
	s_addc_u32 s10, s5, 0
	s_add_u32 s11, s4, 0x50
	s_addc_u32 s12, s5, 0
	s_load_dwordx2 s[8:9], s[4:5], 0x50
	s_waitcnt lgkmcnt(0)
	s_bitcmp1_b32 s3, 0
	s_cselect_b32 s0, s7, s0
	s_cselect_b32 s1, s10, s1
	v_mov_b32_e32 v1, s0
	v_mov_b32_e32 v2, s1
	s_cselect_b32 s0, s11, s8
	s_cselect_b32 s1, s12, s9
	flat_load_dwordx4 v[5:8], v[1:2]
	v_mov_b32_e32 v1, s0
	v_mov_b32_e32 v2, s1
	flat_load_dwordx4 v[1:4], v[1:2]
	s_waitcnt vmcnt(1) lgkmcnt(1)
	v_cmp_eq_f64_e32 vcc_lo, 0, v[5:6]
	v_cmp_eq_f64_e64 s0, 0, v[7:8]
	s_and_b32 s3, vcc_lo, s0
	s_mov_b32 s0, -1
	s_and_saveexec_b32 s1, s3
	s_cbranch_execz .LBB37_2
; %bb.1:
	s_waitcnt vmcnt(0) lgkmcnt(0)
	v_cmp_neq_f64_e32 vcc_lo, 1.0, v[1:2]
	v_cmp_neq_f64_e64 s0, 0, v[3:4]
	s_or_b32 s0, vcc_lo, s0
	s_orn2_b32 s0, s0, exec_lo
.LBB37_2:
	s_or_b32 exec_lo, exec_lo, s1
	s_and_saveexec_b32 s1, s0
	s_cbranch_execz .LBB37_8
; %bb.3:
	s_clause 0x1
	s_load_dwordx2 s[8:9], s[4:5], 0x20
	s_load_dwordx2 s[0:1], s[4:5], 0x0
	v_lshrrev_b32_e32 v9, 4, v0
	v_lshl_or_b32 v77, s6, 3, v9
	s_waitcnt lgkmcnt(0)
	s_cmp_lg_u64 s[8:9], 0
	s_cbranch_scc0 .LBB37_9
; %bb.4:
	s_load_dword s3, s[4:5], 0x18
	s_mov_b32 s6, 0
                                        ; implicit-def: $vgpr9
	s_waitcnt lgkmcnt(0)
	v_cmp_gt_i32_e32 vcc_lo, s3, v77
	s_mov_b32 s3, 0
	s_and_saveexec_b32 s7, vcc_lo
	s_xor_b32 s7, exec_lo, s7
	s_cbranch_execz .LBB37_6
; %bb.5:
	v_ashrrev_i32_e32 v78, 31, v77
	s_mov_b32 s3, exec_lo
	v_lshlrev_b64 v[9:10], 2, v[77:78]
	v_add_co_u32 v9, vcc_lo, s8, v9
	v_add_co_ci_u32_e64 v10, null, s9, v10, vcc_lo
	global_load_dword v9, v[9:10], off
	s_waitcnt vmcnt(0)
	v_subrev_nc_u32_e32 v9, s2, v9
.LBB37_6:
	s_or_b32 exec_lo, exec_lo, s7
	s_and_b32 vcc_lo, exec_lo, s6
	s_cbranch_vccz .LBB37_10
.LBB37_7:
	v_cmp_gt_i32_e32 vcc_lo, s0, v77
	s_andn2_b32 s0, s3, exec_lo
	s_and_b32 s3, vcc_lo, exec_lo
	s_or_b32 s3, s0, s3
	s_and_b32 exec_lo, exec_lo, s3
	s_cbranch_execnz .LBB37_11
.LBB37_8:
	s_endpgm
.LBB37_9:
	s_mov_b32 s3, 0
                                        ; implicit-def: $vgpr9
	s_cbranch_execnz .LBB37_7
.LBB37_10:
	v_mov_b32_e32 v77, v9
	s_and_b32 exec_lo, exec_lo, s3
	s_cbranch_execz .LBB37_8
.LBB37_11:
	s_load_dwordx8 s[8:15], s[4:5], 0x28
	v_ashrrev_i32_e32 v78, 31, v77
	v_and_b32_e32 v0, 15, v0
	s_load_dwordx2 s[6:7], s[4:5], 0x48
	v_lshlrev_b64 v[9:10], 3, v[77:78]
	s_waitcnt lgkmcnt(0)
	v_add_co_u32 v11, vcc_lo, s8, v9
	v_add_co_ci_u32_e64 v12, null, s9, v10, vcc_lo
	v_add_co_u32 v9, vcc_lo, s10, v9
	v_add_co_ci_u32_e64 v10, null, s11, v10, vcc_lo
	;; [unrolled: 2-line block ×3, first 2 shown]
	global_load_dwordx2 v[100:101], v[11:12], off
	s_cmp_eq_u64 s[10:11], 0
	s_cselect_b32 vcc_lo, -1, 0
	s_cmp_eq_u32 s1, 1
	v_cndmask_b32_e32 v10, v10, v14, vcc_lo
	v_cndmask_b32_e32 v9, v9, v13, vcc_lo
	global_load_dwordx2 v[9:10], v[9:10], off
	s_waitcnt vmcnt(1)
	v_sub_co_u32 v11, vcc_lo, v100, s2
	v_subrev_co_ci_u32_e64 v12, null, 0, v101, vcc_lo
	v_add_co_u32 v78, vcc_lo, v11, v0
	v_add_co_ci_u32_e64 v79, null, 0, v12, vcc_lo
	s_waitcnt vmcnt(0)
	v_sub_co_u32 v80, vcc_lo, v9, s2
	v_subrev_co_ci_u32_e64 v81, null, 0, v10, vcc_lo
	v_lshlrev_b64 v[9:10], 8, v[78:79]
	v_cmp_lt_i64_e64 s0, v[78:79], v[80:81]
	v_add_co_u32 v82, vcc_lo, s14, v9
	v_add_co_ci_u32_e64 v83, null, s15, v10, vcc_lo
	s_cbranch_scc1 .LBB37_23
; %bb.12:
	v_mov_b32_e32 v94, 0
	v_mov_b32_e32 v96, 0
	;; [unrolled: 1-line block ×16, first 2 shown]
	s_and_saveexec_b32 s3, s0
	s_cbranch_execz .LBB37_22
; %bb.13:
	v_or_b32_e32 v9, 16, v0
	v_not_b32_e32 v13, v100
	v_not_b32_e32 v11, v101
	v_mov_b32_e32 v88, 0
	v_mov_b32_e32 v98, 0
	v_sub_co_u32 v9, s1, v9, s2
	v_sub_co_ci_u32_e64 v10, null, 0, 0, s1
	v_sub_co_u32 v14, s1, s2, v0
	v_add_co_u32 v9, vcc_lo, v9, v100
	v_add_co_ci_u32_e64 v10, null, v10, v101, vcc_lo
	v_sub_co_ci_u32_e64 v15, null, 0, 0, s1
	v_add_co_u32 v13, s1, v14, v13
	v_cmp_gt_i64_e32 vcc_lo, v[9:10], v[80:81]
	v_add_co_ci_u32_e64 v11, null, v15, v11, s1
	v_mov_b32_e32 v90, 0
	v_mov_b32_e32 v92, 0
	;; [unrolled: 1-line block ×3, first 2 shown]
	v_cndmask_b32_e32 v9, v80, v9, vcc_lo
	v_cndmask_b32_e32 v10, v81, v10, vcc_lo
	v_mov_b32_e32 v84, 0
	v_mov_b32_e32 v96, 0
	;; [unrolled: 1-line block ×3, first 2 shown]
	v_add_co_u32 v9, vcc_lo, v13, v9
	v_mov_b32_e32 v105, v83
	v_mov_b32_e32 v103, v79
	;; [unrolled: 1-line block ×7, first 2 shown]
	v_add_co_ci_u32_e64 v10, null, v11, v10, vcc_lo
	v_and_b32_e32 v11, 48, v9
	v_mov_b32_e32 v87, 0
	v_mov_b32_e32 v85, 0
	;; [unrolled: 1-line block ×6, first 2 shown]
	s_mov_b32 s8, exec_lo
	v_cmpx_ne_u64_e32 48, v[11:12]
	s_cbranch_execz .LBB37_17
; %bb.14:
	v_lshrrev_b32_e32 v13, 4, v9
	v_lshlrev_b64 v[11:12], 2, v[78:79]
	v_mov_b32_e32 v94, 0
	v_mov_b32_e32 v103, v79
	v_mov_b32_e32 v96, 0
	v_add_nc_u32_e32 v13, 1, v13
	v_mov_b32_e32 v84, 0
	v_add_co_u32 v11, vcc_lo, s12, v11
	v_mov_b32_e32 v86, 0
	v_and_b32_e32 v13, 3, v13
	v_mov_b32_e32 v92, 0
	v_mov_b32_e32 v90, 0
	;; [unrolled: 1-line block ×4, first 2 shown]
	v_sub_co_u32 v13, s1, 0, v13
	v_mov_b32_e32 v105, v83
	v_mov_b32_e32 v95, 0
	;; [unrolled: 1-line block ×5, first 2 shown]
	v_add_co_ci_u32_e64 v12, null, s13, v12, vcc_lo
	v_sub_co_ci_u32_e64 v14, null, 0, 0, s1
	v_mov_b32_e32 v87, 0
	v_mov_b32_e32 v93, 0
	;; [unrolled: 1-line block ×6, first 2 shown]
	s_mov_b32 s9, 0
.LBB37_15:                              ; =>This Inner Loop Header: Depth=1
	global_load_dword v43, v[11:12], off
	s_clause 0x6
	global_load_dwordx4 v[15:18], v[104:105], off offset:16
	global_load_dwordx4 v[19:22], v[104:105], off
	global_load_dwordx4 v[23:26], v[104:105], off offset:80
	global_load_dwordx4 v[27:30], v[104:105], off offset:64
	;; [unrolled: 1-line block ×5, first 2 shown]
	v_add_co_u32 v11, s1, v11, 64
	v_add_co_ci_u32_e64 v12, null, 0, v12, s1
	s_waitcnt vmcnt(7)
	v_subrev_nc_u32_e32 v43, s2, v43
	v_lshlrev_b32_e32 v43, 2, v43
	v_ashrrev_i32_e32 v44, 31, v43
	v_lshlrev_b64 v[43:44], 4, v[43:44]
	v_add_co_u32 v75, vcc_lo, s6, v43
	v_add_co_ci_u32_e64 v76, null, s7, v44, vcc_lo
	global_load_dwordx4 v[43:46], v[75:76], off
	global_load_dwordx4 v[47:50], v[104:105], off offset:208
	global_load_dwordx4 v[51:54], v[75:76], off offset:16
	s_clause 0x6
	global_load_dwordx4 v[55:58], v[104:105], off offset:48
	global_load_dwordx4 v[59:62], v[104:105], off offset:32
	;; [unrolled: 1-line block ×10, first 2 shown]
	v_add_co_u32 v104, vcc_lo, 0x1000, v104
	v_add_co_ci_u32_e64 v105, null, 0, v105, vcc_lo
	v_add_co_u32 v13, vcc_lo, v13, 1
	v_add_co_ci_u32_e64 v14, null, 0, v14, vcc_lo
	;; [unrolled: 2-line block ×3, first 2 shown]
	v_cmp_eq_u64_e32 vcc_lo, 0, v[13:14]
	s_or_b32 s9, vcc_lo, s9
	s_waitcnt vmcnt(12)
	v_fma_f64 v[75:76], v[19:20], v[43:44], v[96:97]
	v_fma_f64 v[94:95], v[21:22], v[43:44], v[94:95]
	v_fma_f64 v[96:97], v[27:28], v[43:44], v[98:99]
	v_fma_f64 v[88:89], v[29:30], v[43:44], v[88:89]
	v_fma_f64 v[92:93], v[35:36], v[43:44], v[92:93]
	v_fma_f64 v[90:91], v[37:38], v[43:44], v[90:91]
	v_fma_f64 v[84:85], v[39:40], v[43:44], v[84:85]
	v_fma_f64 v[43:44], v[41:42], v[43:44], v[86:87]
	v_fma_f64 v[21:22], -v[21:22], v[45:46], v[75:76]
	v_fma_f64 v[19:20], v[19:20], v[45:46], v[94:95]
	v_fma_f64 v[29:30], -v[29:30], v[45:46], v[96:97]
	v_fma_f64 v[27:28], v[27:28], v[45:46], v[88:89]
	v_fma_f64 v[37:38], -v[37:38], v[45:46], v[92:93]
	v_fma_f64 v[35:36], v[35:36], v[45:46], v[90:91]
	v_fma_f64 v[41:42], -v[41:42], v[45:46], v[84:85]
	v_fma_f64 v[39:40], v[39:40], v[45:46], v[43:44]
	s_waitcnt vmcnt(10)
	v_fma_f64 v[21:22], v[15:16], v[51:52], v[21:22]
	v_fma_f64 v[19:20], v[17:18], v[51:52], v[19:20]
	v_fma_f64 v[29:30], v[23:24], v[51:52], v[29:30]
	v_fma_f64 v[27:28], v[25:26], v[51:52], v[27:28]
	v_fma_f64 v[37:38], v[31:32], v[51:52], v[37:38]
	v_fma_f64 v[35:36], v[33:34], v[51:52], v[35:36]
	v_fma_f64 v[41:42], v[47:48], v[51:52], v[41:42]
	v_fma_f64 v[39:40], v[49:50], v[51:52], v[39:40]
	v_fma_f64 v[17:18], -v[17:18], v[53:54], v[21:22]
	v_fma_f64 v[15:16], v[15:16], v[53:54], v[19:20]
	v_fma_f64 v[19:20], -v[25:26], v[53:54], v[29:30]
	v_fma_f64 v[21:22], v[23:24], v[53:54], v[27:28]
	v_fma_f64 v[23:24], -v[33:34], v[53:54], v[37:38]
	v_fma_f64 v[25:26], v[31:32], v[53:54], v[35:36]
	v_fma_f64 v[27:28], -v[49:50], v[53:54], v[41:42]
	v_fma_f64 v[29:30], v[47:48], v[53:54], v[39:40]
	;; [unrolled: 17-line block ×4, first 2 shown]
	s_andn2_b32 exec_lo, exec_lo, s9
	s_cbranch_execnz .LBB37_15
; %bb.16:
	s_or_b32 exec_lo, exec_lo, s9
.LBB37_17:
	s_or_b32 exec_lo, exec_lo, s8
	s_mov_b32 s8, exec_lo
	v_cmpx_lt_u64_e32 47, v[9:10]
	s_cbranch_execz .LBB37_21
; %bb.18:
	v_lshlrev_b64 v[9:10], 2, v[102:103]
	s_mov_b32 s9, 0
	v_add_co_u32 v9, vcc_lo, s12, v9
	v_add_co_ci_u32_e64 v10, null, s13, v10, vcc_lo
	v_add_co_u32 v106, vcc_lo, 0x80, v9
	v_add_co_ci_u32_e64 v107, null, 0, v10, vcc_lo
.LBB37_19:                              ; =>This Inner Loop Header: Depth=1
	global_load_dword v111, v[106:107], off offset:-128
	s_clause 0xf
	global_load_dwordx4 v[9:12], v[104:105], off offset:48
	global_load_dwordx4 v[13:16], v[104:105], off offset:32
	;; [unrolled: 1-line block ×3, first 2 shown]
	global_load_dwordx4 v[41:44], v[104:105], off
	global_load_dwordx4 v[17:20], v[104:105], off offset:112
	global_load_dwordx4 v[33:36], v[104:105], off offset:96
	global_load_dwordx4 v[45:48], v[104:105], off offset:80
	global_load_dwordx4 v[57:60], v[104:105], off offset:64
	global_load_dwordx4 v[21:24], v[104:105], off offset:176
	global_load_dwordx4 v[37:40], v[104:105], off offset:160
	global_load_dwordx4 v[53:56], v[104:105], off offset:144
	global_load_dwordx4 v[65:68], v[104:105], off offset:128
	global_load_dwordx4 v[29:32], v[104:105], off offset:240
	global_load_dwordx4 v[49:52], v[104:105], off offset:224
	global_load_dwordx4 v[61:64], v[104:105], off offset:208
	global_load_dwordx4 v[73:76], v[104:105], off offset:192
	s_clause 0x2
	global_load_dword v177, v[106:107], off offset:-64
	global_load_dword v110, v[106:107], off
	global_load_dword v112, v[106:107], off offset:64
	v_add_co_u32 v165, vcc_lo, 0x1000, v104
	v_add_co_ci_u32_e64 v166, null, 0, v105, vcc_lo
	v_add_co_u32 v167, vcc_lo, 0x2000, v104
	v_add_co_ci_u32_e64 v168, null, 0, v105, vcc_lo
	;; [unrolled: 2-line block ×3, first 2 shown]
	s_clause 0xb
	global_load_dwordx4 v[113:116], v[165:166], off offset:48
	global_load_dwordx4 v[117:120], v[165:166], off offset:32
	global_load_dwordx4 v[121:124], v[165:166], off
	global_load_dwordx4 v[125:128], v[165:166], off offset:16
	global_load_dwordx4 v[129:132], v[165:166], off offset:112
	;; [unrolled: 1-line block ×9, first 2 shown]
	v_add_co_u32 v104, s1, 0x4000, v104
	v_add_co_ci_u32_e64 v105, null, 0, v105, s1
	s_waitcnt vmcnt(31)
	v_subrev_nc_u32_e32 v111, s2, v111
	v_lshlrev_b32_e32 v157, 2, v111
	v_ashrrev_i32_e32 v158, 31, v157
	v_lshlrev_b64 v[157:158], 4, v[157:158]
	v_add_co_u32 v169, vcc_lo, s6, v157
	v_add_co_ci_u32_e64 v170, null, s7, v158, vcc_lo
	s_clause 0x1
	global_load_dwordx4 v[157:160], v[169:170], off
	global_load_dwordx4 v[161:164], v[169:170], off offset:16
	s_waitcnt vmcnt(1)
	v_fma_f64 v[96:97], v[41:42], v[157:158], v[96:97]
	v_fma_f64 v[94:95], v[43:44], v[157:158], v[94:95]
	;; [unrolled: 1-line block ×8, first 2 shown]
	v_fma_f64 v[43:44], -v[43:44], v[159:160], v[96:97]
	v_fma_f64 v[41:42], v[41:42], v[159:160], v[94:95]
	v_fma_f64 v[98:99], -v[59:60], v[159:160], v[98:99]
	v_fma_f64 v[88:89], v[57:58], v[159:160], v[88:89]
	s_clause 0x1
	global_load_dwordx4 v[94:97], v[165:166], off offset:240
	global_load_dwordx4 v[57:60], v[165:166], off offset:224
	v_fma_f64 v[92:93], -v[67:68], v[159:160], v[92:93]
	v_fma_f64 v[90:91], v[65:66], v[159:160], v[90:91]
	global_load_dwordx4 v[65:68], v[165:166], off offset:208
	v_fma_f64 v[157:158], -v[75:76], v[159:160], v[84:85]
	v_fma_f64 v[159:160], v[73:74], v[159:160], v[86:87]
	s_clause 0x1
	global_load_dwordx4 v[73:76], v[165:166], off offset:192
	global_load_dwordx4 v[84:87], v[167:168], off
	s_waitcnt vmcnt(5)
	v_fma_f64 v[43:44], v[25:26], v[161:162], v[43:44]
	v_fma_f64 v[41:42], v[27:28], v[161:162], v[41:42]
	v_fma_f64 v[165:166], -v[27:28], v[163:164], v[43:44]
	v_fma_f64 v[171:172], v[25:26], v[163:164], v[41:42]
	v_fma_f64 v[41:42], v[45:46], v[161:162], v[98:99]
	v_fma_f64 v[43:44], v[47:48], v[161:162], v[88:89]
	global_load_dwordx4 v[25:28], v[167:168], off offset:48
	v_fma_f64 v[98:99], -v[47:48], v[163:164], v[41:42]
	v_fma_f64 v[173:174], v[45:46], v[163:164], v[43:44]
	v_fma_f64 v[45:46], v[53:54], v[161:162], v[92:93]
	v_fma_f64 v[47:48], v[55:56], v[161:162], v[90:91]
	global_load_dwordx4 v[41:44], v[167:168], off offset:32
	;; [unrolled: 5-line block ×3, first 2 shown]
	v_fma_f64 v[157:158], -v[63:64], v[163:164], v[45:46]
	v_fma_f64 v[159:160], v[61:62], v[163:164], v[47:48]
	global_load_dwordx4 v[45:48], v[167:168], off offset:112
	s_clause 0x1
	global_load_dwordx4 v[61:64], v[169:170], off offset:32
	global_load_dwordx4 v[88:91], v[169:170], off offset:48
	s_waitcnt vmcnt(1)
	v_fma_f64 v[161:162], v[13:14], v[61:62], v[165:166]
	v_fma_f64 v[163:164], v[15:16], v[61:62], v[171:172]
	;; [unrolled: 1-line block ×8, first 2 shown]
	v_fma_f64 v[161:162], -v[15:16], v[63:64], v[161:162]
	v_fma_f64 v[163:164], v[13:14], v[63:64], v[163:164]
	v_fma_f64 v[98:99], -v[35:36], v[63:64], v[98:99]
	v_fma_f64 v[165:166], v[33:34], v[63:64], v[165:166]
	v_fma_f64 v[92:93], -v[39:40], v[63:64], v[92:93]
	v_fma_f64 v[169:170], v[37:38], v[63:64], v[169:170]
	v_fma_f64 v[157:158], -v[51:52], v[63:64], v[157:158]
	v_fma_f64 v[159:160], v[49:50], v[63:64], v[61:62]
	v_subrev_nc_u32_e32 v61, s2, v177
	s_clause 0x3
	global_load_dwordx4 v[13:16], v[167:168], off offset:96
	global_load_dwordx4 v[33:36], v[167:168], off offset:80
	;; [unrolled: 1-line block ×4, first 2 shown]
	v_lshlrev_b32_e32 v61, 2, v61
	v_ashrrev_i32_e32 v62, 31, v61
	s_waitcnt vmcnt(4)
	v_fma_f64 v[161:162], v[9:10], v[88:89], v[161:162]
	v_fma_f64 v[163:164], v[11:12], v[88:89], v[163:164]
	;; [unrolled: 1-line block ×8, first 2 shown]
	v_lshlrev_b64 v[61:62], 4, v[61:62]
	v_add_co_u32 v171, vcc_lo, s6, v61
	v_add_co_ci_u32_e64 v172, null, s7, v62, vcc_lo
	global_load_dwordx4 v[61:64], v[167:168], off offset:160
	v_fma_f64 v[161:162], -v[11:12], v[90:91], v[161:162]
	v_fma_f64 v[163:164], v[9:10], v[90:91], v[163:164]
	global_load_dwordx4 v[9:12], v[167:168], off offset:144
	v_fma_f64 v[98:99], -v[19:20], v[90:91], v[98:99]
	v_fma_f64 v[165:166], v[17:18], v[90:91], v[165:166]
	;; [unrolled: 3-line block ×4, first 2 shown]
	s_clause 0x1
	global_load_dwordx4 v[29:32], v[171:172], off
	global_load_dwordx4 v[88:91], v[171:172], off offset:16
	s_waitcnt vmcnt(1)
	v_fma_f64 v[161:162], v[121:122], v[29:30], v[161:162]
	v_fma_f64 v[163:164], v[123:124], v[29:30], v[163:164]
	;; [unrolled: 1-line block ×8, first 2 shown]
	v_fma_f64 v[161:162], -v[123:124], v[31:32], v[161:162]
	v_fma_f64 v[163:164], v[121:122], v[31:32], v[163:164]
	v_fma_f64 v[98:99], -v[143:144], v[31:32], v[98:99]
	v_fma_f64 v[165:166], v[141:142], v[31:32], v[165:166]
	;; [unrolled: 2-line block ×4, first 2 shown]
	s_clause 0x4
	global_load_dwordx4 v[121:124], v[167:168], off offset:224
	global_load_dwordx4 v[141:144], v[167:168], off offset:208
	;; [unrolled: 1-line block ×3, first 2 shown]
	global_load_dwordx4 v[29:32], v[108:109], off
	global_load_dwordx4 v[73:76], v[108:109], off offset:48
	s_waitcnt vmcnt(5)
	v_fma_f64 v[161:162], v[125:126], v[88:89], v[161:162]
	v_fma_f64 v[163:164], v[127:128], v[88:89], v[163:164]
	;; [unrolled: 1-line block ×8, first 2 shown]
	v_fma_f64 v[161:162], -v[127:128], v[90:91], v[161:162]
	v_fma_f64 v[163:164], v[125:126], v[90:91], v[163:164]
	global_load_dwordx4 v[125:128], v[108:109], off offset:32
	v_fma_f64 v[98:99], -v[139:140], v[90:91], v[98:99]
	v_fma_f64 v[165:166], v[137:138], v[90:91], v[165:166]
	global_load_dwordx4 v[137:140], v[108:109], off offset:16
	v_fma_f64 v[92:93], -v[151:152], v[90:91], v[92:93]
	v_fma_f64 v[167:168], v[149:150], v[90:91], v[167:168]
	global_load_dwordx4 v[149:152], v[108:109], off offset:112
	v_fma_f64 v[169:170], -v[67:68], v[90:91], v[157:158]
	v_fma_f64 v[173:174], v[65:66], v[90:91], v[88:89]
	global_load_dwordx4 v[65:68], v[108:109], off offset:96
	s_clause 0x1
	global_load_dwordx4 v[88:91], v[171:172], off offset:32
	global_load_dwordx4 v[157:160], v[171:172], off offset:48
	v_subrev_nc_u32_e32 v171, s2, v110
	s_waitcnt vmcnt(1)
	v_fma_f64 v[161:162], v[117:118], v[88:89], v[161:162]
	v_fma_f64 v[163:164], v[119:120], v[88:89], v[163:164]
	;; [unrolled: 1-line block ×8, first 2 shown]
	v_fma_f64 v[161:162], -v[119:120], v[90:91], v[161:162]
	v_fma_f64 v[163:164], v[117:118], v[90:91], v[163:164]
	v_fma_f64 v[98:99], -v[135:136], v[90:91], v[98:99]
	v_fma_f64 v[165:166], v[133:134], v[90:91], v[165:166]
	;; [unrolled: 2-line block ×4, first 2 shown]
	v_lshlrev_b32_e32 v57, 2, v171
	s_clause 0x2
	global_load_dwordx4 v[117:120], v[108:109], off offset:80
	global_load_dwordx4 v[133:136], v[108:109], off offset:64
	;; [unrolled: 1-line block ×3, first 2 shown]
	v_ashrrev_i32_e32 v58, 31, v57
	v_lshlrev_b64 v[57:58], 4, v[57:58]
	s_waitcnt vmcnt(3)
	v_fma_f64 v[88:89], v[113:114], v[157:158], v[161:162]
	v_fma_f64 v[90:91], v[115:116], v[157:158], v[163:164]
	v_add_co_u32 v171, vcc_lo, s6, v57
	v_add_co_ci_u32_e64 v172, null, s7, v58, vcc_lo
	v_fma_f64 v[98:99], v[129:130], v[157:158], v[98:99]
	v_fma_f64 v[92:93], v[69:70], v[157:158], v[92:93]
	global_load_dwordx4 v[57:60], v[171:172], off
	v_fma_f64 v[161:162], -v[115:116], v[159:160], v[88:89]
	v_fma_f64 v[163:164], v[113:114], v[159:160], v[90:91]
	global_load_dwordx4 v[88:91], v[171:172], off offset:16
	v_fma_f64 v[113:114], v[131:132], v[157:158], v[165:166]
	v_fma_f64 v[165:166], -v[131:132], v[159:160], v[98:99]
	v_fma_f64 v[98:99], v[71:72], v[157:158], v[167:168]
	v_fma_f64 v[167:168], -v[71:72], v[159:160], v[92:93]
	v_fma_f64 v[92:93], v[94:95], v[157:158], v[110:111]
	v_fma_f64 v[173:174], v[129:130], v[159:160], v[113:114]
	global_load_dwordx4 v[113:116], v[171:172], off offset:32
	v_fma_f64 v[175:176], v[69:70], v[159:160], v[98:99]
	v_fma_f64 v[98:99], v[96:97], v[157:158], v[169:170]
	v_fma_f64 v[110:111], -v[96:97], v[159:160], v[92:93]
	v_subrev_nc_u32_e32 v96, s2, v112
	global_load_dwordx4 v[69:72], v[108:109], off offset:128
	v_lshlrev_b32_e32 v129, 2, v96
	v_ashrrev_i32_e32 v130, 31, v129
	v_lshlrev_b64 v[129:130], 4, v[129:130]
	v_fma_f64 v[157:158], v[94:95], v[159:160], v[98:99]
	global_load_dwordx4 v[96:99], v[171:172], off offset:48
	v_add_co_u32 v159, vcc_lo, s6, v129
	v_add_co_ci_u32_e64 v160, null, s7, v130, vcc_lo
	s_clause 0x1
	global_load_dwordx4 v[129:132], v[108:109], off offset:192
	global_load_dwordx4 v[92:95], v[108:109], off offset:208
	v_add_co_u32 v102, vcc_lo, v102, 64
	v_add_co_ci_u32_e64 v103, null, 0, v103, vcc_lo
	v_add_co_u32 v106, vcc_lo, 0x100, v106
	v_add_co_ci_u32_e64 v107, null, 0, v107, vcc_lo
	v_cmp_ge_i64_e32 vcc_lo, v[102:103], v[80:81]
	s_or_b32 s9, vcc_lo, s9
	s_waitcnt vmcnt(6)
	v_fma_f64 v[161:162], v[84:85], v[57:58], v[161:162]
	v_fma_f64 v[163:164], v[86:87], v[57:58], v[163:164]
	;; [unrolled: 1-line block ×8, first 2 shown]
	v_fma_f64 v[161:162], -v[86:87], v[59:60], v[161:162]
	v_fma_f64 v[163:164], v[84:85], v[59:60], v[163:164]
	global_load_dwordx4 v[84:87], v[159:160], off
	v_fma_f64 v[165:166], -v[39:40], v[59:60], v[165:166]
	v_fma_f64 v[169:170], v[37:38], v[59:60], v[169:170]
	global_load_dwordx4 v[37:40], v[159:160], off offset:16
	v_fma_f64 v[167:168], -v[19:20], v[59:60], v[167:168]
	v_fma_f64 v[171:172], v[17:18], v[59:60], v[171:172]
	global_load_dwordx4 v[17:20], v[108:109], off offset:160
	;; [unrolled: 3-line block ×3, first 2 shown]
	global_load_dwordx4 v[153:156], v[159:160], off offset:32
	s_waitcnt vmcnt(10)
	v_fma_f64 v[110:111], v[53:54], v[88:89], v[161:162]
	v_fma_f64 v[161:162], v[55:56], v[88:89], v[163:164]
	;; [unrolled: 1-line block ×3, first 2 shown]
	v_fma_f64 v[163:164], -v[55:56], v[90:91], v[110:111]
	v_fma_f64 v[110:111], v[33:34], v[88:89], v[165:166]
	v_fma_f64 v[165:166], v[35:36], v[88:89], v[169:170]
	;; [unrolled: 1-line block ×3, first 2 shown]
	global_load_dwordx4 v[53:56], v[108:109], off offset:176
	v_fma_f64 v[169:170], -v[35:36], v[90:91], v[110:111]
	v_fma_f64 v[165:166], v[33:34], v[90:91], v[165:166]
	global_load_dwordx4 v[33:36], v[108:109], off offset:240
	global_load_dwordx4 v[108:111], v[159:160], off offset:48
	v_fma_f64 v[159:160], v[9:10], v[88:89], v[167:168]
	v_fma_f64 v[167:168], v[11:12], v[88:89], v[171:172]
	;; [unrolled: 1-line block ×3, first 2 shown]
	v_fma_f64 v[143:144], -v[143:144], v[90:91], v[157:158]
	s_waitcnt vmcnt(12)
	v_fma_f64 v[157:158], v[13:14], v[113:114], v[169:170]
	v_fma_f64 v[11:12], -v[11:12], v[90:91], v[159:160]
	v_fma_f64 v[9:10], v[9:10], v[90:91], v[167:168]
	v_fma_f64 v[88:89], v[141:142], v[90:91], v[88:89]
	;; [unrolled: 1-line block ×6, first 2 shown]
	v_fma_f64 v[15:16], -v[15:16], v[115:116], v[157:158]
	v_fma_f64 v[11:12], v[61:62], v[113:114], v[11:12]
	v_fma_f64 v[9:10], v[63:64], v[113:114], v[9:10]
	;; [unrolled: 1-line block ×3, first 2 shown]
	v_fma_f64 v[43:44], -v[43:44], v[115:116], v[90:91]
	v_fma_f64 v[41:42], v[41:42], v[115:116], v[141:142]
	v_fma_f64 v[13:14], v[13:14], v[115:116], v[159:160]
	s_waitcnt vmcnt(10)
	v_fma_f64 v[15:16], v[45:46], v[96:97], v[15:16]
	v_fma_f64 v[11:12], -v[63:64], v[115:116], v[11:12]
	v_fma_f64 v[9:10], v[61:62], v[115:116], v[9:10]
	v_fma_f64 v[61:62], -v[123:124], v[115:116], v[143:144]
	v_fma_f64 v[63:64], v[121:122], v[115:116], v[88:89]
	v_fma_f64 v[43:44], v[25:26], v[96:97], v[43:44]
	;; [unrolled: 1-line block ×4, first 2 shown]
	v_fma_f64 v[15:16], -v[47:48], v[98:99], v[15:16]
	v_fma_f64 v[11:12], v[49:50], v[96:97], v[11:12]
	v_fma_f64 v[9:10], v[51:52], v[96:97], v[9:10]
	;; [unrolled: 1-line block ×4, first 2 shown]
	v_fma_f64 v[27:28], -v[27:28], v[98:99], v[43:44]
	v_fma_f64 v[25:26], v[25:26], v[98:99], v[41:42]
	v_fma_f64 v[13:14], v[45:46], v[98:99], v[13:14]
	v_fma_f64 v[11:12], -v[51:52], v[98:99], v[11:12]
	v_fma_f64 v[9:10], v[49:50], v[98:99], v[9:10]
	v_fma_f64 v[23:24], -v[23:24], v[98:99], v[61:62]
	v_fma_f64 v[21:22], v[21:22], v[98:99], v[63:64]
	s_waitcnt vmcnt(7)
	v_fma_f64 v[27:28], v[29:30], v[84:85], v[27:28]
	v_fma_f64 v[25:26], v[31:32], v[84:85], v[25:26]
	v_fma_f64 v[15:16], v[133:134], v[84:85], v[15:16]
	v_fma_f64 v[13:14], v[135:136], v[84:85], v[13:14]
	v_fma_f64 v[11:12], v[69:70], v[84:85], v[11:12]
	v_fma_f64 v[9:10], v[71:72], v[84:85], v[9:10]
	v_fma_f64 v[23:24], v[129:130], v[84:85], v[23:24]
	v_fma_f64 v[21:22], v[131:132], v[84:85], v[21:22]
	v_fma_f64 v[27:28], -v[31:32], v[86:87], v[27:28]
	v_fma_f64 v[25:26], v[29:30], v[86:87], v[25:26]
	v_fma_f64 v[15:16], -v[135:136], v[86:87], v[15:16]
	v_fma_f64 v[13:14], v[133:134], v[86:87], v[13:14]
	v_fma_f64 v[11:12], -v[71:72], v[86:87], v[11:12]
	v_fma_f64 v[9:10], v[69:70], v[86:87], v[9:10]
	v_fma_f64 v[23:24], -v[131:132], v[86:87], v[23:24]
	v_fma_f64 v[21:22], v[129:130], v[86:87], v[21:22]
	s_waitcnt vmcnt(6)
	v_fma_f64 v[27:28], v[137:138], v[37:38], v[27:28]
	v_fma_f64 v[25:26], v[139:140], v[37:38], v[25:26]
	v_fma_f64 v[15:16], v[117:118], v[37:38], v[15:16]
	v_fma_f64 v[13:14], v[119:120], v[37:38], v[13:14]
	v_fma_f64 v[11:12], v[145:146], v[37:38], v[11:12]
	v_fma_f64 v[9:10], v[147:148], v[37:38], v[9:10]
	v_fma_f64 v[23:24], v[92:93], v[37:38], v[23:24]
	v_fma_f64 v[21:22], v[94:95], v[37:38], v[21:22]
	v_fma_f64 v[27:28], -v[139:140], v[39:40], v[27:28]
	v_fma_f64 v[25:26], v[137:138], v[39:40], v[25:26]
	v_fma_f64 v[15:16], -v[119:120], v[39:40], v[15:16]
	;; [unrolled: 17-line block ×4, first 2 shown]
	v_fma_f64 v[88:89], v[149:150], v[110:111], v[13:14]
	v_fma_f64 v[92:93], -v[55:56], v[110:111], v[11:12]
	v_fma_f64 v[90:91], v[53:54], v[110:111], v[9:10]
	v_fma_f64 v[84:85], -v[35:36], v[110:111], v[17:18]
	v_fma_f64 v[86:87], v[33:34], v[110:111], v[19:20]
	s_andn2_b32 exec_lo, exec_lo, s9
	s_cbranch_execnz .LBB37_19
; %bb.20:
	s_or_b32 exec_lo, exec_lo, s9
.LBB37_21:
	s_or_b32 exec_lo, exec_lo, s8
.LBB37_22:
	s_or_b32 exec_lo, exec_lo, s3
	s_cbranch_execz .LBB37_24
	s_branch .LBB37_35
.LBB37_23:
                                        ; implicit-def: $vgpr94_vgpr95
                                        ; implicit-def: $vgpr96_vgpr97
                                        ; implicit-def: $vgpr84_vgpr85
                                        ; implicit-def: $vgpr86_vgpr87
                                        ; implicit-def: $vgpr92_vgpr93
                                        ; implicit-def: $vgpr90_vgpr91
                                        ; implicit-def: $vgpr98_vgpr99
                                        ; implicit-def: $vgpr88_vgpr89
.LBB37_24:
	v_mov_b32_e32 v94, 0
	v_mov_b32_e32 v96, 0
	;; [unrolled: 1-line block ×16, first 2 shown]
	s_and_saveexec_b32 s1, s0
	s_cbranch_execz .LBB37_34
; %bb.25:
	v_or_b32_e32 v9, 16, v0
	v_not_b32_e32 v13, v100
	v_not_b32_e32 v11, v101
	v_mov_b32_e32 v88, 0
	v_mov_b32_e32 v98, 0
	v_sub_co_u32 v9, s0, v9, s2
	v_sub_co_ci_u32_e64 v10, null, 0, 0, s0
	v_sub_co_u32 v14, s0, s2, v0
	v_add_co_u32 v9, vcc_lo, v9, v100
	v_add_co_ci_u32_e64 v10, null, v10, v101, vcc_lo
	v_sub_co_ci_u32_e64 v15, null, 0, 0, s0
	v_add_co_u32 v13, s0, v14, v13
	v_cmp_gt_i64_e32 vcc_lo, v[9:10], v[80:81]
	v_add_co_ci_u32_e64 v11, null, v15, v11, s0
	v_mov_b32_e32 v90, 0
	v_mov_b32_e32 v92, 0
	v_mov_b32_e32 v86, 0
	v_cndmask_b32_e32 v9, v80, v9, vcc_lo
	v_cndmask_b32_e32 v10, v81, v10, vcc_lo
	v_mov_b32_e32 v84, 0
	v_mov_b32_e32 v96, 0
	;; [unrolled: 1-line block ×3, first 2 shown]
	v_add_co_u32 v9, vcc_lo, v13, v9
	v_mov_b32_e32 v12, 0
	v_mov_b32_e32 v89, 0
	;; [unrolled: 1-line block ×4, first 2 shown]
	v_add_co_ci_u32_e64 v10, null, v11, v10, vcc_lo
	v_and_b32_e32 v11, 48, v9
	v_mov_b32_e32 v93, 0
	v_mov_b32_e32 v87, 0
	;; [unrolled: 1-line block ×5, first 2 shown]
	s_mov_b32 s3, exec_lo
	v_cmpx_ne_u64_e32 48, v[11:12]
	s_cbranch_execz .LBB37_29
; %bb.26:
	v_lshrrev_b32_e32 v13, 4, v9
	v_lshlrev_b64 v[11:12], 2, v[78:79]
	v_mov_b32_e32 v94, 0
	v_mov_b32_e32 v96, 0
	;; [unrolled: 1-line block ×3, first 2 shown]
	v_add_nc_u32_e32 v13, 1, v13
	v_mov_b32_e32 v86, 0
	v_add_co_u32 v11, vcc_lo, s12, v11
	v_mov_b32_e32 v92, 0
	v_and_b32_e32 v13, 3, v13
	v_mov_b32_e32 v90, 0
	v_mov_b32_e32 v98, 0
	;; [unrolled: 1-line block ×4, first 2 shown]
	v_sub_co_u32 v13, s0, 0, v13
	v_mov_b32_e32 v97, 0
	v_mov_b32_e32 v85, 0
	v_add_co_ci_u32_e64 v12, null, s13, v12, vcc_lo
	v_mov_b32_e32 v87, 0
	v_mov_b32_e32 v93, 0
	;; [unrolled: 1-line block ×5, first 2 shown]
	v_sub_co_ci_u32_e64 v14, null, 0, 0, s0
	s_mov_b32 s8, 0
.LBB37_27:                              ; =>This Inner Loop Header: Depth=1
	global_load_dword v31, v[11:12], off
	s_clause 0x3
	global_load_dwordx4 v[15:18], v[82:83], off offset:48
	global_load_dwordx4 v[19:22], v[82:83], off offset:32
	;; [unrolled: 1-line block ×3, first 2 shown]
	global_load_dwordx4 v[27:30], v[82:83], off
	v_add_co_u32 v11, s0, v11, 64
	v_add_co_ci_u32_e64 v12, null, 0, v12, s0
	s_waitcnt vmcnt(4)
	v_subrev_nc_u32_e32 v31, s2, v31
	v_lshlrev_b32_e32 v31, 2, v31
	v_ashrrev_i32_e32 v32, 31, v31
	v_lshlrev_b64 v[31:32], 4, v[31:32]
	v_add_co_u32 v75, vcc_lo, s6, v31
	v_add_co_ci_u32_e64 v76, null, s7, v32, vcc_lo
	global_load_dwordx4 v[31:34], v[75:76], off
	s_clause 0x3
	global_load_dwordx4 v[35:38], v[82:83], off offset:64
	global_load_dwordx4 v[39:42], v[82:83], off offset:80
	;; [unrolled: 1-line block ×5, first 2 shown]
	s_clause 0x3
	global_load_dwordx4 v[55:58], v[82:83], off offset:176
	global_load_dwordx4 v[59:62], v[82:83], off offset:160
	;; [unrolled: 1-line block ×4, first 2 shown]
	s_clause 0x1
	global_load_dwordx4 v[71:74], v[75:76], off offset:32
	global_load_dwordx4 v[100:103], v[75:76], off offset:48
	s_clause 0x3
	global_load_dwordx4 v[104:107], v[82:83], off offset:192
	global_load_dwordx4 v[108:111], v[82:83], off offset:208
	;; [unrolled: 1-line block ×4, first 2 shown]
	v_add_co_u32 v82, vcc_lo, 0x1000, v82
	v_add_co_ci_u32_e64 v83, null, 0, v83, vcc_lo
	v_add_co_u32 v13, vcc_lo, v13, 1
	v_add_co_ci_u32_e64 v14, null, 0, v14, vcc_lo
	;; [unrolled: 2-line block ×3, first 2 shown]
	v_cmp_eq_u64_e32 vcc_lo, 0, v[13:14]
	s_or_b32 s8, vcc_lo, s8
	s_waitcnt vmcnt(15)
	v_fma_f64 v[75:76], v[27:28], v[31:32], v[96:97]
	v_fma_f64 v[94:95], v[29:30], v[31:32], v[94:95]
	v_fma_f64 v[96:97], v[23:24], v[31:32], v[98:99]
	v_fma_f64 v[88:89], v[25:26], v[31:32], v[88:89]
	v_fma_f64 v[92:93], v[19:20], v[31:32], v[92:93]
	v_fma_f64 v[90:91], v[21:22], v[31:32], v[90:91]
	v_fma_f64 v[84:85], v[15:16], v[31:32], v[84:85]
	v_fma_f64 v[31:32], v[17:18], v[31:32], v[86:87]
	v_fma_f64 v[29:30], -v[29:30], v[33:34], v[75:76]
	v_fma_f64 v[27:28], v[27:28], v[33:34], v[94:95]
	v_fma_f64 v[25:26], -v[25:26], v[33:34], v[96:97]
	v_fma_f64 v[23:24], v[23:24], v[33:34], v[88:89]
	v_fma_f64 v[21:22], -v[21:22], v[33:34], v[92:93]
	v_fma_f64 v[19:20], v[19:20], v[33:34], v[90:91]
	v_fma_f64 v[17:18], -v[17:18], v[33:34], v[84:85]
	v_fma_f64 v[15:16], v[15:16], v[33:34], v[31:32]
	s_waitcnt vmcnt(10)
	v_fma_f64 v[29:30], v[35:36], v[51:52], v[29:30]
	v_fma_f64 v[27:28], v[37:38], v[51:52], v[27:28]
	v_fma_f64 v[25:26], v[39:40], v[51:52], v[25:26]
	v_fma_f64 v[23:24], v[41:42], v[51:52], v[23:24]
	v_fma_f64 v[21:22], v[43:44], v[51:52], v[21:22]
	v_fma_f64 v[19:20], v[45:46], v[51:52], v[19:20]
	v_fma_f64 v[17:18], v[47:48], v[51:52], v[17:18]
	v_fma_f64 v[15:16], v[49:50], v[51:52], v[15:16]
	v_fma_f64 v[29:30], -v[37:38], v[53:54], v[29:30]
	v_fma_f64 v[27:28], v[35:36], v[53:54], v[27:28]
	v_fma_f64 v[25:26], -v[41:42], v[53:54], v[25:26]
	v_fma_f64 v[23:24], v[39:40], v[53:54], v[23:24]
	v_fma_f64 v[21:22], -v[45:46], v[53:54], v[21:22]
	v_fma_f64 v[19:20], v[43:44], v[53:54], v[19:20]
	v_fma_f64 v[17:18], -v[49:50], v[53:54], v[17:18]
	v_fma_f64 v[15:16], v[47:48], v[53:54], v[15:16]
	;; [unrolled: 17-line block ×3, first 2 shown]
	s_waitcnt vmcnt(3)
	v_fma_f64 v[29:30], v[104:105], v[100:101], v[29:30]
	v_fma_f64 v[27:28], v[106:107], v[100:101], v[27:28]
	s_waitcnt vmcnt(2)
	v_fma_f64 v[25:26], v[108:109], v[100:101], v[25:26]
	v_fma_f64 v[23:24], v[110:111], v[100:101], v[23:24]
	;; [unrolled: 3-line block ×4, first 2 shown]
	v_fma_f64 v[96:97], -v[106:107], v[102:103], v[29:30]
	v_fma_f64 v[94:95], v[104:105], v[102:103], v[27:28]
	v_fma_f64 v[98:99], -v[110:111], v[102:103], v[25:26]
	v_fma_f64 v[88:89], v[108:109], v[102:103], v[23:24]
	;; [unrolled: 2-line block ×4, first 2 shown]
	s_andn2_b32 exec_lo, exec_lo, s8
	s_cbranch_execnz .LBB37_27
; %bb.28:
	s_or_b32 exec_lo, exec_lo, s8
.LBB37_29:
	s_or_b32 exec_lo, exec_lo, s3
	s_mov_b32 s3, exec_lo
	v_cmpx_lt_u64_e32 47, v[9:10]
	s_cbranch_execz .LBB37_33
; %bb.30:
	v_lshlrev_b64 v[9:10], 2, v[78:79]
	s_mov_b32 s8, 0
	v_add_co_u32 v9, vcc_lo, s12, v9
	v_add_co_ci_u32_e64 v10, null, s13, v10, vcc_lo
	v_add_co_u32 v73, vcc_lo, 0x80, v9
	v_add_co_ci_u32_e64 v74, null, 0, v10, vcc_lo
.LBB37_31:                              ; =>This Inner Loop Header: Depth=1
	global_load_dword v101, v[73:74], off offset:-128
	s_clause 0xf
	global_load_dwordx4 v[9:12], v[82:83], off offset:48
	global_load_dwordx4 v[17:20], v[82:83], off offset:32
	;; [unrolled: 1-line block ×3, first 2 shown]
	global_load_dwordx4 v[45:48], v[82:83], off
	global_load_dwordx4 v[37:40], v[82:83], off offset:112
	global_load_dwordx4 v[49:52], v[82:83], off offset:96
	;; [unrolled: 1-line block ×12, first 2 shown]
	v_add_co_u32 v142, vcc_lo, 0x1000, v82
	v_add_co_ci_u32_e64 v143, null, 0, v83, vcc_lo
	v_add_co_u32 v144, vcc_lo, 0x2000, v82
	v_add_co_ci_u32_e64 v145, null, 0, v83, vcc_lo
	;; [unrolled: 2-line block ×3, first 2 shown]
	s_clause 0x2
	global_load_dword v156, v[73:74], off offset:-64
	global_load_dword v100, v[73:74], off
	global_load_dword v157, v[73:74], off offset:64
	s_clause 0x7
	global_load_dwordx4 v[102:105], v[142:143], off offset:48
	global_load_dwordx4 v[106:109], v[142:143], off offset:32
	global_load_dwordx4 v[110:113], v[142:143], off
	global_load_dwordx4 v[114:117], v[142:143], off offset:16
	global_load_dwordx4 v[118:121], v[142:143], off offset:112
	;; [unrolled: 1-line block ×5, first 2 shown]
	v_add_co_u32 v82, s0, 0x4000, v82
	v_add_co_ci_u32_e64 v83, null, 0, v83, s0
	s_waitcnt vmcnt(27)
	v_subrev_nc_u32_e32 v101, s2, v101
	v_lshlrev_b32_e32 v134, 2, v101
	v_ashrrev_i32_e32 v135, 31, v134
	v_lshlrev_b64 v[134:135], 4, v[134:135]
	v_add_co_u32 v146, vcc_lo, s6, v134
	v_add_co_ci_u32_e64 v147, null, s7, v135, vcc_lo
	s_clause 0x1
	global_load_dwordx4 v[134:137], v[146:147], off
	global_load_dwordx4 v[138:141], v[146:147], off offset:16
	s_waitcnt vmcnt(11)
	v_subrev_nc_u32_e32 v100, s2, v100
	s_waitcnt vmcnt(1)
	v_fma_f64 v[88:89], v[31:32], v[134:135], v[88:89]
	v_fma_f64 v[94:95], v[47:48], v[134:135], v[94:95]
	;; [unrolled: 1-line block ×10, first 2 shown]
	v_fma_f64 v[92:93], -v[19:20], v[136:137], v[92:93]
	v_fma_f64 v[90:91], v[17:18], v[136:137], v[90:91]
	v_fma_f64 v[96:97], -v[47:48], v[136:137], v[96:97]
	v_fma_f64 v[98:99], -v[31:32], v[136:137], v[98:99]
	;; [unrolled: 1-line block ×3, first 2 shown]
	v_fma_f64 v[136:137], v[9:10], v[136:137], v[86:87]
	s_clause 0x4
	global_load_dwordx4 v[45:48], v[142:143], off offset:176
	global_load_dwordx4 v[29:32], v[142:143], off offset:160
	;; [unrolled: 1-line block ×5, first 2 shown]
	s_waitcnt vmcnt(5)
	v_fma_f64 v[88:89], v[59:60], v[138:139], v[88:89]
	v_fma_f64 v[94:95], v[67:68], v[138:139], v[94:95]
	;; [unrolled: 1-line block ×10, first 2 shown]
	v_fma_f64 v[96:97], -v[67:68], v[140:141], v[96:97]
	global_load_dwordx4 v[65:68], v[142:143], off offset:224
	v_fma_f64 v[152:153], -v[51:52], v[140:141], v[88:89]
	v_fma_f64 v[88:89], v[37:38], v[138:139], v[134:135]
	v_fma_f64 v[98:99], -v[59:60], v[140:141], v[94:95]
	s_clause 0x1
	global_load_dwordx4 v[57:60], v[142:143], off offset:208
	global_load_dwordx4 v[49:52], v[142:143], off offset:192
	v_fma_f64 v[136:137], v[37:38], v[140:141], v[90:91]
	v_fma_f64 v[134:135], -v[39:40], v[140:141], v[88:89]
	global_load_dwordx4 v[37:40], v[144:145], off
	s_clause 0x1
	global_load_dwordx4 v[88:91], v[146:147], off offset:32
	global_load_dwordx4 v[92:95], v[146:147], off offset:48
	s_waitcnt vmcnt(1)
	v_fma_f64 v[98:99], v[61:62], v[88:89], v[98:99]
	v_fma_f64 v[142:143], v[41:42], v[88:89], v[152:153]
	;; [unrolled: 1-line block ×8, first 2 shown]
	v_fma_f64 v[98:99], -v[63:64], v[90:91], v[98:99]
	v_fma_f64 v[142:143], -v[43:44], v[90:91], v[142:143]
	;; [unrolled: 1-line block ×3, first 2 shown]
	v_fma_f64 v[138:139], v[69:70], v[90:91], v[138:139]
	v_fma_f64 v[140:141], v[61:62], v[90:91], v[140:141]
	;; [unrolled: 1-line block ×3, first 2 shown]
	v_fma_f64 v[134:135], -v[27:28], v[90:91], v[134:135]
	v_fma_f64 v[136:137], v[25:26], v[90:91], v[88:89]
	v_subrev_nc_u32_e32 v88, s2, v156
	s_clause 0x3
	global_load_dwordx4 v[69:72], v[144:145], off offset:48
	global_load_dwordx4 v[61:64], v[144:145], off offset:32
	;; [unrolled: 1-line block ×4, first 2 shown]
	v_lshlrev_b32_e32 v88, 2, v88
	v_ashrrev_i32_e32 v89, 31, v88
	s_waitcnt vmcnt(4)
	v_fma_f64 v[98:99], v[33:34], v[92:93], v[98:99]
	v_lshlrev_b64 v[88:89], 4, v[88:89]
	v_fma_f64 v[96:97], v[53:54], v[92:93], v[96:97]
	v_fma_f64 v[138:139], v[55:56], v[92:93], v[138:139]
	;; [unrolled: 1-line block ×3, first 2 shown]
	v_add_co_u32 v148, vcc_lo, s6, v88
	v_add_co_ci_u32_e64 v149, null, s7, v89, vcc_lo
	global_load_dwordx4 v[88:91], v[144:145], off offset:96
	v_fma_f64 v[150:151], -v[35:36], v[94:95], v[98:99]
	v_fma_f64 v[98:99], v[21:22], v[92:93], v[142:143]
	v_fma_f64 v[142:143], v[23:24], v[92:93], v[146:147]
	v_fma_f64 v[96:97], -v[55:56], v[94:95], v[96:97]
	v_fma_f64 v[138:139], v[53:54], v[94:95], v[138:139]
	global_load_dwordx4 v[53:56], v[144:145], off offset:80
	v_fma_f64 v[140:141], v[33:34], v[94:95], v[140:141]
	global_load_dwordx4 v[33:36], v[144:145], off offset:64
	v_fma_f64 v[146:147], -v[23:24], v[94:95], v[98:99]
	v_fma_f64 v[98:99], v[13:14], v[92:93], v[134:135]
	v_fma_f64 v[92:93], v[15:16], v[92:93], v[136:137]
	;; [unrolled: 1-line block ×3, first 2 shown]
	global_load_dwordx4 v[21:24], v[144:145], off offset:176
	v_fma_f64 v[134:135], -v[15:16], v[94:95], v[98:99]
	v_fma_f64 v[136:137], v[13:14], v[94:95], v[92:93]
	s_clause 0x1
	global_load_dwordx4 v[13:16], v[148:149], off
	global_load_dwordx4 v[92:95], v[148:149], off offset:16
	s_waitcnt vmcnt(1)
	v_fma_f64 v[96:97], v[110:111], v[13:14], v[96:97]
	v_fma_f64 v[98:99], v[112:113], v[13:14], v[138:139]
	v_fma_f64 v[138:139], -v[112:113], v[15:16], v[96:97]
	v_fma_f64 v[152:153], v[110:111], v[15:16], v[98:99]
	v_fma_f64 v[110:111], v[114:115], v[13:14], v[150:151]
	;; [unrolled: 1-line block ×3, first 2 shown]
	global_load_dwordx4 v[96:99], v[144:145], off offset:160
	v_fma_f64 v[140:141], -v[116:117], v[15:16], v[110:111]
	v_fma_f64 v[150:151], v[114:115], v[15:16], v[112:113]
	v_fma_f64 v[114:115], v[106:107], v[13:14], v[146:147]
	;; [unrolled: 1-line block ×3, first 2 shown]
	global_load_dwordx4 v[110:113], v[144:145], off offset:144
	v_fma_f64 v[142:143], -v[108:109], v[15:16], v[114:115]
	v_fma_f64 v[146:147], v[106:107], v[15:16], v[116:117]
	v_fma_f64 v[114:115], v[102:103], v[13:14], v[134:135]
	s_waitcnt vmcnt(2)
	v_fma_f64 v[116:117], v[132:133], v[92:93], v[152:153]
	v_fma_f64 v[13:14], v[104:105], v[13:14], v[136:137]
	global_load_dwordx4 v[106:109], v[144:145], off offset:128
	v_fma_f64 v[134:135], -v[104:105], v[15:16], v[114:115]
	v_fma_f64 v[114:115], v[130:131], v[92:93], v[138:139]
	v_fma_f64 v[152:153], v[130:131], v[94:95], v[116:117]
	v_fma_f64 v[130:131], v[126:127], v[92:93], v[140:141]
	v_fma_f64 v[136:137], v[102:103], v[15:16], v[13:14]
	s_clause 0x1
	global_load_dwordx4 v[13:16], v[144:145], off offset:240
	global_load_dwordx4 v[101:104], v[144:145], off offset:224
	v_subrev_nc_u32_e32 v105, s2, v157
	v_fma_f64 v[138:139], -v[132:133], v[94:95], v[114:115]
	v_fma_f64 v[132:133], v[128:129], v[92:93], v[150:151]
	v_fma_f64 v[140:141], -v[128:129], v[94:95], v[130:131]
	v_fma_f64 v[130:131], v[122:123], v[92:93], v[142:143]
	global_load_dwordx4 v[114:117], v[144:145], off offset:208
	v_fma_f64 v[150:151], v[126:127], v[94:95], v[132:133]
	v_fma_f64 v[132:133], v[124:125], v[92:93], v[146:147]
	v_fma_f64 v[142:143], -v[124:125], v[94:95], v[130:131]
	v_fma_f64 v[130:131], v[118:119], v[92:93], v[134:135]
	v_fma_f64 v[92:93], v[120:121], v[92:93], v[136:137]
	global_load_dwordx4 v[126:129], v[144:145], off offset:192
	v_fma_f64 v[144:145], v[122:123], v[94:95], v[132:133]
	global_load_dwordx4 v[122:125], v[75:76], off
	v_fma_f64 v[134:135], -v[120:121], v[94:95], v[130:131]
	v_fma_f64 v[136:137], v[118:119], v[94:95], v[92:93]
	global_load_dwordx4 v[92:95], v[75:76], off offset:48
	s_clause 0x1
	global_load_dwordx4 v[118:121], v[148:149], off offset:32
	global_load_dwordx4 v[130:133], v[148:149], off offset:48
	s_waitcnt vmcnt(1)
	v_fma_f64 v[144:145], v[31:32], v[118:119], v[144:145]
	v_fma_f64 v[142:143], v[29:30], v[118:119], v[142:143]
	v_fma_f64 v[138:139], v[9:10], v[118:119], v[138:139]
	v_fma_f64 v[146:147], v[11:12], v[118:119], v[152:153]
	v_fma_f64 v[140:141], v[17:18], v[118:119], v[140:141]
	v_fma_f64 v[148:149], v[19:20], v[118:119], v[150:151]
	v_fma_f64 v[134:135], v[45:46], v[118:119], v[134:135]
	v_fma_f64 v[118:119], v[47:48], v[118:119], v[136:137]
	v_lshlrev_b32_e32 v150, 2, v105
	v_ashrrev_i32_e32 v151, 31, v150
	v_fma_f64 v[144:145], v[29:30], v[120:121], v[144:145]
	v_fma_f64 v[142:143], -v[31:32], v[120:121], v[142:143]
	v_fma_f64 v[138:139], -v[11:12], v[120:121], v[138:139]
	v_fma_f64 v[146:147], v[9:10], v[120:121], v[146:147]
	v_fma_f64 v[140:141], -v[19:20], v[120:121], v[140:141]
	v_fma_f64 v[148:149], v[17:18], v[120:121], v[148:149]
	;; [unrolled: 2-line block ×3, first 2 shown]
	s_clause 0x4
	global_load_dwordx4 v[9:12], v[75:76], off offset:32
	global_load_dwordx4 v[17:20], v[75:76], off offset:16
	;; [unrolled: 1-line block ×5, first 2 shown]
	s_waitcnt vmcnt(5)
	v_fma_f64 v[144:145], v[67:68], v[130:131], v[144:145]
	v_fma_f64 v[142:143], v[65:66], v[130:131], v[142:143]
	;; [unrolled: 1-line block ×7, first 2 shown]
	v_lshlrev_b32_e32 v65, 2, v100
	v_fma_f64 v[142:143], -v[67:68], v[132:133], v[142:143]
	v_fma_f64 v[67:68], v[86:87], v[130:131], v[136:137]
	v_fma_f64 v[138:139], -v[51:52], v[132:133], v[138:139]
	v_fma_f64 v[146:147], v[49:50], v[132:133], v[146:147]
	v_ashrrev_i32_e32 v66, 31, v65
	global_load_dwordx4 v[49:52], v[75:76], off offset:64
	v_fma_f64 v[140:141], -v[59:60], v[132:133], v[140:141]
	v_fma_f64 v[148:149], v[57:58], v[132:133], v[148:149]
	global_load_dwordx4 v[57:60], v[75:76], off offset:176
	v_lshlrev_b64 v[65:66], 4, v[65:66]
	v_add_co_u32 v152, vcc_lo, s6, v65
	v_add_co_ci_u32_e64 v153, null, s7, v66, vcc_lo
	v_fma_f64 v[65:66], v[84:85], v[130:131], v[134:135]
	v_fma_f64 v[136:137], v[84:85], v[132:133], v[67:68]
	v_fma_f64 v[134:135], -v[86:87], v[132:133], v[65:66]
	s_clause 0x1
	global_load_dwordx4 v[65:68], v[152:153], off
	global_load_dwordx4 v[84:87], v[152:153], off offset:16
	s_waitcnt vmcnt(1)
	v_fma_f64 v[130:131], v[37:38], v[65:66], v[138:139]
	v_fma_f64 v[132:133], v[39:40], v[65:66], v[146:147]
	;; [unrolled: 1-line block ×8, first 2 shown]
	v_fma_f64 v[138:139], -v[39:40], v[67:68], v[130:131]
	v_fma_f64 v[146:147], v[37:38], v[67:68], v[132:133]
	global_load_dwordx4 v[37:40], v[152:153], off offset:32
	v_lshlrev_b64 v[130:131], 4, v[150:151]
	v_fma_f64 v[140:141], -v[43:44], v[67:68], v[140:141]
	v_fma_f64 v[148:149], v[41:42], v[67:68], v[148:149]
	v_fma_f64 v[142:143], -v[63:64], v[67:68], v[142:143]
	v_fma_f64 v[144:145], v[61:62], v[67:68], v[144:145]
	v_fma_f64 v[134:135], -v[71:72], v[67:68], v[134:135]
	v_add_co_u32 v150, vcc_lo, s6, v130
	v_add_co_ci_u32_e64 v151, null, s7, v131, vcc_lo
	global_load_dwordx4 v[130:133], v[152:153], off offset:48
	v_fma_f64 v[136:137], v[69:70], v[67:68], v[65:66]
	v_add_co_u32 v78, vcc_lo, v78, 64
	s_clause 0x1
	global_load_dwordx4 v[41:44], v[150:151], off offset:16
	global_load_dwordx4 v[61:64], v[150:151], off
	s_clause 0x1
	global_load_dwordx4 v[65:68], v[75:76], off offset:160
	global_load_dwordx4 v[69:72], v[75:76], off offset:144
	v_add_co_ci_u32_e64 v79, null, 0, v79, vcc_lo
	s_waitcnt vmcnt(6)
	v_fma_f64 v[138:139], v[33:34], v[84:85], v[138:139]
	v_fma_f64 v[146:147], v[35:36], v[84:85], v[146:147]
	v_add_co_u32 v73, vcc_lo, 0x100, v73
	v_fma_f64 v[140:141], v[53:54], v[84:85], v[140:141]
	v_fma_f64 v[148:149], v[55:56], v[84:85], v[148:149]
	;; [unrolled: 1-line block ×5, first 2 shown]
	v_add_co_ci_u32_e64 v74, null, 0, v74, vcc_lo
	v_cmp_ge_i64_e32 vcc_lo, v[78:79], v[80:81]
	v_fma_f64 v[84:85], v[27:28], v[84:85], v[136:137]
	s_or_b32 s8, vcc_lo, s8
	v_fma_f64 v[138:139], -v[35:36], v[86:87], v[138:139]
	v_fma_f64 v[146:147], v[33:34], v[86:87], v[146:147]
	global_load_dwordx4 v[33:36], v[75:76], off offset:128
	v_fma_f64 v[140:141], -v[55:56], v[86:87], v[140:141]
	v_fma_f64 v[148:149], v[53:54], v[86:87], v[148:149]
	global_load_dwordx4 v[53:56], v[150:151], off offset:48
	;; [unrolled: 3-line block ×3, first 2 shown]
	v_fma_f64 v[150:151], -v[27:28], v[86:87], v[134:135]
	v_fma_f64 v[152:153], v[25:26], v[86:87], v[84:85]
	s_clause 0x1
	global_load_dwordx4 v[25:28], v[75:76], off offset:208
	global_load_dwordx4 v[84:87], v[75:76], off offset:192
	s_waitcnt vmcnt(10)
	v_fma_f64 v[134:135], v[106:107], v[37:38], v[138:139]
	v_fma_f64 v[136:137], v[108:109], v[37:38], v[146:147]
	;; [unrolled: 1-line block ×4, first 2 shown]
	v_fma_f64 v[138:139], -v[108:109], v[39:40], v[134:135]
	v_fma_f64 v[146:147], v[106:107], v[39:40], v[136:137]
	s_clause 0x1
	global_load_dwordx4 v[105:108], v[75:76], off offset:224
	global_load_dwordx4 v[134:137], v[75:76], off offset:240
	v_fma_f64 v[75:76], v[110:111], v[37:38], v[140:141]
	v_fma_f64 v[140:141], v[112:113], v[37:38], v[148:149]
	v_fma_f64 v[148:149], v[21:22], v[37:38], v[150:151]
	v_fma_f64 v[37:38], v[23:24], v[37:38], v[152:153]
	v_fma_f64 v[98:99], -v[98:99], v[39:40], v[142:143]
	v_fma_f64 v[96:97], v[96:97], v[39:40], v[144:145]
	v_fma_f64 v[75:76], -v[112:113], v[39:40], v[75:76]
	v_fma_f64 v[109:110], v[110:111], v[39:40], v[140:141]
	;; [unrolled: 2-line block ×3, first 2 shown]
	s_waitcnt vmcnt(11)
	v_fma_f64 v[37:38], v[126:127], v[130:131], v[138:139]
	v_fma_f64 v[39:40], v[128:129], v[130:131], v[146:147]
	;; [unrolled: 1-line block ×8, first 2 shown]
	v_fma_f64 v[37:38], -v[128:129], v[132:133], v[37:38]
	v_fma_f64 v[39:40], v[126:127], v[132:133], v[39:40]
	v_fma_f64 v[98:99], -v[103:104], v[132:133], v[98:99]
	v_fma_f64 v[96:97], v[101:102], v[132:133], v[96:97]
	;; [unrolled: 2-line block ×4, first 2 shown]
	s_waitcnt vmcnt(9)
	v_fma_f64 v[21:22], v[122:123], v[61:62], v[37:38]
	v_fma_f64 v[23:24], v[124:125], v[61:62], v[39:40]
	v_fma_f64 v[96:97], v[11:12], v[61:62], v[96:97]
	v_fma_f64 v[37:38], v[17:18], v[61:62], v[75:76]
	v_fma_f64 v[39:40], v[19:20], v[61:62], v[109:110]
	v_fma_f64 v[75:76], v[9:10], v[61:62], v[98:99]
	v_fma_f64 v[15:16], v[92:93], v[61:62], v[15:16]
	v_fma_f64 v[13:14], v[94:95], v[61:62], v[13:14]
	v_fma_f64 v[21:22], -v[124:125], v[63:64], v[21:22]
	v_fma_f64 v[23:24], v[122:123], v[63:64], v[23:24]
	v_fma_f64 v[9:10], v[9:10], v[63:64], v[96:97]
	v_fma_f64 v[19:20], -v[19:20], v[63:64], v[37:38]
	v_fma_f64 v[17:18], v[17:18], v[63:64], v[39:40]
	v_fma_f64 v[11:12], -v[11:12], v[63:64], v[75:76]
	v_fma_f64 v[15:16], -v[94:95], v[63:64], v[15:16]
	v_fma_f64 v[13:14], v[92:93], v[63:64], v[13:14]
	v_fma_f64 v[21:22], v[49:50], v[41:42], v[21:22]
	;; [unrolled: 1-line block ×9, first 2 shown]
	v_fma_f64 v[21:22], -v[51:52], v[43:44], v[21:22]
	v_fma_f64 v[23:24], v[49:50], v[43:44], v[23:24]
	v_fma_f64 v[9:10], v[45:46], v[43:44], v[9:10]
	v_fma_f64 v[19:20], -v[120:121], v[43:44], v[19:20]
	v_fma_f64 v[17:18], v[118:119], v[43:44], v[17:18]
	v_fma_f64 v[11:12], -v[47:48], v[43:44], v[11:12]
	v_fma_f64 v[15:16], -v[31:32], v[43:44], v[15:16]
	v_fma_f64 v[13:14], v[29:30], v[43:44], v[13:14]
	s_waitcnt vmcnt(4)
	v_fma_f64 v[21:22], v[33:34], v[88:89], v[21:22]
	v_fma_f64 v[23:24], v[35:36], v[88:89], v[23:24]
	;; [unrolled: 1-line block ×8, first 2 shown]
	v_fma_f64 v[21:22], -v[35:36], v[90:91], v[21:22]
	v_fma_f64 v[23:24], v[33:34], v[90:91], v[23:24]
	v_fma_f64 v[9:10], v[65:66], v[90:91], v[9:10]
	v_fma_f64 v[19:20], -v[71:72], v[90:91], v[19:20]
	v_fma_f64 v[17:18], v[69:70], v[90:91], v[17:18]
	v_fma_f64 v[11:12], -v[67:68], v[90:91], v[11:12]
	v_fma_f64 v[15:16], -v[59:60], v[90:91], v[15:16]
	v_fma_f64 v[13:14], v[57:58], v[90:91], v[13:14]
	s_waitcnt vmcnt(2)
	v_fma_f64 v[21:22], v[84:85], v[53:54], v[21:22]
	v_fma_f64 v[23:24], v[86:87], v[53:54], v[23:24]
	;; [unrolled: 1-line block ×4, first 2 shown]
	v_fma_f64 v[96:97], -v[86:87], v[55:56], v[21:22]
	v_fma_f64 v[94:95], v[84:85], v[55:56], v[23:24]
	v_fma_f64 v[98:99], -v[27:28], v[55:56], v[19:20]
	v_fma_f64 v[88:89], v[25:26], v[55:56], v[17:18]
	s_waitcnt vmcnt(1)
	v_fma_f64 v[11:12], v[105:106], v[53:54], v[11:12]
	v_fma_f64 v[9:10], v[107:108], v[53:54], v[9:10]
	s_waitcnt vmcnt(0)
	v_fma_f64 v[15:16], v[134:135], v[53:54], v[15:16]
	v_fma_f64 v[13:14], v[136:137], v[53:54], v[13:14]
	v_fma_f64 v[92:93], -v[107:108], v[55:56], v[11:12]
	v_fma_f64 v[90:91], v[105:106], v[55:56], v[9:10]
	v_fma_f64 v[84:85], -v[136:137], v[55:56], v[15:16]
	v_fma_f64 v[86:87], v[134:135], v[55:56], v[13:14]
	s_andn2_b32 exec_lo, exec_lo, s8
	s_cbranch_execnz .LBB37_31
; %bb.32:
	s_or_b32 exec_lo, exec_lo, s8
.LBB37_33:
	s_or_b32 exec_lo, exec_lo, s3
.LBB37_34:
	s_or_b32 exec_lo, exec_lo, s1
.LBB37_35:
	v_mbcnt_lo_u32_b32 v41, -1, 0
	v_xor_b32_e32 v9, 8, v41
	v_xor_b32_e32 v25, 4, v41
	v_cmp_gt_i32_e32 vcc_lo, 32, v9
	v_cndmask_b32_e32 v9, v41, v9, vcc_lo
	v_cmp_gt_i32_e32 vcc_lo, 32, v25
	v_lshlrev_b32_e32 v24, 2, v9
	v_cndmask_b32_e32 v25, v41, v25, vcc_lo
	ds_bpermute_b32 v9, v24, v96
	ds_bpermute_b32 v10, v24, v97
	;; [unrolled: 1-line block ×16, first 2 shown]
	v_lshlrev_b32_e32 v40, 2, v25
	s_waitcnt lgkmcnt(14)
	v_add_f64 v[9:10], v[96:97], v[9:10]
	s_waitcnt lgkmcnt(12)
	v_add_f64 v[11:12], v[94:95], v[11:12]
	;; [unrolled: 2-line block ×8, first 2 shown]
	ds_bpermute_b32 v25, v40, v9
	ds_bpermute_b32 v26, v40, v10
	;; [unrolled: 1-line block ×16, first 2 shown]
	s_waitcnt lgkmcnt(14)
	v_add_f64 v[9:10], v[9:10], v[25:26]
	v_xor_b32_e32 v25, 2, v41
	s_waitcnt lgkmcnt(12)
	v_add_f64 v[11:12], v[11:12], v[27:28]
	s_waitcnt lgkmcnt(10)
	v_add_f64 v[13:14], v[13:14], v[29:30]
	v_cmp_gt_i32_e32 vcc_lo, 32, v25
	s_waitcnt lgkmcnt(8)
	v_add_f64 v[15:16], v[15:16], v[31:32]
	s_waitcnt lgkmcnt(6)
	v_add_f64 v[17:18], v[17:18], v[33:34]
	;; [unrolled: 2-line block ×3, first 2 shown]
	v_cndmask_b32_e32 v27, v41, v25, vcc_lo
	s_waitcnt lgkmcnt(2)
	v_add_f64 v[21:22], v[21:22], v[37:38]
	s_waitcnt lgkmcnt(0)
	v_add_f64 v[25:26], v[23:24], v[39:40]
	v_lshlrev_b32_e32 v40, 2, v27
	ds_bpermute_b32 v23, v40, v9
	ds_bpermute_b32 v24, v40, v10
	;; [unrolled: 1-line block ×16, first 2 shown]
	s_waitcnt lgkmcnt(14)
	v_add_f64 v[9:10], v[9:10], v[23:24]
	s_waitcnt lgkmcnt(12)
	v_add_f64 v[27:28], v[11:12], v[27:28]
	s_waitcnt lgkmcnt(10)
	v_add_f64 v[11:12], v[13:14], v[29:30]
	v_xor_b32_e32 v29, 1, v41
	s_waitcnt lgkmcnt(8)
	v_add_f64 v[23:24], v[15:16], v[31:32]
	s_waitcnt lgkmcnt(6)
	v_add_f64 v[13:14], v[17:18], v[33:34]
	v_cmp_gt_i32_e32 vcc_lo, 32, v29
	s_waitcnt lgkmcnt(4)
	v_add_f64 v[17:18], v[19:20], v[35:36]
	s_waitcnt lgkmcnt(2)
	v_add_f64 v[15:16], v[21:22], v[37:38]
	s_waitcnt lgkmcnt(0)
	v_add_f64 v[19:20], v[25:26], v[39:40]
	v_cndmask_b32_e32 v29, v41, v29, vcc_lo
	v_cmp_eq_u32_e32 vcc_lo, 15, v0
	v_lshlrev_b32_e32 v34, 2, v29
	ds_bpermute_b32 v21, v34, v9
	ds_bpermute_b32 v22, v34, v10
	;; [unrolled: 1-line block ×16, first 2 shown]
	s_and_b32 exec_lo, exec_lo, vcc_lo
	s_cbranch_execz .LBB37_8
; %bb.36:
	s_waitcnt lgkmcnt(12)
	v_add_f64 v[27:28], v[27:28], v[39:40]
	s_waitcnt lgkmcnt(8)
	v_add_f64 v[23:24], v[23:24], v[37:38]
	;; [unrolled: 2-line block ×4, first 2 shown]
	v_add_f64 v[9:10], v[9:10], v[21:22]
	v_add_f64 v[11:12], v[11:12], v[25:26]
	v_add_f64 v[21:22], v[13:14], v[29:30]
	v_add_f64 v[25:26], v[15:16], v[31:32]
	v_cmp_eq_f64_e32 vcc_lo, 0, v[1:2]
	v_cmp_eq_f64_e64 s0, 0, v[3:4]
	s_load_dwordx2 s[2:3], s[4:5], 0x60
	v_mul_f64 v[13:14], v[27:28], -v[7:8]
	v_mul_f64 v[15:16], v[5:6], v[27:28]
	v_mul_f64 v[27:28], v[23:24], -v[7:8]
	v_mul_f64 v[23:24], v[5:6], v[23:24]
	;; [unrolled: 2-line block ×4, first 2 shown]
	s_and_b32 s0, vcc_lo, s0
	v_fma_f64 v[17:18], v[5:6], v[9:10], v[13:14]
	v_fma_f64 v[19:20], v[7:8], v[9:10], v[15:16]
	;; [unrolled: 1-line block ×8, first 2 shown]
	v_lshlrev_b32_e32 v21, 2, v77
	s_and_saveexec_b32 s1, s0
	s_xor_b32 s0, exec_lo, s1
	s_cbranch_execz .LBB37_38
; %bb.37:
	v_ashrrev_i32_e32 v22, 31, v21
	v_lshlrev_b64 v[0:1], 4, v[21:22]
                                        ; implicit-def: $vgpr21
	s_waitcnt lgkmcnt(0)
	v_add_co_u32 v0, vcc_lo, s2, v0
	v_add_co_ci_u32_e64 v1, null, s3, v1, vcc_lo
	global_store_dwordx4 v[0:1], v[17:20], off
	global_store_dwordx4 v[0:1], v[13:16], off offset:16
	global_store_dwordx4 v[0:1], v[9:12], off offset:32
	;; [unrolled: 1-line block ×3, first 2 shown]
                                        ; implicit-def: $vgpr3_vgpr4
                                        ; implicit-def: $vgpr17_vgpr18
                                        ; implicit-def: $vgpr13_vgpr14
                                        ; implicit-def: $vgpr9_vgpr10
                                        ; implicit-def: $vgpr5_vgpr6
.LBB37_38:
	s_andn2_saveexec_b32 s0, s0
	s_cbranch_execz .LBB37_8
; %bb.39:
	v_ashrrev_i32_e32 v22, 31, v21
	v_lshlrev_b64 v[21:22], 4, v[21:22]
	s_waitcnt lgkmcnt(0)
	v_add_co_u32 v37, vcc_lo, s2, v21
	v_add_co_ci_u32_e64 v38, null, s3, v22, vcc_lo
	s_clause 0x3
	global_load_dwordx4 v[21:24], v[37:38], off
	global_load_dwordx4 v[25:28], v[37:38], off offset:16
	global_load_dwordx4 v[29:32], v[37:38], off offset:32
	;; [unrolled: 1-line block ×3, first 2 shown]
	s_waitcnt vmcnt(3)
	v_fma_f64 v[17:18], v[1:2], v[21:22], v[17:18]
	v_fma_f64 v[19:20], v[3:4], v[21:22], v[19:20]
	s_waitcnt vmcnt(2)
	v_fma_f64 v[13:14], v[1:2], v[25:26], v[13:14]
	v_fma_f64 v[15:16], v[3:4], v[25:26], v[15:16]
	;; [unrolled: 3-line block ×4, first 2 shown]
	v_fma_f64 v[5:6], -v[3:4], v[23:24], v[17:18]
	v_fma_f64 v[7:8], v[1:2], v[23:24], v[19:20]
	v_fma_f64 v[9:10], -v[3:4], v[27:28], v[13:14]
	v_fma_f64 v[11:12], v[1:2], v[27:28], v[15:16]
	v_fma_f64 v[13:14], -v[3:4], v[31:32], v[21:22]
	v_fma_f64 v[15:16], v[1:2], v[31:32], v[25:26]
	v_fma_f64 v[17:18], -v[3:4], v[35:36], v[29:30]
	v_fma_f64 v[19:20], v[1:2], v[35:36], v[33:34]
	global_store_dwordx4 v[37:38], v[5:8], off
	global_store_dwordx4 v[37:38], v[9:12], off offset:16
	global_store_dwordx4 v[37:38], v[13:16], off offset:32
	;; [unrolled: 1-line block ×3, first 2 shown]
	s_endpgm
	.section	.rodata,"a",@progbits
	.p2align	6, 0x0
	.amdhsa_kernel _ZN9rocsparseL18bsrxmvn_4x4_kernelILj128ELj16E21rocsparse_complex_numIdEliS2_S2_S2_EEvT3_20rocsparse_direction_NS_24const_host_device_scalarIT1_EES3_PKS3_PKT2_SC_S9_PKT4_PKT5_S7_PT6_21rocsparse_index_base_b
		.amdhsa_group_segment_fixed_size 0
		.amdhsa_private_segment_fixed_size 0
		.amdhsa_kernarg_size 112
		.amdhsa_user_sgpr_count 6
		.amdhsa_user_sgpr_private_segment_buffer 1
		.amdhsa_user_sgpr_dispatch_ptr 0
		.amdhsa_user_sgpr_queue_ptr 0
		.amdhsa_user_sgpr_kernarg_segment_ptr 1
		.amdhsa_user_sgpr_dispatch_id 0
		.amdhsa_user_sgpr_flat_scratch_init 0
		.amdhsa_user_sgpr_private_segment_size 0
		.amdhsa_wavefront_size32 1
		.amdhsa_uses_dynamic_stack 0
		.amdhsa_system_sgpr_private_segment_wavefront_offset 0
		.amdhsa_system_sgpr_workgroup_id_x 1
		.amdhsa_system_sgpr_workgroup_id_y 0
		.amdhsa_system_sgpr_workgroup_id_z 0
		.amdhsa_system_sgpr_workgroup_info 0
		.amdhsa_system_vgpr_workitem_id 0
		.amdhsa_next_free_vgpr 178
		.amdhsa_next_free_sgpr 16
		.amdhsa_reserve_vcc 1
		.amdhsa_reserve_flat_scratch 0
		.amdhsa_float_round_mode_32 0
		.amdhsa_float_round_mode_16_64 0
		.amdhsa_float_denorm_mode_32 3
		.amdhsa_float_denorm_mode_16_64 3
		.amdhsa_dx10_clamp 1
		.amdhsa_ieee_mode 1
		.amdhsa_fp16_overflow 0
		.amdhsa_workgroup_processor_mode 1
		.amdhsa_memory_ordered 1
		.amdhsa_forward_progress 1
		.amdhsa_shared_vgpr_count 0
		.amdhsa_exception_fp_ieee_invalid_op 0
		.amdhsa_exception_fp_denorm_src 0
		.amdhsa_exception_fp_ieee_div_zero 0
		.amdhsa_exception_fp_ieee_overflow 0
		.amdhsa_exception_fp_ieee_underflow 0
		.amdhsa_exception_fp_ieee_inexact 0
		.amdhsa_exception_int_div_zero 0
	.end_amdhsa_kernel
	.section	.text._ZN9rocsparseL18bsrxmvn_4x4_kernelILj128ELj16E21rocsparse_complex_numIdEliS2_S2_S2_EEvT3_20rocsparse_direction_NS_24const_host_device_scalarIT1_EES3_PKS3_PKT2_SC_S9_PKT4_PKT5_S7_PT6_21rocsparse_index_base_b,"axG",@progbits,_ZN9rocsparseL18bsrxmvn_4x4_kernelILj128ELj16E21rocsparse_complex_numIdEliS2_S2_S2_EEvT3_20rocsparse_direction_NS_24const_host_device_scalarIT1_EES3_PKS3_PKT2_SC_S9_PKT4_PKT5_S7_PT6_21rocsparse_index_base_b,comdat
.Lfunc_end37:
	.size	_ZN9rocsparseL18bsrxmvn_4x4_kernelILj128ELj16E21rocsparse_complex_numIdEliS2_S2_S2_EEvT3_20rocsparse_direction_NS_24const_host_device_scalarIT1_EES3_PKS3_PKT2_SC_S9_PKT4_PKT5_S7_PT6_21rocsparse_index_base_b, .Lfunc_end37-_ZN9rocsparseL18bsrxmvn_4x4_kernelILj128ELj16E21rocsparse_complex_numIdEliS2_S2_S2_EEvT3_20rocsparse_direction_NS_24const_host_device_scalarIT1_EES3_PKS3_PKT2_SC_S9_PKT4_PKT5_S7_PT6_21rocsparse_index_base_b
                                        ; -- End function
	.set _ZN9rocsparseL18bsrxmvn_4x4_kernelILj128ELj16E21rocsparse_complex_numIdEliS2_S2_S2_EEvT3_20rocsparse_direction_NS_24const_host_device_scalarIT1_EES3_PKS3_PKT2_SC_S9_PKT4_PKT5_S7_PT6_21rocsparse_index_base_b.num_vgpr, 178
	.set _ZN9rocsparseL18bsrxmvn_4x4_kernelILj128ELj16E21rocsparse_complex_numIdEliS2_S2_S2_EEvT3_20rocsparse_direction_NS_24const_host_device_scalarIT1_EES3_PKS3_PKT2_SC_S9_PKT4_PKT5_S7_PT6_21rocsparse_index_base_b.num_agpr, 0
	.set _ZN9rocsparseL18bsrxmvn_4x4_kernelILj128ELj16E21rocsparse_complex_numIdEliS2_S2_S2_EEvT3_20rocsparse_direction_NS_24const_host_device_scalarIT1_EES3_PKS3_PKT2_SC_S9_PKT4_PKT5_S7_PT6_21rocsparse_index_base_b.numbered_sgpr, 16
	.set _ZN9rocsparseL18bsrxmvn_4x4_kernelILj128ELj16E21rocsparse_complex_numIdEliS2_S2_S2_EEvT3_20rocsparse_direction_NS_24const_host_device_scalarIT1_EES3_PKS3_PKT2_SC_S9_PKT4_PKT5_S7_PT6_21rocsparse_index_base_b.num_named_barrier, 0
	.set _ZN9rocsparseL18bsrxmvn_4x4_kernelILj128ELj16E21rocsparse_complex_numIdEliS2_S2_S2_EEvT3_20rocsparse_direction_NS_24const_host_device_scalarIT1_EES3_PKS3_PKT2_SC_S9_PKT4_PKT5_S7_PT6_21rocsparse_index_base_b.private_seg_size, 0
	.set _ZN9rocsparseL18bsrxmvn_4x4_kernelILj128ELj16E21rocsparse_complex_numIdEliS2_S2_S2_EEvT3_20rocsparse_direction_NS_24const_host_device_scalarIT1_EES3_PKS3_PKT2_SC_S9_PKT4_PKT5_S7_PT6_21rocsparse_index_base_b.uses_vcc, 1
	.set _ZN9rocsparseL18bsrxmvn_4x4_kernelILj128ELj16E21rocsparse_complex_numIdEliS2_S2_S2_EEvT3_20rocsparse_direction_NS_24const_host_device_scalarIT1_EES3_PKS3_PKT2_SC_S9_PKT4_PKT5_S7_PT6_21rocsparse_index_base_b.uses_flat_scratch, 0
	.set _ZN9rocsparseL18bsrxmvn_4x4_kernelILj128ELj16E21rocsparse_complex_numIdEliS2_S2_S2_EEvT3_20rocsparse_direction_NS_24const_host_device_scalarIT1_EES3_PKS3_PKT2_SC_S9_PKT4_PKT5_S7_PT6_21rocsparse_index_base_b.has_dyn_sized_stack, 0
	.set _ZN9rocsparseL18bsrxmvn_4x4_kernelILj128ELj16E21rocsparse_complex_numIdEliS2_S2_S2_EEvT3_20rocsparse_direction_NS_24const_host_device_scalarIT1_EES3_PKS3_PKT2_SC_S9_PKT4_PKT5_S7_PT6_21rocsparse_index_base_b.has_recursion, 0
	.set _ZN9rocsparseL18bsrxmvn_4x4_kernelILj128ELj16E21rocsparse_complex_numIdEliS2_S2_S2_EEvT3_20rocsparse_direction_NS_24const_host_device_scalarIT1_EES3_PKS3_PKT2_SC_S9_PKT4_PKT5_S7_PT6_21rocsparse_index_base_b.has_indirect_call, 0
	.section	.AMDGPU.csdata,"",@progbits
; Kernel info:
; codeLenInByte = 10920
; TotalNumSgprs: 18
; NumVgprs: 178
; ScratchSize: 0
; MemoryBound: 1
; FloatMode: 240
; IeeeMode: 1
; LDSByteSize: 0 bytes/workgroup (compile time only)
; SGPRBlocks: 0
; VGPRBlocks: 22
; NumSGPRsForWavesPerEU: 18
; NumVGPRsForWavesPerEU: 178
; Occupancy: 5
; WaveLimiterHint : 1
; COMPUTE_PGM_RSRC2:SCRATCH_EN: 0
; COMPUTE_PGM_RSRC2:USER_SGPR: 6
; COMPUTE_PGM_RSRC2:TRAP_HANDLER: 0
; COMPUTE_PGM_RSRC2:TGID_X_EN: 1
; COMPUTE_PGM_RSRC2:TGID_Y_EN: 0
; COMPUTE_PGM_RSRC2:TGID_Z_EN: 0
; COMPUTE_PGM_RSRC2:TIDIG_COMP_CNT: 0
	.section	.text._ZN9rocsparseL18bsrxmvn_4x4_kernelILj128ELj32E21rocsparse_complex_numIdEliS2_S2_S2_EEvT3_20rocsparse_direction_NS_24const_host_device_scalarIT1_EES3_PKS3_PKT2_SC_S9_PKT4_PKT5_S7_PT6_21rocsparse_index_base_b,"axG",@progbits,_ZN9rocsparseL18bsrxmvn_4x4_kernelILj128ELj32E21rocsparse_complex_numIdEliS2_S2_S2_EEvT3_20rocsparse_direction_NS_24const_host_device_scalarIT1_EES3_PKS3_PKT2_SC_S9_PKT4_PKT5_S7_PT6_21rocsparse_index_base_b,comdat
	.globl	_ZN9rocsparseL18bsrxmvn_4x4_kernelILj128ELj32E21rocsparse_complex_numIdEliS2_S2_S2_EEvT3_20rocsparse_direction_NS_24const_host_device_scalarIT1_EES3_PKS3_PKT2_SC_S9_PKT4_PKT5_S7_PT6_21rocsparse_index_base_b ; -- Begin function _ZN9rocsparseL18bsrxmvn_4x4_kernelILj128ELj32E21rocsparse_complex_numIdEliS2_S2_S2_EEvT3_20rocsparse_direction_NS_24const_host_device_scalarIT1_EES3_PKS3_PKT2_SC_S9_PKT4_PKT5_S7_PT6_21rocsparse_index_base_b
	.p2align	8
	.type	_ZN9rocsparseL18bsrxmvn_4x4_kernelILj128ELj32E21rocsparse_complex_numIdEliS2_S2_S2_EEvT3_20rocsparse_direction_NS_24const_host_device_scalarIT1_EES3_PKS3_PKT2_SC_S9_PKT4_PKT5_S7_PT6_21rocsparse_index_base_b,@function
_ZN9rocsparseL18bsrxmvn_4x4_kernelILj128ELj32E21rocsparse_complex_numIdEliS2_S2_S2_EEvT3_20rocsparse_direction_NS_24const_host_device_scalarIT1_EES3_PKS3_PKT2_SC_S9_PKT4_PKT5_S7_PT6_21rocsparse_index_base_b: ; @_ZN9rocsparseL18bsrxmvn_4x4_kernelILj128ELj32E21rocsparse_complex_numIdEliS2_S2_S2_EEvT3_20rocsparse_direction_NS_24const_host_device_scalarIT1_EES3_PKS3_PKT2_SC_S9_PKT4_PKT5_S7_PT6_21rocsparse_index_base_b
; %bb.0:
	s_clause 0x1
	s_load_dwordx2 s[2:3], s[4:5], 0x68
	s_load_dwordx2 s[0:1], s[4:5], 0x8
	s_add_u32 s7, s4, 8
	s_addc_u32 s10, s5, 0
	s_add_u32 s11, s4, 0x50
	s_addc_u32 s12, s5, 0
	s_load_dwordx2 s[8:9], s[4:5], 0x50
	s_waitcnt lgkmcnt(0)
	s_bitcmp1_b32 s3, 0
	s_cselect_b32 s0, s7, s0
	s_cselect_b32 s1, s10, s1
	v_mov_b32_e32 v1, s0
	v_mov_b32_e32 v2, s1
	s_cselect_b32 s0, s11, s8
	s_cselect_b32 s1, s12, s9
	flat_load_dwordx4 v[5:8], v[1:2]
	v_mov_b32_e32 v1, s0
	v_mov_b32_e32 v2, s1
	flat_load_dwordx4 v[1:4], v[1:2]
	s_waitcnt vmcnt(1) lgkmcnt(1)
	v_cmp_eq_f64_e32 vcc_lo, 0, v[5:6]
	v_cmp_eq_f64_e64 s0, 0, v[7:8]
	s_and_b32 s3, vcc_lo, s0
	s_mov_b32 s0, -1
	s_and_saveexec_b32 s1, s3
	s_cbranch_execz .LBB38_2
; %bb.1:
	s_waitcnt vmcnt(0) lgkmcnt(0)
	v_cmp_neq_f64_e32 vcc_lo, 1.0, v[1:2]
	v_cmp_neq_f64_e64 s0, 0, v[3:4]
	s_or_b32 s0, vcc_lo, s0
	s_orn2_b32 s0, s0, exec_lo
.LBB38_2:
	s_or_b32 exec_lo, exec_lo, s1
	s_and_saveexec_b32 s1, s0
	s_cbranch_execz .LBB38_8
; %bb.3:
	s_clause 0x1
	s_load_dwordx2 s[8:9], s[4:5], 0x20
	s_load_dwordx2 s[0:1], s[4:5], 0x0
	v_lshrrev_b32_e32 v9, 5, v0
	v_lshl_or_b32 v77, s6, 2, v9
	s_waitcnt lgkmcnt(0)
	s_cmp_lg_u64 s[8:9], 0
	s_cbranch_scc0 .LBB38_9
; %bb.4:
	s_load_dword s3, s[4:5], 0x18
	s_mov_b32 s6, 0
                                        ; implicit-def: $vgpr9
	s_waitcnt lgkmcnt(0)
	v_cmp_gt_i32_e32 vcc_lo, s3, v77
	s_mov_b32 s3, 0
	s_and_saveexec_b32 s7, vcc_lo
	s_xor_b32 s7, exec_lo, s7
	s_cbranch_execz .LBB38_6
; %bb.5:
	v_ashrrev_i32_e32 v78, 31, v77
	s_mov_b32 s3, exec_lo
	v_lshlrev_b64 v[9:10], 2, v[77:78]
	v_add_co_u32 v9, vcc_lo, s8, v9
	v_add_co_ci_u32_e64 v10, null, s9, v10, vcc_lo
	global_load_dword v9, v[9:10], off
	s_waitcnt vmcnt(0)
	v_subrev_nc_u32_e32 v9, s2, v9
.LBB38_6:
	s_or_b32 exec_lo, exec_lo, s7
	s_and_b32 vcc_lo, exec_lo, s6
	s_cbranch_vccz .LBB38_10
.LBB38_7:
	v_cmp_gt_i32_e32 vcc_lo, s0, v77
	s_andn2_b32 s0, s3, exec_lo
	s_and_b32 s3, vcc_lo, exec_lo
	s_or_b32 s3, s0, s3
	s_and_b32 exec_lo, exec_lo, s3
	s_cbranch_execnz .LBB38_11
.LBB38_8:
	s_endpgm
.LBB38_9:
	s_mov_b32 s3, 0
                                        ; implicit-def: $vgpr9
	s_cbranch_execnz .LBB38_7
.LBB38_10:
	v_mov_b32_e32 v77, v9
	s_and_b32 exec_lo, exec_lo, s3
	s_cbranch_execz .LBB38_8
.LBB38_11:
	s_load_dwordx8 s[8:15], s[4:5], 0x28
	v_ashrrev_i32_e32 v78, 31, v77
	v_and_b32_e32 v0, 31, v0
	s_load_dwordx2 s[6:7], s[4:5], 0x48
	v_lshlrev_b64 v[9:10], 3, v[77:78]
	s_waitcnt lgkmcnt(0)
	v_add_co_u32 v11, vcc_lo, s8, v9
	v_add_co_ci_u32_e64 v12, null, s9, v10, vcc_lo
	v_add_co_u32 v9, vcc_lo, s10, v9
	v_add_co_ci_u32_e64 v10, null, s11, v10, vcc_lo
	;; [unrolled: 2-line block ×3, first 2 shown]
	global_load_dwordx2 v[100:101], v[11:12], off
	s_cmp_eq_u64 s[10:11], 0
	s_cselect_b32 vcc_lo, -1, 0
	s_cmp_eq_u32 s1, 1
	v_cndmask_b32_e32 v10, v10, v14, vcc_lo
	v_cndmask_b32_e32 v9, v9, v13, vcc_lo
	global_load_dwordx2 v[9:10], v[9:10], off
	s_waitcnt vmcnt(1)
	v_sub_co_u32 v11, vcc_lo, v100, s2
	v_subrev_co_ci_u32_e64 v12, null, 0, v101, vcc_lo
	v_add_co_u32 v78, vcc_lo, v11, v0
	v_add_co_ci_u32_e64 v79, null, 0, v12, vcc_lo
	s_waitcnt vmcnt(0)
	v_sub_co_u32 v80, vcc_lo, v9, s2
	v_subrev_co_ci_u32_e64 v81, null, 0, v10, vcc_lo
	v_lshlrev_b64 v[9:10], 8, v[78:79]
	v_cmp_lt_i64_e64 s0, v[78:79], v[80:81]
	v_add_co_u32 v82, vcc_lo, s14, v9
	v_add_co_ci_u32_e64 v83, null, s15, v10, vcc_lo
	s_cbranch_scc1 .LBB38_23
; %bb.12:
	v_mov_b32_e32 v94, 0
	v_mov_b32_e32 v96, 0
	;; [unrolled: 1-line block ×16, first 2 shown]
	s_and_saveexec_b32 s3, s0
	s_cbranch_execz .LBB38_22
; %bb.13:
	v_or_b32_e32 v9, 32, v0
	v_not_b32_e32 v13, v100
	v_not_b32_e32 v11, v101
	v_mov_b32_e32 v88, 0
	v_mov_b32_e32 v98, 0
	v_sub_co_u32 v9, s1, v9, s2
	v_sub_co_ci_u32_e64 v10, null, 0, 0, s1
	v_sub_co_u32 v14, s1, s2, v0
	v_add_co_u32 v9, vcc_lo, v9, v100
	v_add_co_ci_u32_e64 v10, null, v10, v101, vcc_lo
	v_sub_co_ci_u32_e64 v15, null, 0, 0, s1
	v_add_co_u32 v13, s1, v14, v13
	v_cmp_gt_i64_e32 vcc_lo, v[9:10], v[80:81]
	v_add_co_ci_u32_e64 v11, null, v15, v11, s1
	v_mov_b32_e32 v90, 0
	v_mov_b32_e32 v92, 0
	;; [unrolled: 1-line block ×3, first 2 shown]
	v_cndmask_b32_e32 v9, v80, v9, vcc_lo
	v_cndmask_b32_e32 v10, v81, v10, vcc_lo
	v_mov_b32_e32 v84, 0
	v_mov_b32_e32 v96, 0
	;; [unrolled: 1-line block ×3, first 2 shown]
	v_add_co_u32 v9, vcc_lo, v13, v9
	v_mov_b32_e32 v105, v83
	v_mov_b32_e32 v103, v79
	v_mov_b32_e32 v12, 0
	v_mov_b32_e32 v89, 0
	v_mov_b32_e32 v99, 0
	v_mov_b32_e32 v91, 0
	v_mov_b32_e32 v93, 0
	v_add_co_ci_u32_e64 v10, null, v11, v10, vcc_lo
	v_and_b32_e32 v11, 0x60, v9
	v_mov_b32_e32 v87, 0
	v_mov_b32_e32 v85, 0
	;; [unrolled: 1-line block ×6, first 2 shown]
	s_mov_b32 s8, exec_lo
	v_cmpx_ne_u64_e32 0x60, v[11:12]
	s_cbranch_execz .LBB38_17
; %bb.14:
	v_lshrrev_b32_e32 v13, 5, v9
	v_lshlrev_b64 v[11:12], 2, v[78:79]
	v_mov_b32_e32 v94, 0
	v_mov_b32_e32 v103, v79
	;; [unrolled: 1-line block ×3, first 2 shown]
	v_add_nc_u32_e32 v13, 1, v13
	v_mov_b32_e32 v84, 0
	v_add_co_u32 v11, vcc_lo, s12, v11
	v_mov_b32_e32 v86, 0
	v_and_b32_e32 v13, 3, v13
	v_mov_b32_e32 v92, 0
	v_mov_b32_e32 v90, 0
	;; [unrolled: 1-line block ×4, first 2 shown]
	v_sub_co_u32 v13, s1, 0, v13
	v_mov_b32_e32 v105, v83
	v_mov_b32_e32 v95, 0
	;; [unrolled: 1-line block ×5, first 2 shown]
	v_add_co_ci_u32_e64 v12, null, s13, v12, vcc_lo
	v_sub_co_ci_u32_e64 v14, null, 0, 0, s1
	v_mov_b32_e32 v87, 0
	v_mov_b32_e32 v93, 0
	;; [unrolled: 1-line block ×6, first 2 shown]
	s_mov_b32 s9, 0
.LBB38_15:                              ; =>This Inner Loop Header: Depth=1
	global_load_dword v43, v[11:12], off
	s_clause 0x6
	global_load_dwordx4 v[15:18], v[104:105], off offset:16
	global_load_dwordx4 v[19:22], v[104:105], off
	global_load_dwordx4 v[23:26], v[104:105], off offset:80
	global_load_dwordx4 v[27:30], v[104:105], off offset:64
	;; [unrolled: 1-line block ×5, first 2 shown]
	v_add_co_u32 v11, s1, 0x80, v11
	v_add_co_ci_u32_e64 v12, null, 0, v12, s1
	s_waitcnt vmcnt(7)
	v_subrev_nc_u32_e32 v43, s2, v43
	v_lshlrev_b32_e32 v43, 2, v43
	v_ashrrev_i32_e32 v44, 31, v43
	v_lshlrev_b64 v[43:44], 4, v[43:44]
	v_add_co_u32 v75, vcc_lo, s6, v43
	v_add_co_ci_u32_e64 v76, null, s7, v44, vcc_lo
	global_load_dwordx4 v[43:46], v[75:76], off
	global_load_dwordx4 v[47:50], v[104:105], off offset:208
	global_load_dwordx4 v[51:54], v[75:76], off offset:16
	s_clause 0x6
	global_load_dwordx4 v[55:58], v[104:105], off offset:48
	global_load_dwordx4 v[59:62], v[104:105], off offset:32
	;; [unrolled: 1-line block ×10, first 2 shown]
	v_add_co_u32 v104, vcc_lo, 0x2000, v104
	v_add_co_ci_u32_e64 v105, null, 0, v105, vcc_lo
	v_add_co_u32 v13, vcc_lo, v13, 1
	v_add_co_ci_u32_e64 v14, null, 0, v14, vcc_lo
	;; [unrolled: 2-line block ×3, first 2 shown]
	v_cmp_eq_u64_e32 vcc_lo, 0, v[13:14]
	s_or_b32 s9, vcc_lo, s9
	s_waitcnt vmcnt(12)
	v_fma_f64 v[75:76], v[19:20], v[43:44], v[96:97]
	v_fma_f64 v[94:95], v[21:22], v[43:44], v[94:95]
	v_fma_f64 v[96:97], v[27:28], v[43:44], v[98:99]
	v_fma_f64 v[88:89], v[29:30], v[43:44], v[88:89]
	v_fma_f64 v[92:93], v[35:36], v[43:44], v[92:93]
	v_fma_f64 v[90:91], v[37:38], v[43:44], v[90:91]
	v_fma_f64 v[84:85], v[39:40], v[43:44], v[84:85]
	v_fma_f64 v[43:44], v[41:42], v[43:44], v[86:87]
	v_fma_f64 v[21:22], -v[21:22], v[45:46], v[75:76]
	v_fma_f64 v[19:20], v[19:20], v[45:46], v[94:95]
	v_fma_f64 v[29:30], -v[29:30], v[45:46], v[96:97]
	v_fma_f64 v[27:28], v[27:28], v[45:46], v[88:89]
	v_fma_f64 v[37:38], -v[37:38], v[45:46], v[92:93]
	v_fma_f64 v[35:36], v[35:36], v[45:46], v[90:91]
	v_fma_f64 v[41:42], -v[41:42], v[45:46], v[84:85]
	v_fma_f64 v[39:40], v[39:40], v[45:46], v[43:44]
	s_waitcnt vmcnt(10)
	v_fma_f64 v[21:22], v[15:16], v[51:52], v[21:22]
	v_fma_f64 v[19:20], v[17:18], v[51:52], v[19:20]
	v_fma_f64 v[29:30], v[23:24], v[51:52], v[29:30]
	v_fma_f64 v[27:28], v[25:26], v[51:52], v[27:28]
	v_fma_f64 v[37:38], v[31:32], v[51:52], v[37:38]
	v_fma_f64 v[35:36], v[33:34], v[51:52], v[35:36]
	v_fma_f64 v[41:42], v[47:48], v[51:52], v[41:42]
	v_fma_f64 v[39:40], v[49:50], v[51:52], v[39:40]
	v_fma_f64 v[17:18], -v[17:18], v[53:54], v[21:22]
	v_fma_f64 v[15:16], v[15:16], v[53:54], v[19:20]
	v_fma_f64 v[19:20], -v[25:26], v[53:54], v[29:30]
	v_fma_f64 v[21:22], v[23:24], v[53:54], v[27:28]
	v_fma_f64 v[23:24], -v[33:34], v[53:54], v[37:38]
	v_fma_f64 v[25:26], v[31:32], v[53:54], v[35:36]
	v_fma_f64 v[27:28], -v[49:50], v[53:54], v[41:42]
	v_fma_f64 v[29:30], v[47:48], v[53:54], v[39:40]
	s_waitcnt vmcnt(2)
	v_fma_f64 v[17:18], v[59:60], v[114:115], v[17:18]
	v_fma_f64 v[15:16], v[61:62], v[114:115], v[15:16]
	v_fma_f64 v[19:20], v[67:68], v[114:115], v[19:20]
	v_fma_f64 v[21:22], v[69:70], v[114:115], v[21:22]
	v_fma_f64 v[23:24], v[106:107], v[114:115], v[23:24]
	v_fma_f64 v[25:26], v[108:109], v[114:115], v[25:26]
	v_fma_f64 v[27:28], v[110:111], v[114:115], v[27:28]
	v_fma_f64 v[29:30], v[112:113], v[114:115], v[29:30]
	v_fma_f64 v[17:18], -v[61:62], v[116:117], v[17:18]
	v_fma_f64 v[15:16], v[59:60], v[116:117], v[15:16]
	v_fma_f64 v[19:20], -v[69:70], v[116:117], v[19:20]
	v_fma_f64 v[21:22], v[67:68], v[116:117], v[21:22]
	v_fma_f64 v[23:24], -v[108:109], v[116:117], v[23:24]
	v_fma_f64 v[25:26], v[106:107], v[116:117], v[25:26]
	v_fma_f64 v[27:28], -v[112:113], v[116:117], v[27:28]
	v_fma_f64 v[29:30], v[110:111], v[116:117], v[29:30]
	s_waitcnt vmcnt(0)
	v_fma_f64 v[17:18], v[55:56], v[122:123], v[17:18]
	v_fma_f64 v[15:16], v[57:58], v[122:123], v[15:16]
	v_fma_f64 v[19:20], v[63:64], v[122:123], v[19:20]
	v_fma_f64 v[21:22], v[65:66], v[122:123], v[21:22]
	v_fma_f64 v[23:24], v[71:72], v[122:123], v[23:24]
	v_fma_f64 v[25:26], v[73:74], v[122:123], v[25:26]
	v_fma_f64 v[27:28], v[118:119], v[122:123], v[27:28]
	v_fma_f64 v[29:30], v[120:121], v[122:123], v[29:30]
	v_fma_f64 v[96:97], -v[57:58], v[124:125], v[17:18]
	v_fma_f64 v[94:95], v[55:56], v[124:125], v[15:16]
	v_fma_f64 v[98:99], -v[65:66], v[124:125], v[19:20]
	v_fma_f64 v[88:89], v[63:64], v[124:125], v[21:22]
	v_fma_f64 v[92:93], -v[73:74], v[124:125], v[23:24]
	v_fma_f64 v[90:91], v[71:72], v[124:125], v[25:26]
	v_fma_f64 v[84:85], -v[120:121], v[124:125], v[27:28]
	v_fma_f64 v[86:87], v[118:119], v[124:125], v[29:30]
	s_andn2_b32 exec_lo, exec_lo, s9
	s_cbranch_execnz .LBB38_15
; %bb.16:
	s_or_b32 exec_lo, exec_lo, s9
.LBB38_17:
	s_or_b32 exec_lo, exec_lo, s8
	s_mov_b32 s8, exec_lo
	v_cmpx_lt_u64_e32 0x5f, v[9:10]
	s_cbranch_execz .LBB38_21
; %bb.18:
	v_lshlrev_b64 v[9:10], 2, v[102:103]
	s_mov_b32 s9, 0
	v_add_co_u32 v9, vcc_lo, s12, v9
	v_add_co_ci_u32_e64 v10, null, s13, v10, vcc_lo
	v_add_co_u32 v106, vcc_lo, 0x100, v9
	v_add_co_ci_u32_e64 v107, null, 0, v10, vcc_lo
.LBB38_19:                              ; =>This Inner Loop Header: Depth=1
	global_load_dword v111, v[106:107], off offset:-256
	s_clause 0xf
	global_load_dwordx4 v[9:12], v[104:105], off offset:48
	global_load_dwordx4 v[13:16], v[104:105], off offset:32
	;; [unrolled: 1-line block ×3, first 2 shown]
	global_load_dwordx4 v[41:44], v[104:105], off
	global_load_dwordx4 v[17:20], v[104:105], off offset:112
	global_load_dwordx4 v[33:36], v[104:105], off offset:96
	;; [unrolled: 1-line block ×12, first 2 shown]
	s_clause 0x2
	global_load_dword v177, v[106:107], off offset:-128
	global_load_dword v110, v[106:107], off
	global_load_dword v112, v[106:107], off offset:128
	v_add_co_u32 v165, vcc_lo, 0x2000, v104
	v_add_co_ci_u32_e64 v166, null, 0, v105, vcc_lo
	v_add_co_u32 v167, vcc_lo, 0x4000, v104
	v_add_co_ci_u32_e64 v168, null, 0, v105, vcc_lo
	;; [unrolled: 2-line block ×3, first 2 shown]
	s_clause 0xb
	global_load_dwordx4 v[113:116], v[165:166], off offset:48
	global_load_dwordx4 v[117:120], v[165:166], off offset:32
	global_load_dwordx4 v[121:124], v[165:166], off
	global_load_dwordx4 v[125:128], v[165:166], off offset:16
	global_load_dwordx4 v[129:132], v[165:166], off offset:112
	;; [unrolled: 1-line block ×9, first 2 shown]
	v_add_co_u32 v104, s1, 0x8000, v104
	v_add_co_ci_u32_e64 v105, null, 0, v105, s1
	s_waitcnt vmcnt(31)
	v_subrev_nc_u32_e32 v111, s2, v111
	v_lshlrev_b32_e32 v157, 2, v111
	v_ashrrev_i32_e32 v158, 31, v157
	v_lshlrev_b64 v[157:158], 4, v[157:158]
	v_add_co_u32 v169, vcc_lo, s6, v157
	v_add_co_ci_u32_e64 v170, null, s7, v158, vcc_lo
	s_clause 0x1
	global_load_dwordx4 v[157:160], v[169:170], off
	global_load_dwordx4 v[161:164], v[169:170], off offset:16
	s_waitcnt vmcnt(1)
	v_fma_f64 v[96:97], v[41:42], v[157:158], v[96:97]
	v_fma_f64 v[94:95], v[43:44], v[157:158], v[94:95]
	;; [unrolled: 1-line block ×8, first 2 shown]
	v_fma_f64 v[43:44], -v[43:44], v[159:160], v[96:97]
	v_fma_f64 v[41:42], v[41:42], v[159:160], v[94:95]
	v_fma_f64 v[98:99], -v[59:60], v[159:160], v[98:99]
	v_fma_f64 v[88:89], v[57:58], v[159:160], v[88:89]
	s_clause 0x1
	global_load_dwordx4 v[94:97], v[165:166], off offset:240
	global_load_dwordx4 v[57:60], v[165:166], off offset:224
	v_fma_f64 v[92:93], -v[67:68], v[159:160], v[92:93]
	v_fma_f64 v[90:91], v[65:66], v[159:160], v[90:91]
	global_load_dwordx4 v[65:68], v[165:166], off offset:208
	v_fma_f64 v[157:158], -v[75:76], v[159:160], v[84:85]
	v_fma_f64 v[159:160], v[73:74], v[159:160], v[86:87]
	s_clause 0x1
	global_load_dwordx4 v[73:76], v[165:166], off offset:192
	global_load_dwordx4 v[84:87], v[167:168], off
	s_waitcnt vmcnt(5)
	v_fma_f64 v[43:44], v[25:26], v[161:162], v[43:44]
	v_fma_f64 v[41:42], v[27:28], v[161:162], v[41:42]
	v_fma_f64 v[165:166], -v[27:28], v[163:164], v[43:44]
	v_fma_f64 v[171:172], v[25:26], v[163:164], v[41:42]
	v_fma_f64 v[41:42], v[45:46], v[161:162], v[98:99]
	v_fma_f64 v[43:44], v[47:48], v[161:162], v[88:89]
	global_load_dwordx4 v[25:28], v[167:168], off offset:48
	v_fma_f64 v[98:99], -v[47:48], v[163:164], v[41:42]
	v_fma_f64 v[173:174], v[45:46], v[163:164], v[43:44]
	v_fma_f64 v[45:46], v[53:54], v[161:162], v[92:93]
	v_fma_f64 v[47:48], v[55:56], v[161:162], v[90:91]
	global_load_dwordx4 v[41:44], v[167:168], off offset:32
	;; [unrolled: 5-line block ×3, first 2 shown]
	v_fma_f64 v[157:158], -v[63:64], v[163:164], v[45:46]
	v_fma_f64 v[159:160], v[61:62], v[163:164], v[47:48]
	global_load_dwordx4 v[45:48], v[167:168], off offset:112
	s_clause 0x1
	global_load_dwordx4 v[61:64], v[169:170], off offset:32
	global_load_dwordx4 v[88:91], v[169:170], off offset:48
	s_waitcnt vmcnt(1)
	v_fma_f64 v[161:162], v[13:14], v[61:62], v[165:166]
	v_fma_f64 v[163:164], v[15:16], v[61:62], v[171:172]
	;; [unrolled: 1-line block ×8, first 2 shown]
	v_fma_f64 v[161:162], -v[15:16], v[63:64], v[161:162]
	v_fma_f64 v[163:164], v[13:14], v[63:64], v[163:164]
	v_fma_f64 v[98:99], -v[35:36], v[63:64], v[98:99]
	v_fma_f64 v[165:166], v[33:34], v[63:64], v[165:166]
	;; [unrolled: 2-line block ×4, first 2 shown]
	v_subrev_nc_u32_e32 v61, s2, v177
	s_clause 0x3
	global_load_dwordx4 v[13:16], v[167:168], off offset:96
	global_load_dwordx4 v[33:36], v[167:168], off offset:80
	global_load_dwordx4 v[37:40], v[167:168], off offset:64
	global_load_dwordx4 v[49:52], v[167:168], off offset:176
	v_lshlrev_b32_e32 v61, 2, v61
	v_ashrrev_i32_e32 v62, 31, v61
	s_waitcnt vmcnt(4)
	v_fma_f64 v[161:162], v[9:10], v[88:89], v[161:162]
	v_fma_f64 v[163:164], v[11:12], v[88:89], v[163:164]
	;; [unrolled: 1-line block ×8, first 2 shown]
	v_lshlrev_b64 v[61:62], 4, v[61:62]
	v_add_co_u32 v171, vcc_lo, s6, v61
	v_add_co_ci_u32_e64 v172, null, s7, v62, vcc_lo
	global_load_dwordx4 v[61:64], v[167:168], off offset:160
	v_fma_f64 v[161:162], -v[11:12], v[90:91], v[161:162]
	v_fma_f64 v[163:164], v[9:10], v[90:91], v[163:164]
	global_load_dwordx4 v[9:12], v[167:168], off offset:144
	v_fma_f64 v[98:99], -v[19:20], v[90:91], v[98:99]
	v_fma_f64 v[165:166], v[17:18], v[90:91], v[165:166]
	;; [unrolled: 3-line block ×4, first 2 shown]
	s_clause 0x1
	global_load_dwordx4 v[29:32], v[171:172], off
	global_load_dwordx4 v[88:91], v[171:172], off offset:16
	s_waitcnt vmcnt(1)
	v_fma_f64 v[161:162], v[121:122], v[29:30], v[161:162]
	v_fma_f64 v[163:164], v[123:124], v[29:30], v[163:164]
	;; [unrolled: 1-line block ×8, first 2 shown]
	v_fma_f64 v[161:162], -v[123:124], v[31:32], v[161:162]
	v_fma_f64 v[163:164], v[121:122], v[31:32], v[163:164]
	v_fma_f64 v[98:99], -v[143:144], v[31:32], v[98:99]
	v_fma_f64 v[165:166], v[141:142], v[31:32], v[165:166]
	;; [unrolled: 2-line block ×4, first 2 shown]
	s_clause 0x4
	global_load_dwordx4 v[121:124], v[167:168], off offset:224
	global_load_dwordx4 v[141:144], v[167:168], off offset:208
	;; [unrolled: 1-line block ×3, first 2 shown]
	global_load_dwordx4 v[29:32], v[108:109], off
	global_load_dwordx4 v[73:76], v[108:109], off offset:48
	s_waitcnt vmcnt(5)
	v_fma_f64 v[161:162], v[125:126], v[88:89], v[161:162]
	v_fma_f64 v[163:164], v[127:128], v[88:89], v[163:164]
	;; [unrolled: 1-line block ×8, first 2 shown]
	v_fma_f64 v[161:162], -v[127:128], v[90:91], v[161:162]
	v_fma_f64 v[163:164], v[125:126], v[90:91], v[163:164]
	global_load_dwordx4 v[125:128], v[108:109], off offset:32
	v_fma_f64 v[98:99], -v[139:140], v[90:91], v[98:99]
	v_fma_f64 v[165:166], v[137:138], v[90:91], v[165:166]
	global_load_dwordx4 v[137:140], v[108:109], off offset:16
	;; [unrolled: 3-line block ×4, first 2 shown]
	s_clause 0x1
	global_load_dwordx4 v[88:91], v[171:172], off offset:32
	global_load_dwordx4 v[157:160], v[171:172], off offset:48
	v_subrev_nc_u32_e32 v171, s2, v110
	s_waitcnt vmcnt(1)
	v_fma_f64 v[161:162], v[117:118], v[88:89], v[161:162]
	v_fma_f64 v[163:164], v[119:120], v[88:89], v[163:164]
	;; [unrolled: 1-line block ×8, first 2 shown]
	v_fma_f64 v[161:162], -v[119:120], v[90:91], v[161:162]
	v_fma_f64 v[163:164], v[117:118], v[90:91], v[163:164]
	v_fma_f64 v[98:99], -v[135:136], v[90:91], v[98:99]
	v_fma_f64 v[165:166], v[133:134], v[90:91], v[165:166]
	v_fma_f64 v[92:93], -v[147:148], v[90:91], v[92:93]
	v_fma_f64 v[167:168], v[145:146], v[90:91], v[167:168]
	v_fma_f64 v[110:111], -v[59:60], v[90:91], v[110:111]
	v_fma_f64 v[169:170], v[57:58], v[90:91], v[88:89]
	v_lshlrev_b32_e32 v57, 2, v171
	s_clause 0x2
	global_load_dwordx4 v[117:120], v[108:109], off offset:80
	global_load_dwordx4 v[133:136], v[108:109], off offset:64
	;; [unrolled: 1-line block ×3, first 2 shown]
	v_ashrrev_i32_e32 v58, 31, v57
	v_lshlrev_b64 v[57:58], 4, v[57:58]
	s_waitcnt vmcnt(3)
	v_fma_f64 v[88:89], v[113:114], v[157:158], v[161:162]
	v_fma_f64 v[90:91], v[115:116], v[157:158], v[163:164]
	v_add_co_u32 v171, vcc_lo, s6, v57
	v_add_co_ci_u32_e64 v172, null, s7, v58, vcc_lo
	v_fma_f64 v[98:99], v[129:130], v[157:158], v[98:99]
	v_fma_f64 v[92:93], v[69:70], v[157:158], v[92:93]
	global_load_dwordx4 v[57:60], v[171:172], off
	v_fma_f64 v[161:162], -v[115:116], v[159:160], v[88:89]
	v_fma_f64 v[163:164], v[113:114], v[159:160], v[90:91]
	global_load_dwordx4 v[88:91], v[171:172], off offset:16
	v_fma_f64 v[113:114], v[131:132], v[157:158], v[165:166]
	v_fma_f64 v[165:166], -v[131:132], v[159:160], v[98:99]
	v_fma_f64 v[98:99], v[71:72], v[157:158], v[167:168]
	v_fma_f64 v[167:168], -v[71:72], v[159:160], v[92:93]
	v_fma_f64 v[92:93], v[94:95], v[157:158], v[110:111]
	v_fma_f64 v[173:174], v[129:130], v[159:160], v[113:114]
	global_load_dwordx4 v[113:116], v[171:172], off offset:32
	v_fma_f64 v[175:176], v[69:70], v[159:160], v[98:99]
	v_fma_f64 v[98:99], v[96:97], v[157:158], v[169:170]
	v_fma_f64 v[110:111], -v[96:97], v[159:160], v[92:93]
	v_subrev_nc_u32_e32 v96, s2, v112
	global_load_dwordx4 v[69:72], v[108:109], off offset:128
	v_lshlrev_b32_e32 v129, 2, v96
	v_ashrrev_i32_e32 v130, 31, v129
	v_lshlrev_b64 v[129:130], 4, v[129:130]
	v_fma_f64 v[157:158], v[94:95], v[159:160], v[98:99]
	global_load_dwordx4 v[96:99], v[171:172], off offset:48
	v_add_co_u32 v159, vcc_lo, s6, v129
	v_add_co_ci_u32_e64 v160, null, s7, v130, vcc_lo
	s_clause 0x1
	global_load_dwordx4 v[129:132], v[108:109], off offset:192
	global_load_dwordx4 v[92:95], v[108:109], off offset:208
	v_add_co_u32 v102, vcc_lo, 0x80, v102
	v_add_co_ci_u32_e64 v103, null, 0, v103, vcc_lo
	v_add_co_u32 v106, vcc_lo, 0x200, v106
	v_add_co_ci_u32_e64 v107, null, 0, v107, vcc_lo
	v_cmp_ge_i64_e32 vcc_lo, v[102:103], v[80:81]
	s_or_b32 s9, vcc_lo, s9
	s_waitcnt vmcnt(6)
	v_fma_f64 v[161:162], v[84:85], v[57:58], v[161:162]
	v_fma_f64 v[163:164], v[86:87], v[57:58], v[163:164]
	;; [unrolled: 1-line block ×8, first 2 shown]
	v_fma_f64 v[161:162], -v[86:87], v[59:60], v[161:162]
	v_fma_f64 v[163:164], v[84:85], v[59:60], v[163:164]
	global_load_dwordx4 v[84:87], v[159:160], off
	v_fma_f64 v[165:166], -v[39:40], v[59:60], v[165:166]
	v_fma_f64 v[169:170], v[37:38], v[59:60], v[169:170]
	global_load_dwordx4 v[37:40], v[159:160], off offset:16
	v_fma_f64 v[167:168], -v[19:20], v[59:60], v[167:168]
	v_fma_f64 v[171:172], v[17:18], v[59:60], v[171:172]
	global_load_dwordx4 v[17:20], v[108:109], off offset:160
	;; [unrolled: 3-line block ×3, first 2 shown]
	global_load_dwordx4 v[153:156], v[159:160], off offset:32
	s_waitcnt vmcnt(10)
	v_fma_f64 v[110:111], v[53:54], v[88:89], v[161:162]
	v_fma_f64 v[161:162], v[55:56], v[88:89], v[163:164]
	;; [unrolled: 1-line block ×3, first 2 shown]
	v_fma_f64 v[163:164], -v[55:56], v[90:91], v[110:111]
	v_fma_f64 v[110:111], v[33:34], v[88:89], v[165:166]
	v_fma_f64 v[165:166], v[35:36], v[88:89], v[169:170]
	;; [unrolled: 1-line block ×3, first 2 shown]
	global_load_dwordx4 v[53:56], v[108:109], off offset:176
	v_fma_f64 v[169:170], -v[35:36], v[90:91], v[110:111]
	v_fma_f64 v[165:166], v[33:34], v[90:91], v[165:166]
	global_load_dwordx4 v[33:36], v[108:109], off offset:240
	global_load_dwordx4 v[108:111], v[159:160], off offset:48
	v_fma_f64 v[159:160], v[9:10], v[88:89], v[167:168]
	v_fma_f64 v[167:168], v[11:12], v[88:89], v[171:172]
	v_fma_f64 v[88:89], v[143:144], v[88:89], v[173:174]
	v_fma_f64 v[143:144], -v[143:144], v[90:91], v[157:158]
	s_waitcnt vmcnt(12)
	v_fma_f64 v[157:158], v[13:14], v[113:114], v[169:170]
	v_fma_f64 v[11:12], -v[11:12], v[90:91], v[159:160]
	v_fma_f64 v[9:10], v[9:10], v[90:91], v[167:168]
	v_fma_f64 v[88:89], v[141:142], v[90:91], v[88:89]
	;; [unrolled: 1-line block ×6, first 2 shown]
	v_fma_f64 v[15:16], -v[15:16], v[115:116], v[157:158]
	v_fma_f64 v[11:12], v[61:62], v[113:114], v[11:12]
	v_fma_f64 v[9:10], v[63:64], v[113:114], v[9:10]
	;; [unrolled: 1-line block ×3, first 2 shown]
	v_fma_f64 v[43:44], -v[43:44], v[115:116], v[90:91]
	v_fma_f64 v[41:42], v[41:42], v[115:116], v[141:142]
	v_fma_f64 v[13:14], v[13:14], v[115:116], v[159:160]
	s_waitcnt vmcnt(10)
	v_fma_f64 v[15:16], v[45:46], v[96:97], v[15:16]
	v_fma_f64 v[11:12], -v[63:64], v[115:116], v[11:12]
	v_fma_f64 v[9:10], v[61:62], v[115:116], v[9:10]
	v_fma_f64 v[61:62], -v[123:124], v[115:116], v[143:144]
	v_fma_f64 v[63:64], v[121:122], v[115:116], v[88:89]
	v_fma_f64 v[43:44], v[25:26], v[96:97], v[43:44]
	;; [unrolled: 1-line block ×4, first 2 shown]
	v_fma_f64 v[15:16], -v[47:48], v[98:99], v[15:16]
	v_fma_f64 v[11:12], v[49:50], v[96:97], v[11:12]
	v_fma_f64 v[9:10], v[51:52], v[96:97], v[9:10]
	;; [unrolled: 1-line block ×4, first 2 shown]
	v_fma_f64 v[27:28], -v[27:28], v[98:99], v[43:44]
	v_fma_f64 v[25:26], v[25:26], v[98:99], v[41:42]
	v_fma_f64 v[13:14], v[45:46], v[98:99], v[13:14]
	v_fma_f64 v[11:12], -v[51:52], v[98:99], v[11:12]
	v_fma_f64 v[9:10], v[49:50], v[98:99], v[9:10]
	v_fma_f64 v[23:24], -v[23:24], v[98:99], v[61:62]
	v_fma_f64 v[21:22], v[21:22], v[98:99], v[63:64]
	s_waitcnt vmcnt(7)
	v_fma_f64 v[27:28], v[29:30], v[84:85], v[27:28]
	v_fma_f64 v[25:26], v[31:32], v[84:85], v[25:26]
	v_fma_f64 v[15:16], v[133:134], v[84:85], v[15:16]
	v_fma_f64 v[13:14], v[135:136], v[84:85], v[13:14]
	v_fma_f64 v[11:12], v[69:70], v[84:85], v[11:12]
	v_fma_f64 v[9:10], v[71:72], v[84:85], v[9:10]
	v_fma_f64 v[23:24], v[129:130], v[84:85], v[23:24]
	v_fma_f64 v[21:22], v[131:132], v[84:85], v[21:22]
	v_fma_f64 v[27:28], -v[31:32], v[86:87], v[27:28]
	v_fma_f64 v[25:26], v[29:30], v[86:87], v[25:26]
	v_fma_f64 v[15:16], -v[135:136], v[86:87], v[15:16]
	v_fma_f64 v[13:14], v[133:134], v[86:87], v[13:14]
	v_fma_f64 v[11:12], -v[71:72], v[86:87], v[11:12]
	v_fma_f64 v[9:10], v[69:70], v[86:87], v[9:10]
	v_fma_f64 v[23:24], -v[131:132], v[86:87], v[23:24]
	v_fma_f64 v[21:22], v[129:130], v[86:87], v[21:22]
	s_waitcnt vmcnt(6)
	v_fma_f64 v[27:28], v[137:138], v[37:38], v[27:28]
	v_fma_f64 v[25:26], v[139:140], v[37:38], v[25:26]
	v_fma_f64 v[15:16], v[117:118], v[37:38], v[15:16]
	v_fma_f64 v[13:14], v[119:120], v[37:38], v[13:14]
	v_fma_f64 v[11:12], v[145:146], v[37:38], v[11:12]
	v_fma_f64 v[9:10], v[147:148], v[37:38], v[9:10]
	v_fma_f64 v[23:24], v[92:93], v[37:38], v[23:24]
	v_fma_f64 v[21:22], v[94:95], v[37:38], v[21:22]
	v_fma_f64 v[27:28], -v[139:140], v[39:40], v[27:28]
	v_fma_f64 v[25:26], v[137:138], v[39:40], v[25:26]
	v_fma_f64 v[15:16], -v[119:120], v[39:40], v[15:16]
	;; [unrolled: 17-line block ×4, first 2 shown]
	v_fma_f64 v[88:89], v[149:150], v[110:111], v[13:14]
	v_fma_f64 v[92:93], -v[55:56], v[110:111], v[11:12]
	v_fma_f64 v[90:91], v[53:54], v[110:111], v[9:10]
	v_fma_f64 v[84:85], -v[35:36], v[110:111], v[17:18]
	v_fma_f64 v[86:87], v[33:34], v[110:111], v[19:20]
	s_andn2_b32 exec_lo, exec_lo, s9
	s_cbranch_execnz .LBB38_19
; %bb.20:
	s_or_b32 exec_lo, exec_lo, s9
.LBB38_21:
	s_or_b32 exec_lo, exec_lo, s8
.LBB38_22:
	s_or_b32 exec_lo, exec_lo, s3
	s_cbranch_execz .LBB38_24
	s_branch .LBB38_35
.LBB38_23:
                                        ; implicit-def: $vgpr94_vgpr95
                                        ; implicit-def: $vgpr96_vgpr97
                                        ; implicit-def: $vgpr84_vgpr85
                                        ; implicit-def: $vgpr86_vgpr87
                                        ; implicit-def: $vgpr92_vgpr93
                                        ; implicit-def: $vgpr90_vgpr91
                                        ; implicit-def: $vgpr98_vgpr99
                                        ; implicit-def: $vgpr88_vgpr89
.LBB38_24:
	v_mov_b32_e32 v94, 0
	v_mov_b32_e32 v96, 0
	;; [unrolled: 1-line block ×16, first 2 shown]
	s_and_saveexec_b32 s1, s0
	s_cbranch_execz .LBB38_34
; %bb.25:
	v_or_b32_e32 v9, 32, v0
	v_not_b32_e32 v13, v100
	v_not_b32_e32 v11, v101
	v_mov_b32_e32 v88, 0
	v_mov_b32_e32 v98, 0
	v_sub_co_u32 v9, s0, v9, s2
	v_sub_co_ci_u32_e64 v10, null, 0, 0, s0
	v_sub_co_u32 v14, s0, s2, v0
	v_add_co_u32 v9, vcc_lo, v9, v100
	v_add_co_ci_u32_e64 v10, null, v10, v101, vcc_lo
	v_sub_co_ci_u32_e64 v15, null, 0, 0, s0
	v_add_co_u32 v13, s0, v14, v13
	v_cmp_gt_i64_e32 vcc_lo, v[9:10], v[80:81]
	v_add_co_ci_u32_e64 v11, null, v15, v11, s0
	v_mov_b32_e32 v90, 0
	v_mov_b32_e32 v92, 0
	;; [unrolled: 1-line block ×3, first 2 shown]
	v_cndmask_b32_e32 v9, v80, v9, vcc_lo
	v_cndmask_b32_e32 v10, v81, v10, vcc_lo
	v_mov_b32_e32 v84, 0
	v_mov_b32_e32 v96, 0
	;; [unrolled: 1-line block ×3, first 2 shown]
	v_add_co_u32 v9, vcc_lo, v13, v9
	v_mov_b32_e32 v12, 0
	v_mov_b32_e32 v89, 0
	;; [unrolled: 1-line block ×4, first 2 shown]
	v_add_co_ci_u32_e64 v10, null, v11, v10, vcc_lo
	v_and_b32_e32 v11, 0x60, v9
	v_mov_b32_e32 v93, 0
	v_mov_b32_e32 v87, 0
	;; [unrolled: 1-line block ×5, first 2 shown]
	s_mov_b32 s3, exec_lo
	v_cmpx_ne_u64_e32 0x60, v[11:12]
	s_cbranch_execz .LBB38_29
; %bb.26:
	v_lshrrev_b32_e32 v13, 5, v9
	v_lshlrev_b64 v[11:12], 2, v[78:79]
	v_mov_b32_e32 v94, 0
	v_mov_b32_e32 v96, 0
	v_mov_b32_e32 v84, 0
	v_add_nc_u32_e32 v13, 1, v13
	v_mov_b32_e32 v86, 0
	v_add_co_u32 v11, vcc_lo, s12, v11
	v_mov_b32_e32 v92, 0
	v_and_b32_e32 v13, 3, v13
	v_mov_b32_e32 v90, 0
	v_mov_b32_e32 v98, 0
	;; [unrolled: 1-line block ×4, first 2 shown]
	v_sub_co_u32 v13, s0, 0, v13
	v_mov_b32_e32 v97, 0
	v_mov_b32_e32 v85, 0
	v_add_co_ci_u32_e64 v12, null, s13, v12, vcc_lo
	v_mov_b32_e32 v87, 0
	v_mov_b32_e32 v93, 0
	v_mov_b32_e32 v91, 0
	v_mov_b32_e32 v99, 0
	v_mov_b32_e32 v89, 0
	v_sub_co_ci_u32_e64 v14, null, 0, 0, s0
	s_mov_b32 s8, 0
.LBB38_27:                              ; =>This Inner Loop Header: Depth=1
	global_load_dword v31, v[11:12], off
	s_clause 0x3
	global_load_dwordx4 v[15:18], v[82:83], off offset:48
	global_load_dwordx4 v[19:22], v[82:83], off offset:32
	;; [unrolled: 1-line block ×3, first 2 shown]
	global_load_dwordx4 v[27:30], v[82:83], off
	v_add_co_u32 v11, s0, 0x80, v11
	v_add_co_ci_u32_e64 v12, null, 0, v12, s0
	s_waitcnt vmcnt(4)
	v_subrev_nc_u32_e32 v31, s2, v31
	v_lshlrev_b32_e32 v31, 2, v31
	v_ashrrev_i32_e32 v32, 31, v31
	v_lshlrev_b64 v[31:32], 4, v[31:32]
	v_add_co_u32 v75, vcc_lo, s6, v31
	v_add_co_ci_u32_e64 v76, null, s7, v32, vcc_lo
	global_load_dwordx4 v[31:34], v[75:76], off
	s_clause 0x3
	global_load_dwordx4 v[35:38], v[82:83], off offset:64
	global_load_dwordx4 v[39:42], v[82:83], off offset:80
	;; [unrolled: 1-line block ×5, first 2 shown]
	s_clause 0x3
	global_load_dwordx4 v[55:58], v[82:83], off offset:176
	global_load_dwordx4 v[59:62], v[82:83], off offset:160
	;; [unrolled: 1-line block ×4, first 2 shown]
	s_clause 0x1
	global_load_dwordx4 v[71:74], v[75:76], off offset:32
	global_load_dwordx4 v[100:103], v[75:76], off offset:48
	s_clause 0x3
	global_load_dwordx4 v[104:107], v[82:83], off offset:192
	global_load_dwordx4 v[108:111], v[82:83], off offset:208
	;; [unrolled: 1-line block ×4, first 2 shown]
	v_add_co_u32 v82, vcc_lo, 0x2000, v82
	v_add_co_ci_u32_e64 v83, null, 0, v83, vcc_lo
	v_add_co_u32 v13, vcc_lo, v13, 1
	v_add_co_ci_u32_e64 v14, null, 0, v14, vcc_lo
	v_add_co_u32 v78, vcc_lo, v78, 32
	v_add_co_ci_u32_e64 v79, null, 0, v79, vcc_lo
	v_cmp_eq_u64_e32 vcc_lo, 0, v[13:14]
	s_or_b32 s8, vcc_lo, s8
	s_waitcnt vmcnt(15)
	v_fma_f64 v[75:76], v[27:28], v[31:32], v[96:97]
	v_fma_f64 v[94:95], v[29:30], v[31:32], v[94:95]
	v_fma_f64 v[96:97], v[23:24], v[31:32], v[98:99]
	v_fma_f64 v[88:89], v[25:26], v[31:32], v[88:89]
	v_fma_f64 v[92:93], v[19:20], v[31:32], v[92:93]
	v_fma_f64 v[90:91], v[21:22], v[31:32], v[90:91]
	v_fma_f64 v[84:85], v[15:16], v[31:32], v[84:85]
	v_fma_f64 v[31:32], v[17:18], v[31:32], v[86:87]
	v_fma_f64 v[29:30], -v[29:30], v[33:34], v[75:76]
	v_fma_f64 v[27:28], v[27:28], v[33:34], v[94:95]
	v_fma_f64 v[25:26], -v[25:26], v[33:34], v[96:97]
	v_fma_f64 v[23:24], v[23:24], v[33:34], v[88:89]
	v_fma_f64 v[21:22], -v[21:22], v[33:34], v[92:93]
	v_fma_f64 v[19:20], v[19:20], v[33:34], v[90:91]
	v_fma_f64 v[17:18], -v[17:18], v[33:34], v[84:85]
	v_fma_f64 v[15:16], v[15:16], v[33:34], v[31:32]
	s_waitcnt vmcnt(10)
	v_fma_f64 v[29:30], v[35:36], v[51:52], v[29:30]
	v_fma_f64 v[27:28], v[37:38], v[51:52], v[27:28]
	v_fma_f64 v[25:26], v[39:40], v[51:52], v[25:26]
	v_fma_f64 v[23:24], v[41:42], v[51:52], v[23:24]
	v_fma_f64 v[21:22], v[43:44], v[51:52], v[21:22]
	v_fma_f64 v[19:20], v[45:46], v[51:52], v[19:20]
	v_fma_f64 v[17:18], v[47:48], v[51:52], v[17:18]
	v_fma_f64 v[15:16], v[49:50], v[51:52], v[15:16]
	v_fma_f64 v[29:30], -v[37:38], v[53:54], v[29:30]
	v_fma_f64 v[27:28], v[35:36], v[53:54], v[27:28]
	v_fma_f64 v[25:26], -v[41:42], v[53:54], v[25:26]
	v_fma_f64 v[23:24], v[39:40], v[53:54], v[23:24]
	v_fma_f64 v[21:22], -v[45:46], v[53:54], v[21:22]
	v_fma_f64 v[19:20], v[43:44], v[53:54], v[19:20]
	v_fma_f64 v[17:18], -v[49:50], v[53:54], v[17:18]
	v_fma_f64 v[15:16], v[47:48], v[53:54], v[15:16]
	;; [unrolled: 17-line block ×3, first 2 shown]
	s_waitcnt vmcnt(3)
	v_fma_f64 v[29:30], v[104:105], v[100:101], v[29:30]
	v_fma_f64 v[27:28], v[106:107], v[100:101], v[27:28]
	s_waitcnt vmcnt(2)
	v_fma_f64 v[25:26], v[108:109], v[100:101], v[25:26]
	v_fma_f64 v[23:24], v[110:111], v[100:101], v[23:24]
	;; [unrolled: 3-line block ×4, first 2 shown]
	v_fma_f64 v[96:97], -v[106:107], v[102:103], v[29:30]
	v_fma_f64 v[94:95], v[104:105], v[102:103], v[27:28]
	v_fma_f64 v[98:99], -v[110:111], v[102:103], v[25:26]
	v_fma_f64 v[88:89], v[108:109], v[102:103], v[23:24]
	;; [unrolled: 2-line block ×4, first 2 shown]
	s_andn2_b32 exec_lo, exec_lo, s8
	s_cbranch_execnz .LBB38_27
; %bb.28:
	s_or_b32 exec_lo, exec_lo, s8
.LBB38_29:
	s_or_b32 exec_lo, exec_lo, s3
	s_mov_b32 s3, exec_lo
	v_cmpx_lt_u64_e32 0x5f, v[9:10]
	s_cbranch_execz .LBB38_33
; %bb.30:
	v_lshlrev_b64 v[9:10], 2, v[78:79]
	s_mov_b32 s8, 0
	v_add_co_u32 v9, vcc_lo, s12, v9
	v_add_co_ci_u32_e64 v10, null, s13, v10, vcc_lo
	v_add_co_u32 v73, vcc_lo, 0x100, v9
	v_add_co_ci_u32_e64 v74, null, 0, v10, vcc_lo
.LBB38_31:                              ; =>This Inner Loop Header: Depth=1
	global_load_dword v101, v[73:74], off offset:-256
	s_clause 0xf
	global_load_dwordx4 v[9:12], v[82:83], off offset:48
	global_load_dwordx4 v[17:20], v[82:83], off offset:32
	;; [unrolled: 1-line block ×3, first 2 shown]
	global_load_dwordx4 v[45:48], v[82:83], off
	global_load_dwordx4 v[37:40], v[82:83], off offset:112
	global_load_dwordx4 v[49:52], v[82:83], off offset:96
	;; [unrolled: 1-line block ×12, first 2 shown]
	v_add_co_u32 v142, vcc_lo, 0x2000, v82
	v_add_co_ci_u32_e64 v143, null, 0, v83, vcc_lo
	v_add_co_u32 v144, vcc_lo, 0x4000, v82
	v_add_co_ci_u32_e64 v145, null, 0, v83, vcc_lo
	;; [unrolled: 2-line block ×3, first 2 shown]
	s_clause 0x2
	global_load_dword v156, v[73:74], off offset:-128
	global_load_dword v100, v[73:74], off
	global_load_dword v157, v[73:74], off offset:128
	s_clause 0x7
	global_load_dwordx4 v[102:105], v[142:143], off offset:48
	global_load_dwordx4 v[106:109], v[142:143], off offset:32
	global_load_dwordx4 v[110:113], v[142:143], off
	global_load_dwordx4 v[114:117], v[142:143], off offset:16
	global_load_dwordx4 v[118:121], v[142:143], off offset:112
	;; [unrolled: 1-line block ×5, first 2 shown]
	v_add_co_u32 v82, s0, 0x8000, v82
	v_add_co_ci_u32_e64 v83, null, 0, v83, s0
	s_waitcnt vmcnt(27)
	v_subrev_nc_u32_e32 v101, s2, v101
	v_lshlrev_b32_e32 v134, 2, v101
	v_ashrrev_i32_e32 v135, 31, v134
	v_lshlrev_b64 v[134:135], 4, v[134:135]
	v_add_co_u32 v146, vcc_lo, s6, v134
	v_add_co_ci_u32_e64 v147, null, s7, v135, vcc_lo
	s_clause 0x1
	global_load_dwordx4 v[134:137], v[146:147], off
	global_load_dwordx4 v[138:141], v[146:147], off offset:16
	s_waitcnt vmcnt(11)
	v_subrev_nc_u32_e32 v100, s2, v100
	s_waitcnt vmcnt(1)
	v_fma_f64 v[88:89], v[31:32], v[134:135], v[88:89]
	v_fma_f64 v[94:95], v[47:48], v[134:135], v[94:95]
	;; [unrolled: 1-line block ×10, first 2 shown]
	v_fma_f64 v[92:93], -v[19:20], v[136:137], v[92:93]
	v_fma_f64 v[90:91], v[17:18], v[136:137], v[90:91]
	v_fma_f64 v[96:97], -v[47:48], v[136:137], v[96:97]
	v_fma_f64 v[98:99], -v[31:32], v[136:137], v[98:99]
	;; [unrolled: 1-line block ×3, first 2 shown]
	v_fma_f64 v[136:137], v[9:10], v[136:137], v[86:87]
	s_clause 0x4
	global_load_dwordx4 v[45:48], v[142:143], off offset:176
	global_load_dwordx4 v[29:32], v[142:143], off offset:160
	global_load_dwordx4 v[17:20], v[142:143], off offset:144
	global_load_dwordx4 v[9:12], v[142:143], off offset:128
	global_load_dwordx4 v[84:87], v[142:143], off offset:240
	s_waitcnt vmcnt(5)
	v_fma_f64 v[88:89], v[59:60], v[138:139], v[88:89]
	v_fma_f64 v[94:95], v[67:68], v[138:139], v[94:95]
	;; [unrolled: 1-line block ×10, first 2 shown]
	v_fma_f64 v[96:97], -v[67:68], v[140:141], v[96:97]
	global_load_dwordx4 v[65:68], v[142:143], off offset:224
	v_fma_f64 v[152:153], -v[51:52], v[140:141], v[88:89]
	v_fma_f64 v[88:89], v[37:38], v[138:139], v[134:135]
	v_fma_f64 v[98:99], -v[59:60], v[140:141], v[94:95]
	s_clause 0x1
	global_load_dwordx4 v[57:60], v[142:143], off offset:208
	global_load_dwordx4 v[49:52], v[142:143], off offset:192
	v_fma_f64 v[136:137], v[37:38], v[140:141], v[90:91]
	v_fma_f64 v[134:135], -v[39:40], v[140:141], v[88:89]
	global_load_dwordx4 v[37:40], v[144:145], off
	s_clause 0x1
	global_load_dwordx4 v[88:91], v[146:147], off offset:32
	global_load_dwordx4 v[92:95], v[146:147], off offset:48
	s_waitcnt vmcnt(1)
	v_fma_f64 v[98:99], v[61:62], v[88:89], v[98:99]
	v_fma_f64 v[142:143], v[41:42], v[88:89], v[152:153]
	;; [unrolled: 1-line block ×8, first 2 shown]
	v_fma_f64 v[98:99], -v[63:64], v[90:91], v[98:99]
	v_fma_f64 v[142:143], -v[43:44], v[90:91], v[142:143]
	v_fma_f64 v[96:97], -v[71:72], v[90:91], v[96:97]
	v_fma_f64 v[138:139], v[69:70], v[90:91], v[138:139]
	v_fma_f64 v[140:141], v[61:62], v[90:91], v[140:141]
	v_fma_f64 v[146:147], v[41:42], v[90:91], v[146:147]
	v_fma_f64 v[134:135], -v[27:28], v[90:91], v[134:135]
	v_fma_f64 v[136:137], v[25:26], v[90:91], v[88:89]
	v_subrev_nc_u32_e32 v88, s2, v156
	s_clause 0x3
	global_load_dwordx4 v[69:72], v[144:145], off offset:48
	global_load_dwordx4 v[61:64], v[144:145], off offset:32
	;; [unrolled: 1-line block ×4, first 2 shown]
	v_lshlrev_b32_e32 v88, 2, v88
	v_ashrrev_i32_e32 v89, 31, v88
	s_waitcnt vmcnt(4)
	v_fma_f64 v[98:99], v[33:34], v[92:93], v[98:99]
	v_lshlrev_b64 v[88:89], 4, v[88:89]
	v_fma_f64 v[96:97], v[53:54], v[92:93], v[96:97]
	v_fma_f64 v[138:139], v[55:56], v[92:93], v[138:139]
	;; [unrolled: 1-line block ×3, first 2 shown]
	v_add_co_u32 v148, vcc_lo, s6, v88
	v_add_co_ci_u32_e64 v149, null, s7, v89, vcc_lo
	global_load_dwordx4 v[88:91], v[144:145], off offset:96
	v_fma_f64 v[150:151], -v[35:36], v[94:95], v[98:99]
	v_fma_f64 v[98:99], v[21:22], v[92:93], v[142:143]
	v_fma_f64 v[142:143], v[23:24], v[92:93], v[146:147]
	v_fma_f64 v[96:97], -v[55:56], v[94:95], v[96:97]
	v_fma_f64 v[138:139], v[53:54], v[94:95], v[138:139]
	global_load_dwordx4 v[53:56], v[144:145], off offset:80
	v_fma_f64 v[140:141], v[33:34], v[94:95], v[140:141]
	global_load_dwordx4 v[33:36], v[144:145], off offset:64
	v_fma_f64 v[146:147], -v[23:24], v[94:95], v[98:99]
	v_fma_f64 v[98:99], v[13:14], v[92:93], v[134:135]
	v_fma_f64 v[92:93], v[15:16], v[92:93], v[136:137]
	;; [unrolled: 1-line block ×3, first 2 shown]
	global_load_dwordx4 v[21:24], v[144:145], off offset:176
	v_fma_f64 v[134:135], -v[15:16], v[94:95], v[98:99]
	v_fma_f64 v[136:137], v[13:14], v[94:95], v[92:93]
	s_clause 0x1
	global_load_dwordx4 v[13:16], v[148:149], off
	global_load_dwordx4 v[92:95], v[148:149], off offset:16
	s_waitcnt vmcnt(1)
	v_fma_f64 v[96:97], v[110:111], v[13:14], v[96:97]
	v_fma_f64 v[98:99], v[112:113], v[13:14], v[138:139]
	v_fma_f64 v[138:139], -v[112:113], v[15:16], v[96:97]
	v_fma_f64 v[152:153], v[110:111], v[15:16], v[98:99]
	v_fma_f64 v[110:111], v[114:115], v[13:14], v[150:151]
	;; [unrolled: 1-line block ×3, first 2 shown]
	global_load_dwordx4 v[96:99], v[144:145], off offset:160
	v_fma_f64 v[140:141], -v[116:117], v[15:16], v[110:111]
	v_fma_f64 v[150:151], v[114:115], v[15:16], v[112:113]
	v_fma_f64 v[114:115], v[106:107], v[13:14], v[146:147]
	v_fma_f64 v[116:117], v[108:109], v[13:14], v[142:143]
	global_load_dwordx4 v[110:113], v[144:145], off offset:144
	v_fma_f64 v[142:143], -v[108:109], v[15:16], v[114:115]
	v_fma_f64 v[146:147], v[106:107], v[15:16], v[116:117]
	v_fma_f64 v[114:115], v[102:103], v[13:14], v[134:135]
	s_waitcnt vmcnt(2)
	v_fma_f64 v[116:117], v[132:133], v[92:93], v[152:153]
	v_fma_f64 v[13:14], v[104:105], v[13:14], v[136:137]
	global_load_dwordx4 v[106:109], v[144:145], off offset:128
	v_fma_f64 v[134:135], -v[104:105], v[15:16], v[114:115]
	v_fma_f64 v[114:115], v[130:131], v[92:93], v[138:139]
	v_fma_f64 v[152:153], v[130:131], v[94:95], v[116:117]
	v_fma_f64 v[130:131], v[126:127], v[92:93], v[140:141]
	v_fma_f64 v[136:137], v[102:103], v[15:16], v[13:14]
	s_clause 0x1
	global_load_dwordx4 v[13:16], v[144:145], off offset:240
	global_load_dwordx4 v[101:104], v[144:145], off offset:224
	v_subrev_nc_u32_e32 v105, s2, v157
	v_fma_f64 v[138:139], -v[132:133], v[94:95], v[114:115]
	v_fma_f64 v[132:133], v[128:129], v[92:93], v[150:151]
	v_fma_f64 v[140:141], -v[128:129], v[94:95], v[130:131]
	v_fma_f64 v[130:131], v[122:123], v[92:93], v[142:143]
	global_load_dwordx4 v[114:117], v[144:145], off offset:208
	v_fma_f64 v[150:151], v[126:127], v[94:95], v[132:133]
	v_fma_f64 v[132:133], v[124:125], v[92:93], v[146:147]
	v_fma_f64 v[142:143], -v[124:125], v[94:95], v[130:131]
	v_fma_f64 v[130:131], v[118:119], v[92:93], v[134:135]
	v_fma_f64 v[92:93], v[120:121], v[92:93], v[136:137]
	global_load_dwordx4 v[126:129], v[144:145], off offset:192
	v_fma_f64 v[144:145], v[122:123], v[94:95], v[132:133]
	global_load_dwordx4 v[122:125], v[75:76], off
	v_fma_f64 v[134:135], -v[120:121], v[94:95], v[130:131]
	v_fma_f64 v[136:137], v[118:119], v[94:95], v[92:93]
	global_load_dwordx4 v[92:95], v[75:76], off offset:48
	s_clause 0x1
	global_load_dwordx4 v[118:121], v[148:149], off offset:32
	global_load_dwordx4 v[130:133], v[148:149], off offset:48
	s_waitcnt vmcnt(1)
	v_fma_f64 v[144:145], v[31:32], v[118:119], v[144:145]
	v_fma_f64 v[142:143], v[29:30], v[118:119], v[142:143]
	;; [unrolled: 1-line block ×8, first 2 shown]
	v_lshlrev_b32_e32 v150, 2, v105
	v_ashrrev_i32_e32 v151, 31, v150
	v_fma_f64 v[144:145], v[29:30], v[120:121], v[144:145]
	v_fma_f64 v[142:143], -v[31:32], v[120:121], v[142:143]
	v_fma_f64 v[138:139], -v[11:12], v[120:121], v[138:139]
	v_fma_f64 v[146:147], v[9:10], v[120:121], v[146:147]
	v_fma_f64 v[140:141], -v[19:20], v[120:121], v[140:141]
	v_fma_f64 v[148:149], v[17:18], v[120:121], v[148:149]
	;; [unrolled: 2-line block ×3, first 2 shown]
	s_clause 0x4
	global_load_dwordx4 v[9:12], v[75:76], off offset:32
	global_load_dwordx4 v[17:20], v[75:76], off offset:16
	;; [unrolled: 1-line block ×5, first 2 shown]
	s_waitcnt vmcnt(5)
	v_fma_f64 v[144:145], v[67:68], v[130:131], v[144:145]
	v_fma_f64 v[142:143], v[65:66], v[130:131], v[142:143]
	v_fma_f64 v[138:139], v[49:50], v[130:131], v[138:139]
	v_fma_f64 v[146:147], v[51:52], v[130:131], v[146:147]
	v_fma_f64 v[140:141], v[57:58], v[130:131], v[140:141]
	v_fma_f64 v[148:149], v[59:60], v[130:131], v[148:149]
	v_fma_f64 v[144:145], v[65:66], v[132:133], v[144:145]
	v_lshlrev_b32_e32 v65, 2, v100
	v_fma_f64 v[142:143], -v[67:68], v[132:133], v[142:143]
	v_fma_f64 v[67:68], v[86:87], v[130:131], v[136:137]
	v_fma_f64 v[138:139], -v[51:52], v[132:133], v[138:139]
	v_fma_f64 v[146:147], v[49:50], v[132:133], v[146:147]
	v_ashrrev_i32_e32 v66, 31, v65
	global_load_dwordx4 v[49:52], v[75:76], off offset:64
	v_fma_f64 v[140:141], -v[59:60], v[132:133], v[140:141]
	v_fma_f64 v[148:149], v[57:58], v[132:133], v[148:149]
	global_load_dwordx4 v[57:60], v[75:76], off offset:176
	v_lshlrev_b64 v[65:66], 4, v[65:66]
	v_add_co_u32 v152, vcc_lo, s6, v65
	v_add_co_ci_u32_e64 v153, null, s7, v66, vcc_lo
	v_fma_f64 v[65:66], v[84:85], v[130:131], v[134:135]
	v_fma_f64 v[136:137], v[84:85], v[132:133], v[67:68]
	v_fma_f64 v[134:135], -v[86:87], v[132:133], v[65:66]
	s_clause 0x1
	global_load_dwordx4 v[65:68], v[152:153], off
	global_load_dwordx4 v[84:87], v[152:153], off offset:16
	s_waitcnt vmcnt(1)
	v_fma_f64 v[130:131], v[37:38], v[65:66], v[138:139]
	v_fma_f64 v[132:133], v[39:40], v[65:66], v[146:147]
	;; [unrolled: 1-line block ×8, first 2 shown]
	v_fma_f64 v[138:139], -v[39:40], v[67:68], v[130:131]
	v_fma_f64 v[146:147], v[37:38], v[67:68], v[132:133]
	global_load_dwordx4 v[37:40], v[152:153], off offset:32
	v_lshlrev_b64 v[130:131], 4, v[150:151]
	v_fma_f64 v[140:141], -v[43:44], v[67:68], v[140:141]
	v_fma_f64 v[148:149], v[41:42], v[67:68], v[148:149]
	v_fma_f64 v[142:143], -v[63:64], v[67:68], v[142:143]
	v_fma_f64 v[144:145], v[61:62], v[67:68], v[144:145]
	v_fma_f64 v[134:135], -v[71:72], v[67:68], v[134:135]
	v_add_co_u32 v150, vcc_lo, s6, v130
	v_add_co_ci_u32_e64 v151, null, s7, v131, vcc_lo
	global_load_dwordx4 v[130:133], v[152:153], off offset:48
	v_fma_f64 v[136:137], v[69:70], v[67:68], v[65:66]
	v_add_co_u32 v78, vcc_lo, 0x80, v78
	s_clause 0x1
	global_load_dwordx4 v[41:44], v[150:151], off offset:16
	global_load_dwordx4 v[61:64], v[150:151], off
	s_clause 0x1
	global_load_dwordx4 v[65:68], v[75:76], off offset:160
	global_load_dwordx4 v[69:72], v[75:76], off offset:144
	v_add_co_ci_u32_e64 v79, null, 0, v79, vcc_lo
	s_waitcnt vmcnt(6)
	v_fma_f64 v[138:139], v[33:34], v[84:85], v[138:139]
	v_fma_f64 v[146:147], v[35:36], v[84:85], v[146:147]
	v_add_co_u32 v73, vcc_lo, 0x200, v73
	v_fma_f64 v[140:141], v[53:54], v[84:85], v[140:141]
	v_fma_f64 v[148:149], v[55:56], v[84:85], v[148:149]
	v_fma_f64 v[142:143], v[88:89], v[84:85], v[142:143]
	v_fma_f64 v[144:145], v[90:91], v[84:85], v[144:145]
	v_fma_f64 v[134:135], v[25:26], v[84:85], v[134:135]
	v_add_co_ci_u32_e64 v74, null, 0, v74, vcc_lo
	v_cmp_ge_i64_e32 vcc_lo, v[78:79], v[80:81]
	v_fma_f64 v[84:85], v[27:28], v[84:85], v[136:137]
	s_or_b32 s8, vcc_lo, s8
	v_fma_f64 v[138:139], -v[35:36], v[86:87], v[138:139]
	v_fma_f64 v[146:147], v[33:34], v[86:87], v[146:147]
	global_load_dwordx4 v[33:36], v[75:76], off offset:128
	v_fma_f64 v[140:141], -v[55:56], v[86:87], v[140:141]
	v_fma_f64 v[148:149], v[53:54], v[86:87], v[148:149]
	global_load_dwordx4 v[53:56], v[150:151], off offset:48
	;; [unrolled: 3-line block ×3, first 2 shown]
	v_fma_f64 v[150:151], -v[27:28], v[86:87], v[134:135]
	v_fma_f64 v[152:153], v[25:26], v[86:87], v[84:85]
	s_clause 0x1
	global_load_dwordx4 v[25:28], v[75:76], off offset:208
	global_load_dwordx4 v[84:87], v[75:76], off offset:192
	s_waitcnt vmcnt(10)
	v_fma_f64 v[134:135], v[106:107], v[37:38], v[138:139]
	v_fma_f64 v[136:137], v[108:109], v[37:38], v[146:147]
	;; [unrolled: 1-line block ×4, first 2 shown]
	v_fma_f64 v[138:139], -v[108:109], v[39:40], v[134:135]
	v_fma_f64 v[146:147], v[106:107], v[39:40], v[136:137]
	s_clause 0x1
	global_load_dwordx4 v[105:108], v[75:76], off offset:224
	global_load_dwordx4 v[134:137], v[75:76], off offset:240
	v_fma_f64 v[75:76], v[110:111], v[37:38], v[140:141]
	v_fma_f64 v[140:141], v[112:113], v[37:38], v[148:149]
	;; [unrolled: 1-line block ×4, first 2 shown]
	v_fma_f64 v[98:99], -v[98:99], v[39:40], v[142:143]
	v_fma_f64 v[96:97], v[96:97], v[39:40], v[144:145]
	v_fma_f64 v[75:76], -v[112:113], v[39:40], v[75:76]
	v_fma_f64 v[109:110], v[110:111], v[39:40], v[140:141]
	;; [unrolled: 2-line block ×3, first 2 shown]
	s_waitcnt vmcnt(11)
	v_fma_f64 v[37:38], v[126:127], v[130:131], v[138:139]
	v_fma_f64 v[39:40], v[128:129], v[130:131], v[146:147]
	;; [unrolled: 1-line block ×8, first 2 shown]
	v_fma_f64 v[37:38], -v[128:129], v[132:133], v[37:38]
	v_fma_f64 v[39:40], v[126:127], v[132:133], v[39:40]
	v_fma_f64 v[98:99], -v[103:104], v[132:133], v[98:99]
	v_fma_f64 v[96:97], v[101:102], v[132:133], v[96:97]
	;; [unrolled: 2-line block ×4, first 2 shown]
	s_waitcnt vmcnt(9)
	v_fma_f64 v[21:22], v[122:123], v[61:62], v[37:38]
	v_fma_f64 v[23:24], v[124:125], v[61:62], v[39:40]
	;; [unrolled: 1-line block ×8, first 2 shown]
	v_fma_f64 v[21:22], -v[124:125], v[63:64], v[21:22]
	v_fma_f64 v[23:24], v[122:123], v[63:64], v[23:24]
	v_fma_f64 v[9:10], v[9:10], v[63:64], v[96:97]
	v_fma_f64 v[19:20], -v[19:20], v[63:64], v[37:38]
	v_fma_f64 v[17:18], v[17:18], v[63:64], v[39:40]
	v_fma_f64 v[11:12], -v[11:12], v[63:64], v[75:76]
	v_fma_f64 v[15:16], -v[94:95], v[63:64], v[15:16]
	v_fma_f64 v[13:14], v[92:93], v[63:64], v[13:14]
	v_fma_f64 v[21:22], v[49:50], v[41:42], v[21:22]
	;; [unrolled: 1-line block ×9, first 2 shown]
	v_fma_f64 v[21:22], -v[51:52], v[43:44], v[21:22]
	v_fma_f64 v[23:24], v[49:50], v[43:44], v[23:24]
	v_fma_f64 v[9:10], v[45:46], v[43:44], v[9:10]
	v_fma_f64 v[19:20], -v[120:121], v[43:44], v[19:20]
	v_fma_f64 v[17:18], v[118:119], v[43:44], v[17:18]
	v_fma_f64 v[11:12], -v[47:48], v[43:44], v[11:12]
	v_fma_f64 v[15:16], -v[31:32], v[43:44], v[15:16]
	v_fma_f64 v[13:14], v[29:30], v[43:44], v[13:14]
	s_waitcnt vmcnt(4)
	v_fma_f64 v[21:22], v[33:34], v[88:89], v[21:22]
	v_fma_f64 v[23:24], v[35:36], v[88:89], v[23:24]
	;; [unrolled: 1-line block ×8, first 2 shown]
	v_fma_f64 v[21:22], -v[35:36], v[90:91], v[21:22]
	v_fma_f64 v[23:24], v[33:34], v[90:91], v[23:24]
	v_fma_f64 v[9:10], v[65:66], v[90:91], v[9:10]
	v_fma_f64 v[19:20], -v[71:72], v[90:91], v[19:20]
	v_fma_f64 v[17:18], v[69:70], v[90:91], v[17:18]
	v_fma_f64 v[11:12], -v[67:68], v[90:91], v[11:12]
	v_fma_f64 v[15:16], -v[59:60], v[90:91], v[15:16]
	v_fma_f64 v[13:14], v[57:58], v[90:91], v[13:14]
	s_waitcnt vmcnt(2)
	v_fma_f64 v[21:22], v[84:85], v[53:54], v[21:22]
	v_fma_f64 v[23:24], v[86:87], v[53:54], v[23:24]
	;; [unrolled: 1-line block ×4, first 2 shown]
	v_fma_f64 v[96:97], -v[86:87], v[55:56], v[21:22]
	v_fma_f64 v[94:95], v[84:85], v[55:56], v[23:24]
	v_fma_f64 v[98:99], -v[27:28], v[55:56], v[19:20]
	v_fma_f64 v[88:89], v[25:26], v[55:56], v[17:18]
	s_waitcnt vmcnt(1)
	v_fma_f64 v[11:12], v[105:106], v[53:54], v[11:12]
	v_fma_f64 v[9:10], v[107:108], v[53:54], v[9:10]
	s_waitcnt vmcnt(0)
	v_fma_f64 v[15:16], v[134:135], v[53:54], v[15:16]
	v_fma_f64 v[13:14], v[136:137], v[53:54], v[13:14]
	v_fma_f64 v[92:93], -v[107:108], v[55:56], v[11:12]
	v_fma_f64 v[90:91], v[105:106], v[55:56], v[9:10]
	v_fma_f64 v[84:85], -v[136:137], v[55:56], v[15:16]
	v_fma_f64 v[86:87], v[134:135], v[55:56], v[13:14]
	s_andn2_b32 exec_lo, exec_lo, s8
	s_cbranch_execnz .LBB38_31
; %bb.32:
	s_or_b32 exec_lo, exec_lo, s8
.LBB38_33:
	s_or_b32 exec_lo, exec_lo, s3
.LBB38_34:
	s_or_b32 exec_lo, exec_lo, s1
.LBB38_35:
	v_mbcnt_lo_u32_b32 v41, -1, 0
	v_xor_b32_e32 v9, 16, v41
	v_xor_b32_e32 v25, 8, v41
	v_cmp_gt_i32_e32 vcc_lo, 32, v9
	v_cndmask_b32_e32 v9, v41, v9, vcc_lo
	v_cmp_gt_i32_e32 vcc_lo, 32, v25
	v_lshlrev_b32_e32 v24, 2, v9
	v_cndmask_b32_e32 v25, v41, v25, vcc_lo
	ds_bpermute_b32 v9, v24, v96
	ds_bpermute_b32 v10, v24, v97
	;; [unrolled: 1-line block ×16, first 2 shown]
	v_lshlrev_b32_e32 v40, 2, v25
	s_waitcnt lgkmcnt(14)
	v_add_f64 v[9:10], v[96:97], v[9:10]
	s_waitcnt lgkmcnt(12)
	v_add_f64 v[11:12], v[94:95], v[11:12]
	;; [unrolled: 2-line block ×8, first 2 shown]
	ds_bpermute_b32 v25, v40, v9
	ds_bpermute_b32 v26, v40, v10
	;; [unrolled: 1-line block ×16, first 2 shown]
	s_waitcnt lgkmcnt(14)
	v_add_f64 v[9:10], v[9:10], v[25:26]
	v_xor_b32_e32 v25, 4, v41
	s_waitcnt lgkmcnt(12)
	v_add_f64 v[11:12], v[11:12], v[27:28]
	s_waitcnt lgkmcnt(10)
	v_add_f64 v[13:14], v[13:14], v[29:30]
	v_cmp_gt_i32_e32 vcc_lo, 32, v25
	s_waitcnt lgkmcnt(8)
	v_add_f64 v[15:16], v[15:16], v[31:32]
	s_waitcnt lgkmcnt(6)
	v_add_f64 v[17:18], v[17:18], v[33:34]
	;; [unrolled: 2-line block ×3, first 2 shown]
	v_cndmask_b32_e32 v25, v41, v25, vcc_lo
	s_waitcnt lgkmcnt(2)
	v_add_f64 v[21:22], v[21:22], v[37:38]
	s_waitcnt lgkmcnt(0)
	v_add_f64 v[23:24], v[23:24], v[39:40]
	v_lshlrev_b32_e32 v40, 2, v25
	ds_bpermute_b32 v25, v40, v9
	ds_bpermute_b32 v26, v40, v10
	;; [unrolled: 1-line block ×16, first 2 shown]
	s_waitcnt lgkmcnt(14)
	v_add_f64 v[9:10], v[9:10], v[25:26]
	v_xor_b32_e32 v25, 2, v41
	s_waitcnt lgkmcnt(12)
	v_add_f64 v[11:12], v[11:12], v[27:28]
	s_waitcnt lgkmcnt(10)
	v_add_f64 v[13:14], v[13:14], v[29:30]
	v_cmp_gt_i32_e32 vcc_lo, 32, v25
	s_waitcnt lgkmcnt(8)
	v_add_f64 v[15:16], v[15:16], v[31:32]
	s_waitcnt lgkmcnt(6)
	v_add_f64 v[17:18], v[17:18], v[33:34]
	;; [unrolled: 2-line block ×3, first 2 shown]
	v_cndmask_b32_e32 v27, v41, v25, vcc_lo
	s_waitcnt lgkmcnt(2)
	v_add_f64 v[21:22], v[21:22], v[37:38]
	s_waitcnt lgkmcnt(0)
	v_add_f64 v[25:26], v[23:24], v[39:40]
	v_lshlrev_b32_e32 v40, 2, v27
	ds_bpermute_b32 v23, v40, v9
	ds_bpermute_b32 v24, v40, v10
	;; [unrolled: 1-line block ×16, first 2 shown]
	s_waitcnt lgkmcnt(14)
	v_add_f64 v[9:10], v[9:10], v[23:24]
	s_waitcnt lgkmcnt(12)
	v_add_f64 v[27:28], v[11:12], v[27:28]
	;; [unrolled: 2-line block ×3, first 2 shown]
	v_xor_b32_e32 v29, 1, v41
	s_waitcnt lgkmcnt(8)
	v_add_f64 v[23:24], v[15:16], v[31:32]
	s_waitcnt lgkmcnt(6)
	v_add_f64 v[13:14], v[17:18], v[33:34]
	v_cmp_gt_i32_e32 vcc_lo, 32, v29
	s_waitcnt lgkmcnt(4)
	v_add_f64 v[17:18], v[19:20], v[35:36]
	s_waitcnt lgkmcnt(2)
	v_add_f64 v[15:16], v[21:22], v[37:38]
	;; [unrolled: 2-line block ×3, first 2 shown]
	v_cndmask_b32_e32 v29, v41, v29, vcc_lo
	v_cmp_eq_u32_e32 vcc_lo, 31, v0
	v_lshlrev_b32_e32 v34, 2, v29
	ds_bpermute_b32 v21, v34, v9
	ds_bpermute_b32 v22, v34, v10
	;; [unrolled: 1-line block ×16, first 2 shown]
	s_and_b32 exec_lo, exec_lo, vcc_lo
	s_cbranch_execz .LBB38_8
; %bb.36:
	s_waitcnt lgkmcnt(12)
	v_add_f64 v[27:28], v[27:28], v[39:40]
	s_waitcnt lgkmcnt(8)
	v_add_f64 v[23:24], v[23:24], v[37:38]
	s_waitcnt lgkmcnt(4)
	v_add_f64 v[17:18], v[17:18], v[35:36]
	s_waitcnt lgkmcnt(0)
	v_add_f64 v[19:20], v[19:20], v[33:34]
	v_add_f64 v[9:10], v[9:10], v[21:22]
	v_add_f64 v[11:12], v[11:12], v[25:26]
	;; [unrolled: 1-line block ×4, first 2 shown]
	v_cmp_eq_f64_e32 vcc_lo, 0, v[1:2]
	v_cmp_eq_f64_e64 s0, 0, v[3:4]
	s_load_dwordx2 s[2:3], s[4:5], 0x60
	v_mul_f64 v[13:14], v[27:28], -v[7:8]
	v_mul_f64 v[15:16], v[5:6], v[27:28]
	v_mul_f64 v[27:28], v[23:24], -v[7:8]
	v_mul_f64 v[23:24], v[5:6], v[23:24]
	;; [unrolled: 2-line block ×4, first 2 shown]
	s_and_b32 s0, vcc_lo, s0
	v_fma_f64 v[17:18], v[5:6], v[9:10], v[13:14]
	v_fma_f64 v[19:20], v[7:8], v[9:10], v[15:16]
	;; [unrolled: 1-line block ×8, first 2 shown]
	v_lshlrev_b32_e32 v21, 2, v77
	s_and_saveexec_b32 s1, s0
	s_xor_b32 s0, exec_lo, s1
	s_cbranch_execz .LBB38_38
; %bb.37:
	v_ashrrev_i32_e32 v22, 31, v21
	v_lshlrev_b64 v[0:1], 4, v[21:22]
                                        ; implicit-def: $vgpr21
	s_waitcnt lgkmcnt(0)
	v_add_co_u32 v0, vcc_lo, s2, v0
	v_add_co_ci_u32_e64 v1, null, s3, v1, vcc_lo
	global_store_dwordx4 v[0:1], v[17:20], off
	global_store_dwordx4 v[0:1], v[13:16], off offset:16
	global_store_dwordx4 v[0:1], v[9:12], off offset:32
	;; [unrolled: 1-line block ×3, first 2 shown]
                                        ; implicit-def: $vgpr3_vgpr4
                                        ; implicit-def: $vgpr17_vgpr18
                                        ; implicit-def: $vgpr13_vgpr14
                                        ; implicit-def: $vgpr9_vgpr10
                                        ; implicit-def: $vgpr5_vgpr6
.LBB38_38:
	s_andn2_saveexec_b32 s0, s0
	s_cbranch_execz .LBB38_8
; %bb.39:
	v_ashrrev_i32_e32 v22, 31, v21
	v_lshlrev_b64 v[21:22], 4, v[21:22]
	s_waitcnt lgkmcnt(0)
	v_add_co_u32 v37, vcc_lo, s2, v21
	v_add_co_ci_u32_e64 v38, null, s3, v22, vcc_lo
	s_clause 0x3
	global_load_dwordx4 v[21:24], v[37:38], off
	global_load_dwordx4 v[25:28], v[37:38], off offset:16
	global_load_dwordx4 v[29:32], v[37:38], off offset:32
	;; [unrolled: 1-line block ×3, first 2 shown]
	s_waitcnt vmcnt(3)
	v_fma_f64 v[17:18], v[1:2], v[21:22], v[17:18]
	v_fma_f64 v[19:20], v[3:4], v[21:22], v[19:20]
	s_waitcnt vmcnt(2)
	v_fma_f64 v[13:14], v[1:2], v[25:26], v[13:14]
	v_fma_f64 v[15:16], v[3:4], v[25:26], v[15:16]
	;; [unrolled: 3-line block ×4, first 2 shown]
	v_fma_f64 v[5:6], -v[3:4], v[23:24], v[17:18]
	v_fma_f64 v[7:8], v[1:2], v[23:24], v[19:20]
	v_fma_f64 v[9:10], -v[3:4], v[27:28], v[13:14]
	v_fma_f64 v[11:12], v[1:2], v[27:28], v[15:16]
	;; [unrolled: 2-line block ×4, first 2 shown]
	global_store_dwordx4 v[37:38], v[5:8], off
	global_store_dwordx4 v[37:38], v[9:12], off offset:16
	global_store_dwordx4 v[37:38], v[13:16], off offset:32
	;; [unrolled: 1-line block ×3, first 2 shown]
	s_endpgm
	.section	.rodata,"a",@progbits
	.p2align	6, 0x0
	.amdhsa_kernel _ZN9rocsparseL18bsrxmvn_4x4_kernelILj128ELj32E21rocsparse_complex_numIdEliS2_S2_S2_EEvT3_20rocsparse_direction_NS_24const_host_device_scalarIT1_EES3_PKS3_PKT2_SC_S9_PKT4_PKT5_S7_PT6_21rocsparse_index_base_b
		.amdhsa_group_segment_fixed_size 0
		.amdhsa_private_segment_fixed_size 0
		.amdhsa_kernarg_size 112
		.amdhsa_user_sgpr_count 6
		.amdhsa_user_sgpr_private_segment_buffer 1
		.amdhsa_user_sgpr_dispatch_ptr 0
		.amdhsa_user_sgpr_queue_ptr 0
		.amdhsa_user_sgpr_kernarg_segment_ptr 1
		.amdhsa_user_sgpr_dispatch_id 0
		.amdhsa_user_sgpr_flat_scratch_init 0
		.amdhsa_user_sgpr_private_segment_size 0
		.amdhsa_wavefront_size32 1
		.amdhsa_uses_dynamic_stack 0
		.amdhsa_system_sgpr_private_segment_wavefront_offset 0
		.amdhsa_system_sgpr_workgroup_id_x 1
		.amdhsa_system_sgpr_workgroup_id_y 0
		.amdhsa_system_sgpr_workgroup_id_z 0
		.amdhsa_system_sgpr_workgroup_info 0
		.amdhsa_system_vgpr_workitem_id 0
		.amdhsa_next_free_vgpr 178
		.amdhsa_next_free_sgpr 16
		.amdhsa_reserve_vcc 1
		.amdhsa_reserve_flat_scratch 0
		.amdhsa_float_round_mode_32 0
		.amdhsa_float_round_mode_16_64 0
		.amdhsa_float_denorm_mode_32 3
		.amdhsa_float_denorm_mode_16_64 3
		.amdhsa_dx10_clamp 1
		.amdhsa_ieee_mode 1
		.amdhsa_fp16_overflow 0
		.amdhsa_workgroup_processor_mode 1
		.amdhsa_memory_ordered 1
		.amdhsa_forward_progress 1
		.amdhsa_shared_vgpr_count 0
		.amdhsa_exception_fp_ieee_invalid_op 0
		.amdhsa_exception_fp_denorm_src 0
		.amdhsa_exception_fp_ieee_div_zero 0
		.amdhsa_exception_fp_ieee_overflow 0
		.amdhsa_exception_fp_ieee_underflow 0
		.amdhsa_exception_fp_ieee_inexact 0
		.amdhsa_exception_int_div_zero 0
	.end_amdhsa_kernel
	.section	.text._ZN9rocsparseL18bsrxmvn_4x4_kernelILj128ELj32E21rocsparse_complex_numIdEliS2_S2_S2_EEvT3_20rocsparse_direction_NS_24const_host_device_scalarIT1_EES3_PKS3_PKT2_SC_S9_PKT4_PKT5_S7_PT6_21rocsparse_index_base_b,"axG",@progbits,_ZN9rocsparseL18bsrxmvn_4x4_kernelILj128ELj32E21rocsparse_complex_numIdEliS2_S2_S2_EEvT3_20rocsparse_direction_NS_24const_host_device_scalarIT1_EES3_PKS3_PKT2_SC_S9_PKT4_PKT5_S7_PT6_21rocsparse_index_base_b,comdat
.Lfunc_end38:
	.size	_ZN9rocsparseL18bsrxmvn_4x4_kernelILj128ELj32E21rocsparse_complex_numIdEliS2_S2_S2_EEvT3_20rocsparse_direction_NS_24const_host_device_scalarIT1_EES3_PKS3_PKT2_SC_S9_PKT4_PKT5_S7_PT6_21rocsparse_index_base_b, .Lfunc_end38-_ZN9rocsparseL18bsrxmvn_4x4_kernelILj128ELj32E21rocsparse_complex_numIdEliS2_S2_S2_EEvT3_20rocsparse_direction_NS_24const_host_device_scalarIT1_EES3_PKS3_PKT2_SC_S9_PKT4_PKT5_S7_PT6_21rocsparse_index_base_b
                                        ; -- End function
	.set _ZN9rocsparseL18bsrxmvn_4x4_kernelILj128ELj32E21rocsparse_complex_numIdEliS2_S2_S2_EEvT3_20rocsparse_direction_NS_24const_host_device_scalarIT1_EES3_PKS3_PKT2_SC_S9_PKT4_PKT5_S7_PT6_21rocsparse_index_base_b.num_vgpr, 178
	.set _ZN9rocsparseL18bsrxmvn_4x4_kernelILj128ELj32E21rocsparse_complex_numIdEliS2_S2_S2_EEvT3_20rocsparse_direction_NS_24const_host_device_scalarIT1_EES3_PKS3_PKT2_SC_S9_PKT4_PKT5_S7_PT6_21rocsparse_index_base_b.num_agpr, 0
	.set _ZN9rocsparseL18bsrxmvn_4x4_kernelILj128ELj32E21rocsparse_complex_numIdEliS2_S2_S2_EEvT3_20rocsparse_direction_NS_24const_host_device_scalarIT1_EES3_PKS3_PKT2_SC_S9_PKT4_PKT5_S7_PT6_21rocsparse_index_base_b.numbered_sgpr, 16
	.set _ZN9rocsparseL18bsrxmvn_4x4_kernelILj128ELj32E21rocsparse_complex_numIdEliS2_S2_S2_EEvT3_20rocsparse_direction_NS_24const_host_device_scalarIT1_EES3_PKS3_PKT2_SC_S9_PKT4_PKT5_S7_PT6_21rocsparse_index_base_b.num_named_barrier, 0
	.set _ZN9rocsparseL18bsrxmvn_4x4_kernelILj128ELj32E21rocsparse_complex_numIdEliS2_S2_S2_EEvT3_20rocsparse_direction_NS_24const_host_device_scalarIT1_EES3_PKS3_PKT2_SC_S9_PKT4_PKT5_S7_PT6_21rocsparse_index_base_b.private_seg_size, 0
	.set _ZN9rocsparseL18bsrxmvn_4x4_kernelILj128ELj32E21rocsparse_complex_numIdEliS2_S2_S2_EEvT3_20rocsparse_direction_NS_24const_host_device_scalarIT1_EES3_PKS3_PKT2_SC_S9_PKT4_PKT5_S7_PT6_21rocsparse_index_base_b.uses_vcc, 1
	.set _ZN9rocsparseL18bsrxmvn_4x4_kernelILj128ELj32E21rocsparse_complex_numIdEliS2_S2_S2_EEvT3_20rocsparse_direction_NS_24const_host_device_scalarIT1_EES3_PKS3_PKT2_SC_S9_PKT4_PKT5_S7_PT6_21rocsparse_index_base_b.uses_flat_scratch, 0
	.set _ZN9rocsparseL18bsrxmvn_4x4_kernelILj128ELj32E21rocsparse_complex_numIdEliS2_S2_S2_EEvT3_20rocsparse_direction_NS_24const_host_device_scalarIT1_EES3_PKS3_PKT2_SC_S9_PKT4_PKT5_S7_PT6_21rocsparse_index_base_b.has_dyn_sized_stack, 0
	.set _ZN9rocsparseL18bsrxmvn_4x4_kernelILj128ELj32E21rocsparse_complex_numIdEliS2_S2_S2_EEvT3_20rocsparse_direction_NS_24const_host_device_scalarIT1_EES3_PKS3_PKT2_SC_S9_PKT4_PKT5_S7_PT6_21rocsparse_index_base_b.has_recursion, 0
	.set _ZN9rocsparseL18bsrxmvn_4x4_kernelILj128ELj32E21rocsparse_complex_numIdEliS2_S2_S2_EEvT3_20rocsparse_direction_NS_24const_host_device_scalarIT1_EES3_PKS3_PKT2_SC_S9_PKT4_PKT5_S7_PT6_21rocsparse_index_base_b.has_indirect_call, 0
	.section	.AMDGPU.csdata,"",@progbits
; Kernel info:
; codeLenInByte = 11200
; TotalNumSgprs: 18
; NumVgprs: 178
; ScratchSize: 0
; MemoryBound: 1
; FloatMode: 240
; IeeeMode: 1
; LDSByteSize: 0 bytes/workgroup (compile time only)
; SGPRBlocks: 0
; VGPRBlocks: 22
; NumSGPRsForWavesPerEU: 18
; NumVGPRsForWavesPerEU: 178
; Occupancy: 5
; WaveLimiterHint : 1
; COMPUTE_PGM_RSRC2:SCRATCH_EN: 0
; COMPUTE_PGM_RSRC2:USER_SGPR: 6
; COMPUTE_PGM_RSRC2:TRAP_HANDLER: 0
; COMPUTE_PGM_RSRC2:TGID_X_EN: 1
; COMPUTE_PGM_RSRC2:TGID_Y_EN: 0
; COMPUTE_PGM_RSRC2:TGID_Z_EN: 0
; COMPUTE_PGM_RSRC2:TIDIG_COMP_CNT: 0
	.section	.text._ZN9rocsparseL18bsrxmvn_4x4_kernelILj128ELj64E21rocsparse_complex_numIdEliS2_S2_S2_EEvT3_20rocsparse_direction_NS_24const_host_device_scalarIT1_EES3_PKS3_PKT2_SC_S9_PKT4_PKT5_S7_PT6_21rocsparse_index_base_b,"axG",@progbits,_ZN9rocsparseL18bsrxmvn_4x4_kernelILj128ELj64E21rocsparse_complex_numIdEliS2_S2_S2_EEvT3_20rocsparse_direction_NS_24const_host_device_scalarIT1_EES3_PKS3_PKT2_SC_S9_PKT4_PKT5_S7_PT6_21rocsparse_index_base_b,comdat
	.globl	_ZN9rocsparseL18bsrxmvn_4x4_kernelILj128ELj64E21rocsparse_complex_numIdEliS2_S2_S2_EEvT3_20rocsparse_direction_NS_24const_host_device_scalarIT1_EES3_PKS3_PKT2_SC_S9_PKT4_PKT5_S7_PT6_21rocsparse_index_base_b ; -- Begin function _ZN9rocsparseL18bsrxmvn_4x4_kernelILj128ELj64E21rocsparse_complex_numIdEliS2_S2_S2_EEvT3_20rocsparse_direction_NS_24const_host_device_scalarIT1_EES3_PKS3_PKT2_SC_S9_PKT4_PKT5_S7_PT6_21rocsparse_index_base_b
	.p2align	8
	.type	_ZN9rocsparseL18bsrxmvn_4x4_kernelILj128ELj64E21rocsparse_complex_numIdEliS2_S2_S2_EEvT3_20rocsparse_direction_NS_24const_host_device_scalarIT1_EES3_PKS3_PKT2_SC_S9_PKT4_PKT5_S7_PT6_21rocsparse_index_base_b,@function
_ZN9rocsparseL18bsrxmvn_4x4_kernelILj128ELj64E21rocsparse_complex_numIdEliS2_S2_S2_EEvT3_20rocsparse_direction_NS_24const_host_device_scalarIT1_EES3_PKS3_PKT2_SC_S9_PKT4_PKT5_S7_PT6_21rocsparse_index_base_b: ; @_ZN9rocsparseL18bsrxmvn_4x4_kernelILj128ELj64E21rocsparse_complex_numIdEliS2_S2_S2_EEvT3_20rocsparse_direction_NS_24const_host_device_scalarIT1_EES3_PKS3_PKT2_SC_S9_PKT4_PKT5_S7_PT6_21rocsparse_index_base_b
; %bb.0:
	s_clause 0x1
	s_load_dwordx2 s[2:3], s[4:5], 0x68
	s_load_dwordx2 s[0:1], s[4:5], 0x8
	s_add_u32 s7, s4, 8
	s_addc_u32 s10, s5, 0
	s_add_u32 s11, s4, 0x50
	s_addc_u32 s12, s5, 0
	s_load_dwordx2 s[8:9], s[4:5], 0x50
	s_waitcnt lgkmcnt(0)
	s_bitcmp1_b32 s3, 0
	s_cselect_b32 s0, s7, s0
	s_cselect_b32 s1, s10, s1
	v_mov_b32_e32 v1, s0
	v_mov_b32_e32 v2, s1
	s_cselect_b32 s0, s11, s8
	s_cselect_b32 s1, s12, s9
	flat_load_dwordx4 v[5:8], v[1:2]
	v_mov_b32_e32 v1, s0
	v_mov_b32_e32 v2, s1
	flat_load_dwordx4 v[1:4], v[1:2]
	s_waitcnt vmcnt(1) lgkmcnt(1)
	v_cmp_eq_f64_e32 vcc_lo, 0, v[5:6]
	v_cmp_eq_f64_e64 s0, 0, v[7:8]
	s_and_b32 s3, vcc_lo, s0
	s_mov_b32 s0, -1
	s_and_saveexec_b32 s1, s3
	s_cbranch_execz .LBB39_2
; %bb.1:
	s_waitcnt vmcnt(0) lgkmcnt(0)
	v_cmp_neq_f64_e32 vcc_lo, 1.0, v[1:2]
	v_cmp_neq_f64_e64 s0, 0, v[3:4]
	s_or_b32 s0, vcc_lo, s0
	s_orn2_b32 s0, s0, exec_lo
.LBB39_2:
	s_or_b32 exec_lo, exec_lo, s1
	s_and_saveexec_b32 s1, s0
	s_cbranch_execz .LBB39_8
; %bb.3:
	s_clause 0x1
	s_load_dwordx2 s[8:9], s[4:5], 0x20
	s_load_dwordx2 s[0:1], s[4:5], 0x0
	v_lshrrev_b32_e32 v9, 6, v0
	v_lshl_or_b32 v77, s6, 1, v9
	s_waitcnt lgkmcnt(0)
	s_cmp_lg_u64 s[8:9], 0
	s_cbranch_scc0 .LBB39_9
; %bb.4:
	s_load_dword s3, s[4:5], 0x18
	s_mov_b32 s6, 0
                                        ; implicit-def: $vgpr9
	s_waitcnt lgkmcnt(0)
	v_cmp_gt_i32_e32 vcc_lo, s3, v77
	s_mov_b32 s3, 0
	s_and_saveexec_b32 s7, vcc_lo
	s_xor_b32 s7, exec_lo, s7
	s_cbranch_execz .LBB39_6
; %bb.5:
	v_ashrrev_i32_e32 v78, 31, v77
	s_mov_b32 s3, exec_lo
	v_lshlrev_b64 v[9:10], 2, v[77:78]
	v_add_co_u32 v9, vcc_lo, s8, v9
	v_add_co_ci_u32_e64 v10, null, s9, v10, vcc_lo
	global_load_dword v9, v[9:10], off
	s_waitcnt vmcnt(0)
	v_subrev_nc_u32_e32 v9, s2, v9
.LBB39_6:
	s_or_b32 exec_lo, exec_lo, s7
	s_and_b32 vcc_lo, exec_lo, s6
	s_cbranch_vccz .LBB39_10
.LBB39_7:
	v_cmp_gt_i32_e32 vcc_lo, s0, v77
	s_andn2_b32 s0, s3, exec_lo
	s_and_b32 s3, vcc_lo, exec_lo
	s_or_b32 s3, s0, s3
	s_and_b32 exec_lo, exec_lo, s3
	s_cbranch_execnz .LBB39_11
.LBB39_8:
	s_endpgm
.LBB39_9:
	s_mov_b32 s3, 0
                                        ; implicit-def: $vgpr9
	s_cbranch_execnz .LBB39_7
.LBB39_10:
	v_mov_b32_e32 v77, v9
	s_and_b32 exec_lo, exec_lo, s3
	s_cbranch_execz .LBB39_8
.LBB39_11:
	s_load_dwordx8 s[8:15], s[4:5], 0x28
	v_ashrrev_i32_e32 v78, 31, v77
	v_and_b32_e32 v0, 63, v0
	s_load_dwordx2 s[6:7], s[4:5], 0x48
	v_lshlrev_b64 v[9:10], 3, v[77:78]
	s_waitcnt lgkmcnt(0)
	v_add_co_u32 v11, vcc_lo, s8, v9
	v_add_co_ci_u32_e64 v12, null, s9, v10, vcc_lo
	v_add_co_u32 v9, vcc_lo, s10, v9
	v_add_co_ci_u32_e64 v10, null, s11, v10, vcc_lo
	;; [unrolled: 2-line block ×3, first 2 shown]
	global_load_dwordx2 v[100:101], v[11:12], off
	s_cmp_eq_u64 s[10:11], 0
	s_cselect_b32 vcc_lo, -1, 0
	s_cmp_eq_u32 s1, 1
	v_cndmask_b32_e32 v10, v10, v14, vcc_lo
	v_cndmask_b32_e32 v9, v9, v13, vcc_lo
	global_load_dwordx2 v[9:10], v[9:10], off
	s_waitcnt vmcnt(1)
	v_sub_co_u32 v11, vcc_lo, v100, s2
	v_subrev_co_ci_u32_e64 v12, null, 0, v101, vcc_lo
	v_add_co_u32 v78, vcc_lo, v11, v0
	v_add_co_ci_u32_e64 v79, null, 0, v12, vcc_lo
	s_waitcnt vmcnt(0)
	v_sub_co_u32 v80, vcc_lo, v9, s2
	v_subrev_co_ci_u32_e64 v81, null, 0, v10, vcc_lo
	v_lshlrev_b64 v[9:10], 8, v[78:79]
	v_cmp_lt_i64_e64 s0, v[78:79], v[80:81]
	v_add_co_u32 v82, vcc_lo, s14, v9
	v_add_co_ci_u32_e64 v83, null, s15, v10, vcc_lo
	s_cbranch_scc1 .LBB39_23
; %bb.12:
	v_mov_b32_e32 v94, 0
	v_mov_b32_e32 v96, 0
	;; [unrolled: 1-line block ×16, first 2 shown]
	s_and_saveexec_b32 s3, s0
	s_cbranch_execz .LBB39_22
; %bb.13:
	v_or_b32_e32 v9, 64, v0
	v_not_b32_e32 v13, v100
	v_not_b32_e32 v11, v101
	v_mov_b32_e32 v88, 0
	v_mov_b32_e32 v98, 0
	v_sub_co_u32 v9, s1, v9, s2
	v_sub_co_ci_u32_e64 v10, null, 0, 0, s1
	v_sub_co_u32 v14, s1, s2, v0
	v_add_co_u32 v9, vcc_lo, v9, v100
	v_add_co_ci_u32_e64 v10, null, v10, v101, vcc_lo
	v_sub_co_ci_u32_e64 v15, null, 0, 0, s1
	v_add_co_u32 v13, s1, v14, v13
	v_cmp_gt_i64_e32 vcc_lo, v[9:10], v[80:81]
	v_add_co_ci_u32_e64 v11, null, v15, v11, s1
	v_mov_b32_e32 v90, 0
	v_mov_b32_e32 v92, 0
	v_mov_b32_e32 v86, 0
	v_cndmask_b32_e32 v9, v80, v9, vcc_lo
	v_cndmask_b32_e32 v10, v81, v10, vcc_lo
	v_mov_b32_e32 v84, 0
	v_mov_b32_e32 v96, 0
	;; [unrolled: 1-line block ×3, first 2 shown]
	v_add_co_u32 v9, vcc_lo, v13, v9
	v_mov_b32_e32 v105, v83
	v_mov_b32_e32 v103, v79
	;; [unrolled: 1-line block ×7, first 2 shown]
	v_add_co_ci_u32_e64 v10, null, v11, v10, vcc_lo
	v_and_b32_e32 v11, 0xc0, v9
	v_mov_b32_e32 v87, 0
	v_mov_b32_e32 v85, 0
	;; [unrolled: 1-line block ×6, first 2 shown]
	s_mov_b32 s8, exec_lo
	v_cmpx_ne_u64_e32 0xc0, v[11:12]
	s_cbranch_execz .LBB39_17
; %bb.14:
	v_lshrrev_b32_e32 v13, 6, v9
	v_lshlrev_b64 v[11:12], 2, v[78:79]
	v_mov_b32_e32 v94, 0
	v_mov_b32_e32 v103, v79
	v_mov_b32_e32 v96, 0
	v_add_nc_u32_e32 v13, 1, v13
	v_mov_b32_e32 v84, 0
	v_add_co_u32 v11, vcc_lo, s12, v11
	v_mov_b32_e32 v86, 0
	v_and_b32_e32 v13, 3, v13
	v_mov_b32_e32 v92, 0
	v_mov_b32_e32 v90, 0
	;; [unrolled: 1-line block ×4, first 2 shown]
	v_sub_co_u32 v13, s1, 0, v13
	v_mov_b32_e32 v105, v83
	v_mov_b32_e32 v95, 0
	;; [unrolled: 1-line block ×5, first 2 shown]
	v_add_co_ci_u32_e64 v12, null, s13, v12, vcc_lo
	v_sub_co_ci_u32_e64 v14, null, 0, 0, s1
	v_mov_b32_e32 v87, 0
	v_mov_b32_e32 v93, 0
	v_mov_b32_e32 v91, 0
	v_mov_b32_e32 v99, 0
	v_mov_b32_e32 v89, 0
	v_mov_b32_e32 v104, v82
	s_mov_b32 s9, 0
.LBB39_15:                              ; =>This Inner Loop Header: Depth=1
	global_load_dword v43, v[11:12], off
	s_clause 0x6
	global_load_dwordx4 v[15:18], v[104:105], off offset:16
	global_load_dwordx4 v[19:22], v[104:105], off
	global_load_dwordx4 v[23:26], v[104:105], off offset:80
	global_load_dwordx4 v[27:30], v[104:105], off offset:64
	;; [unrolled: 1-line block ×5, first 2 shown]
	v_add_co_u32 v11, s1, 0x100, v11
	v_add_co_ci_u32_e64 v12, null, 0, v12, s1
	s_waitcnt vmcnt(7)
	v_subrev_nc_u32_e32 v43, s2, v43
	v_lshlrev_b32_e32 v43, 2, v43
	v_ashrrev_i32_e32 v44, 31, v43
	v_lshlrev_b64 v[43:44], 4, v[43:44]
	v_add_co_u32 v75, vcc_lo, s6, v43
	v_add_co_ci_u32_e64 v76, null, s7, v44, vcc_lo
	global_load_dwordx4 v[43:46], v[75:76], off
	global_load_dwordx4 v[47:50], v[104:105], off offset:208
	global_load_dwordx4 v[51:54], v[75:76], off offset:16
	s_clause 0x6
	global_load_dwordx4 v[55:58], v[104:105], off offset:48
	global_load_dwordx4 v[59:62], v[104:105], off offset:32
	;; [unrolled: 1-line block ×10, first 2 shown]
	v_add_co_u32 v104, vcc_lo, 0x4000, v104
	v_add_co_ci_u32_e64 v105, null, 0, v105, vcc_lo
	v_add_co_u32 v13, vcc_lo, v13, 1
	v_add_co_ci_u32_e64 v14, null, 0, v14, vcc_lo
	;; [unrolled: 2-line block ×3, first 2 shown]
	v_cmp_eq_u64_e32 vcc_lo, 0, v[13:14]
	s_or_b32 s9, vcc_lo, s9
	s_waitcnt vmcnt(12)
	v_fma_f64 v[75:76], v[19:20], v[43:44], v[96:97]
	v_fma_f64 v[94:95], v[21:22], v[43:44], v[94:95]
	v_fma_f64 v[96:97], v[27:28], v[43:44], v[98:99]
	v_fma_f64 v[88:89], v[29:30], v[43:44], v[88:89]
	v_fma_f64 v[92:93], v[35:36], v[43:44], v[92:93]
	v_fma_f64 v[90:91], v[37:38], v[43:44], v[90:91]
	v_fma_f64 v[84:85], v[39:40], v[43:44], v[84:85]
	v_fma_f64 v[43:44], v[41:42], v[43:44], v[86:87]
	v_fma_f64 v[21:22], -v[21:22], v[45:46], v[75:76]
	v_fma_f64 v[19:20], v[19:20], v[45:46], v[94:95]
	v_fma_f64 v[29:30], -v[29:30], v[45:46], v[96:97]
	v_fma_f64 v[27:28], v[27:28], v[45:46], v[88:89]
	v_fma_f64 v[37:38], -v[37:38], v[45:46], v[92:93]
	v_fma_f64 v[35:36], v[35:36], v[45:46], v[90:91]
	v_fma_f64 v[41:42], -v[41:42], v[45:46], v[84:85]
	v_fma_f64 v[39:40], v[39:40], v[45:46], v[43:44]
	s_waitcnt vmcnt(10)
	v_fma_f64 v[21:22], v[15:16], v[51:52], v[21:22]
	v_fma_f64 v[19:20], v[17:18], v[51:52], v[19:20]
	v_fma_f64 v[29:30], v[23:24], v[51:52], v[29:30]
	v_fma_f64 v[27:28], v[25:26], v[51:52], v[27:28]
	v_fma_f64 v[37:38], v[31:32], v[51:52], v[37:38]
	v_fma_f64 v[35:36], v[33:34], v[51:52], v[35:36]
	v_fma_f64 v[41:42], v[47:48], v[51:52], v[41:42]
	v_fma_f64 v[39:40], v[49:50], v[51:52], v[39:40]
	v_fma_f64 v[17:18], -v[17:18], v[53:54], v[21:22]
	v_fma_f64 v[15:16], v[15:16], v[53:54], v[19:20]
	v_fma_f64 v[19:20], -v[25:26], v[53:54], v[29:30]
	v_fma_f64 v[21:22], v[23:24], v[53:54], v[27:28]
	v_fma_f64 v[23:24], -v[33:34], v[53:54], v[37:38]
	v_fma_f64 v[25:26], v[31:32], v[53:54], v[35:36]
	v_fma_f64 v[27:28], -v[49:50], v[53:54], v[41:42]
	v_fma_f64 v[29:30], v[47:48], v[53:54], v[39:40]
	;; [unrolled: 17-line block ×4, first 2 shown]
	s_andn2_b32 exec_lo, exec_lo, s9
	s_cbranch_execnz .LBB39_15
; %bb.16:
	s_or_b32 exec_lo, exec_lo, s9
.LBB39_17:
	s_or_b32 exec_lo, exec_lo, s8
	s_mov_b32 s8, exec_lo
	v_cmpx_lt_u64_e32 0xbf, v[9:10]
	s_cbranch_execz .LBB39_21
; %bb.18:
	v_lshlrev_b64 v[9:10], 2, v[102:103]
	s_mov_b32 s9, 0
	v_add_co_u32 v9, vcc_lo, s12, v9
	v_add_co_ci_u32_e64 v10, null, s13, v10, vcc_lo
	v_add_co_u32 v106, vcc_lo, 0x200, v9
	v_add_co_ci_u32_e64 v107, null, 0, v10, vcc_lo
.LBB39_19:                              ; =>This Inner Loop Header: Depth=1
	global_load_dword v111, v[106:107], off offset:-512
	s_clause 0xf
	global_load_dwordx4 v[9:12], v[104:105], off offset:48
	global_load_dwordx4 v[13:16], v[104:105], off offset:32
	global_load_dwordx4 v[25:28], v[104:105], off offset:16
	global_load_dwordx4 v[41:44], v[104:105], off
	global_load_dwordx4 v[17:20], v[104:105], off offset:112
	global_load_dwordx4 v[33:36], v[104:105], off offset:96
	;; [unrolled: 1-line block ×12, first 2 shown]
	s_clause 0x2
	global_load_dword v177, v[106:107], off offset:-256
	global_load_dword v110, v[106:107], off
	global_load_dword v112, v[106:107], off offset:256
	v_add_co_u32 v165, vcc_lo, 0x4000, v104
	v_add_co_ci_u32_e64 v166, null, 0, v105, vcc_lo
	v_add_co_u32 v167, vcc_lo, 0x8000, v104
	v_add_co_ci_u32_e64 v168, null, 0, v105, vcc_lo
	;; [unrolled: 2-line block ×3, first 2 shown]
	s_clause 0xb
	global_load_dwordx4 v[113:116], v[165:166], off offset:48
	global_load_dwordx4 v[117:120], v[165:166], off offset:32
	global_load_dwordx4 v[121:124], v[165:166], off
	global_load_dwordx4 v[125:128], v[165:166], off offset:16
	global_load_dwordx4 v[129:132], v[165:166], off offset:112
	;; [unrolled: 1-line block ×9, first 2 shown]
	v_add_co_u32 v104, s1, 0x10000, v104
	v_add_co_ci_u32_e64 v105, null, 0, v105, s1
	s_waitcnt vmcnt(31)
	v_subrev_nc_u32_e32 v111, s2, v111
	v_lshlrev_b32_e32 v157, 2, v111
	v_ashrrev_i32_e32 v158, 31, v157
	v_lshlrev_b64 v[157:158], 4, v[157:158]
	v_add_co_u32 v169, vcc_lo, s6, v157
	v_add_co_ci_u32_e64 v170, null, s7, v158, vcc_lo
	s_clause 0x1
	global_load_dwordx4 v[157:160], v[169:170], off
	global_load_dwordx4 v[161:164], v[169:170], off offset:16
	s_waitcnt vmcnt(1)
	v_fma_f64 v[96:97], v[41:42], v[157:158], v[96:97]
	v_fma_f64 v[94:95], v[43:44], v[157:158], v[94:95]
	;; [unrolled: 1-line block ×8, first 2 shown]
	v_fma_f64 v[43:44], -v[43:44], v[159:160], v[96:97]
	v_fma_f64 v[41:42], v[41:42], v[159:160], v[94:95]
	v_fma_f64 v[98:99], -v[59:60], v[159:160], v[98:99]
	v_fma_f64 v[88:89], v[57:58], v[159:160], v[88:89]
	s_clause 0x1
	global_load_dwordx4 v[94:97], v[165:166], off offset:240
	global_load_dwordx4 v[57:60], v[165:166], off offset:224
	v_fma_f64 v[92:93], -v[67:68], v[159:160], v[92:93]
	v_fma_f64 v[90:91], v[65:66], v[159:160], v[90:91]
	global_load_dwordx4 v[65:68], v[165:166], off offset:208
	v_fma_f64 v[157:158], -v[75:76], v[159:160], v[84:85]
	v_fma_f64 v[159:160], v[73:74], v[159:160], v[86:87]
	s_clause 0x1
	global_load_dwordx4 v[73:76], v[165:166], off offset:192
	global_load_dwordx4 v[84:87], v[167:168], off
	s_waitcnt vmcnt(5)
	v_fma_f64 v[43:44], v[25:26], v[161:162], v[43:44]
	v_fma_f64 v[41:42], v[27:28], v[161:162], v[41:42]
	v_fma_f64 v[165:166], -v[27:28], v[163:164], v[43:44]
	v_fma_f64 v[171:172], v[25:26], v[163:164], v[41:42]
	v_fma_f64 v[41:42], v[45:46], v[161:162], v[98:99]
	v_fma_f64 v[43:44], v[47:48], v[161:162], v[88:89]
	global_load_dwordx4 v[25:28], v[167:168], off offset:48
	v_fma_f64 v[98:99], -v[47:48], v[163:164], v[41:42]
	v_fma_f64 v[173:174], v[45:46], v[163:164], v[43:44]
	v_fma_f64 v[45:46], v[53:54], v[161:162], v[92:93]
	v_fma_f64 v[47:48], v[55:56], v[161:162], v[90:91]
	global_load_dwordx4 v[41:44], v[167:168], off offset:32
	;; [unrolled: 5-line block ×3, first 2 shown]
	v_fma_f64 v[157:158], -v[63:64], v[163:164], v[45:46]
	v_fma_f64 v[159:160], v[61:62], v[163:164], v[47:48]
	global_load_dwordx4 v[45:48], v[167:168], off offset:112
	s_clause 0x1
	global_load_dwordx4 v[61:64], v[169:170], off offset:32
	global_load_dwordx4 v[88:91], v[169:170], off offset:48
	s_waitcnt vmcnt(1)
	v_fma_f64 v[161:162], v[13:14], v[61:62], v[165:166]
	v_fma_f64 v[163:164], v[15:16], v[61:62], v[171:172]
	;; [unrolled: 1-line block ×8, first 2 shown]
	v_fma_f64 v[161:162], -v[15:16], v[63:64], v[161:162]
	v_fma_f64 v[163:164], v[13:14], v[63:64], v[163:164]
	v_fma_f64 v[98:99], -v[35:36], v[63:64], v[98:99]
	v_fma_f64 v[165:166], v[33:34], v[63:64], v[165:166]
	;; [unrolled: 2-line block ×4, first 2 shown]
	v_subrev_nc_u32_e32 v61, s2, v177
	s_clause 0x3
	global_load_dwordx4 v[13:16], v[167:168], off offset:96
	global_load_dwordx4 v[33:36], v[167:168], off offset:80
	;; [unrolled: 1-line block ×4, first 2 shown]
	v_lshlrev_b32_e32 v61, 2, v61
	v_ashrrev_i32_e32 v62, 31, v61
	s_waitcnt vmcnt(4)
	v_fma_f64 v[161:162], v[9:10], v[88:89], v[161:162]
	v_fma_f64 v[163:164], v[11:12], v[88:89], v[163:164]
	;; [unrolled: 1-line block ×8, first 2 shown]
	v_lshlrev_b64 v[61:62], 4, v[61:62]
	v_add_co_u32 v171, vcc_lo, s6, v61
	v_add_co_ci_u32_e64 v172, null, s7, v62, vcc_lo
	global_load_dwordx4 v[61:64], v[167:168], off offset:160
	v_fma_f64 v[161:162], -v[11:12], v[90:91], v[161:162]
	v_fma_f64 v[163:164], v[9:10], v[90:91], v[163:164]
	global_load_dwordx4 v[9:12], v[167:168], off offset:144
	v_fma_f64 v[98:99], -v[19:20], v[90:91], v[98:99]
	v_fma_f64 v[165:166], v[17:18], v[90:91], v[165:166]
	;; [unrolled: 3-line block ×4, first 2 shown]
	s_clause 0x1
	global_load_dwordx4 v[29:32], v[171:172], off
	global_load_dwordx4 v[88:91], v[171:172], off offset:16
	s_waitcnt vmcnt(1)
	v_fma_f64 v[161:162], v[121:122], v[29:30], v[161:162]
	v_fma_f64 v[163:164], v[123:124], v[29:30], v[163:164]
	;; [unrolled: 1-line block ×8, first 2 shown]
	v_fma_f64 v[161:162], -v[123:124], v[31:32], v[161:162]
	v_fma_f64 v[163:164], v[121:122], v[31:32], v[163:164]
	v_fma_f64 v[98:99], -v[143:144], v[31:32], v[98:99]
	v_fma_f64 v[165:166], v[141:142], v[31:32], v[165:166]
	;; [unrolled: 2-line block ×4, first 2 shown]
	s_clause 0x4
	global_load_dwordx4 v[121:124], v[167:168], off offset:224
	global_load_dwordx4 v[141:144], v[167:168], off offset:208
	;; [unrolled: 1-line block ×3, first 2 shown]
	global_load_dwordx4 v[29:32], v[108:109], off
	global_load_dwordx4 v[73:76], v[108:109], off offset:48
	s_waitcnt vmcnt(5)
	v_fma_f64 v[161:162], v[125:126], v[88:89], v[161:162]
	v_fma_f64 v[163:164], v[127:128], v[88:89], v[163:164]
	;; [unrolled: 1-line block ×8, first 2 shown]
	v_fma_f64 v[161:162], -v[127:128], v[90:91], v[161:162]
	v_fma_f64 v[163:164], v[125:126], v[90:91], v[163:164]
	global_load_dwordx4 v[125:128], v[108:109], off offset:32
	v_fma_f64 v[98:99], -v[139:140], v[90:91], v[98:99]
	v_fma_f64 v[165:166], v[137:138], v[90:91], v[165:166]
	global_load_dwordx4 v[137:140], v[108:109], off offset:16
	;; [unrolled: 3-line block ×4, first 2 shown]
	s_clause 0x1
	global_load_dwordx4 v[88:91], v[171:172], off offset:32
	global_load_dwordx4 v[157:160], v[171:172], off offset:48
	v_subrev_nc_u32_e32 v171, s2, v110
	s_waitcnt vmcnt(1)
	v_fma_f64 v[161:162], v[117:118], v[88:89], v[161:162]
	v_fma_f64 v[163:164], v[119:120], v[88:89], v[163:164]
	;; [unrolled: 1-line block ×8, first 2 shown]
	v_fma_f64 v[161:162], -v[119:120], v[90:91], v[161:162]
	v_fma_f64 v[163:164], v[117:118], v[90:91], v[163:164]
	v_fma_f64 v[98:99], -v[135:136], v[90:91], v[98:99]
	v_fma_f64 v[165:166], v[133:134], v[90:91], v[165:166]
	;; [unrolled: 2-line block ×4, first 2 shown]
	v_lshlrev_b32_e32 v57, 2, v171
	s_clause 0x2
	global_load_dwordx4 v[117:120], v[108:109], off offset:80
	global_load_dwordx4 v[133:136], v[108:109], off offset:64
	;; [unrolled: 1-line block ×3, first 2 shown]
	v_ashrrev_i32_e32 v58, 31, v57
	v_lshlrev_b64 v[57:58], 4, v[57:58]
	s_waitcnt vmcnt(3)
	v_fma_f64 v[88:89], v[113:114], v[157:158], v[161:162]
	v_fma_f64 v[90:91], v[115:116], v[157:158], v[163:164]
	v_add_co_u32 v171, vcc_lo, s6, v57
	v_add_co_ci_u32_e64 v172, null, s7, v58, vcc_lo
	v_fma_f64 v[98:99], v[129:130], v[157:158], v[98:99]
	v_fma_f64 v[92:93], v[69:70], v[157:158], v[92:93]
	global_load_dwordx4 v[57:60], v[171:172], off
	v_fma_f64 v[161:162], -v[115:116], v[159:160], v[88:89]
	v_fma_f64 v[163:164], v[113:114], v[159:160], v[90:91]
	global_load_dwordx4 v[88:91], v[171:172], off offset:16
	v_fma_f64 v[113:114], v[131:132], v[157:158], v[165:166]
	v_fma_f64 v[165:166], -v[131:132], v[159:160], v[98:99]
	v_fma_f64 v[98:99], v[71:72], v[157:158], v[167:168]
	v_fma_f64 v[167:168], -v[71:72], v[159:160], v[92:93]
	v_fma_f64 v[92:93], v[94:95], v[157:158], v[110:111]
	v_fma_f64 v[173:174], v[129:130], v[159:160], v[113:114]
	global_load_dwordx4 v[113:116], v[171:172], off offset:32
	v_fma_f64 v[175:176], v[69:70], v[159:160], v[98:99]
	v_fma_f64 v[98:99], v[96:97], v[157:158], v[169:170]
	v_fma_f64 v[110:111], -v[96:97], v[159:160], v[92:93]
	v_subrev_nc_u32_e32 v96, s2, v112
	global_load_dwordx4 v[69:72], v[108:109], off offset:128
	v_lshlrev_b32_e32 v129, 2, v96
	v_ashrrev_i32_e32 v130, 31, v129
	v_lshlrev_b64 v[129:130], 4, v[129:130]
	v_fma_f64 v[157:158], v[94:95], v[159:160], v[98:99]
	global_load_dwordx4 v[96:99], v[171:172], off offset:48
	v_add_co_u32 v159, vcc_lo, s6, v129
	v_add_co_ci_u32_e64 v160, null, s7, v130, vcc_lo
	s_clause 0x1
	global_load_dwordx4 v[129:132], v[108:109], off offset:192
	global_load_dwordx4 v[92:95], v[108:109], off offset:208
	v_add_co_u32 v102, vcc_lo, 0x100, v102
	v_add_co_ci_u32_e64 v103, null, 0, v103, vcc_lo
	v_add_co_u32 v106, vcc_lo, 0x400, v106
	v_add_co_ci_u32_e64 v107, null, 0, v107, vcc_lo
	v_cmp_ge_i64_e32 vcc_lo, v[102:103], v[80:81]
	s_or_b32 s9, vcc_lo, s9
	s_waitcnt vmcnt(6)
	v_fma_f64 v[161:162], v[84:85], v[57:58], v[161:162]
	v_fma_f64 v[163:164], v[86:87], v[57:58], v[163:164]
	;; [unrolled: 1-line block ×8, first 2 shown]
	v_fma_f64 v[161:162], -v[86:87], v[59:60], v[161:162]
	v_fma_f64 v[163:164], v[84:85], v[59:60], v[163:164]
	global_load_dwordx4 v[84:87], v[159:160], off
	v_fma_f64 v[165:166], -v[39:40], v[59:60], v[165:166]
	v_fma_f64 v[169:170], v[37:38], v[59:60], v[169:170]
	global_load_dwordx4 v[37:40], v[159:160], off offset:16
	v_fma_f64 v[167:168], -v[19:20], v[59:60], v[167:168]
	v_fma_f64 v[171:172], v[17:18], v[59:60], v[171:172]
	global_load_dwordx4 v[17:20], v[108:109], off offset:160
	;; [unrolled: 3-line block ×3, first 2 shown]
	global_load_dwordx4 v[153:156], v[159:160], off offset:32
	s_waitcnt vmcnt(10)
	v_fma_f64 v[110:111], v[53:54], v[88:89], v[161:162]
	v_fma_f64 v[161:162], v[55:56], v[88:89], v[163:164]
	;; [unrolled: 1-line block ×3, first 2 shown]
	v_fma_f64 v[163:164], -v[55:56], v[90:91], v[110:111]
	v_fma_f64 v[110:111], v[33:34], v[88:89], v[165:166]
	v_fma_f64 v[165:166], v[35:36], v[88:89], v[169:170]
	;; [unrolled: 1-line block ×3, first 2 shown]
	global_load_dwordx4 v[53:56], v[108:109], off offset:176
	v_fma_f64 v[169:170], -v[35:36], v[90:91], v[110:111]
	v_fma_f64 v[165:166], v[33:34], v[90:91], v[165:166]
	global_load_dwordx4 v[33:36], v[108:109], off offset:240
	global_load_dwordx4 v[108:111], v[159:160], off offset:48
	v_fma_f64 v[159:160], v[9:10], v[88:89], v[167:168]
	v_fma_f64 v[167:168], v[11:12], v[88:89], v[171:172]
	;; [unrolled: 1-line block ×3, first 2 shown]
	v_fma_f64 v[143:144], -v[143:144], v[90:91], v[157:158]
	s_waitcnt vmcnt(12)
	v_fma_f64 v[157:158], v[13:14], v[113:114], v[169:170]
	v_fma_f64 v[11:12], -v[11:12], v[90:91], v[159:160]
	v_fma_f64 v[9:10], v[9:10], v[90:91], v[167:168]
	v_fma_f64 v[88:89], v[141:142], v[90:91], v[88:89]
	;; [unrolled: 1-line block ×6, first 2 shown]
	v_fma_f64 v[15:16], -v[15:16], v[115:116], v[157:158]
	v_fma_f64 v[11:12], v[61:62], v[113:114], v[11:12]
	v_fma_f64 v[9:10], v[63:64], v[113:114], v[9:10]
	;; [unrolled: 1-line block ×3, first 2 shown]
	v_fma_f64 v[43:44], -v[43:44], v[115:116], v[90:91]
	v_fma_f64 v[41:42], v[41:42], v[115:116], v[141:142]
	v_fma_f64 v[13:14], v[13:14], v[115:116], v[159:160]
	s_waitcnt vmcnt(10)
	v_fma_f64 v[15:16], v[45:46], v[96:97], v[15:16]
	v_fma_f64 v[11:12], -v[63:64], v[115:116], v[11:12]
	v_fma_f64 v[9:10], v[61:62], v[115:116], v[9:10]
	v_fma_f64 v[61:62], -v[123:124], v[115:116], v[143:144]
	v_fma_f64 v[63:64], v[121:122], v[115:116], v[88:89]
	v_fma_f64 v[43:44], v[25:26], v[96:97], v[43:44]
	;; [unrolled: 1-line block ×4, first 2 shown]
	v_fma_f64 v[15:16], -v[47:48], v[98:99], v[15:16]
	v_fma_f64 v[11:12], v[49:50], v[96:97], v[11:12]
	v_fma_f64 v[9:10], v[51:52], v[96:97], v[9:10]
	;; [unrolled: 1-line block ×4, first 2 shown]
	v_fma_f64 v[27:28], -v[27:28], v[98:99], v[43:44]
	v_fma_f64 v[25:26], v[25:26], v[98:99], v[41:42]
	v_fma_f64 v[13:14], v[45:46], v[98:99], v[13:14]
	v_fma_f64 v[11:12], -v[51:52], v[98:99], v[11:12]
	v_fma_f64 v[9:10], v[49:50], v[98:99], v[9:10]
	v_fma_f64 v[23:24], -v[23:24], v[98:99], v[61:62]
	v_fma_f64 v[21:22], v[21:22], v[98:99], v[63:64]
	s_waitcnt vmcnt(7)
	v_fma_f64 v[27:28], v[29:30], v[84:85], v[27:28]
	v_fma_f64 v[25:26], v[31:32], v[84:85], v[25:26]
	v_fma_f64 v[15:16], v[133:134], v[84:85], v[15:16]
	v_fma_f64 v[13:14], v[135:136], v[84:85], v[13:14]
	v_fma_f64 v[11:12], v[69:70], v[84:85], v[11:12]
	v_fma_f64 v[9:10], v[71:72], v[84:85], v[9:10]
	v_fma_f64 v[23:24], v[129:130], v[84:85], v[23:24]
	v_fma_f64 v[21:22], v[131:132], v[84:85], v[21:22]
	v_fma_f64 v[27:28], -v[31:32], v[86:87], v[27:28]
	v_fma_f64 v[25:26], v[29:30], v[86:87], v[25:26]
	v_fma_f64 v[15:16], -v[135:136], v[86:87], v[15:16]
	v_fma_f64 v[13:14], v[133:134], v[86:87], v[13:14]
	v_fma_f64 v[11:12], -v[71:72], v[86:87], v[11:12]
	v_fma_f64 v[9:10], v[69:70], v[86:87], v[9:10]
	v_fma_f64 v[23:24], -v[131:132], v[86:87], v[23:24]
	v_fma_f64 v[21:22], v[129:130], v[86:87], v[21:22]
	s_waitcnt vmcnt(6)
	v_fma_f64 v[27:28], v[137:138], v[37:38], v[27:28]
	v_fma_f64 v[25:26], v[139:140], v[37:38], v[25:26]
	v_fma_f64 v[15:16], v[117:118], v[37:38], v[15:16]
	v_fma_f64 v[13:14], v[119:120], v[37:38], v[13:14]
	v_fma_f64 v[11:12], v[145:146], v[37:38], v[11:12]
	v_fma_f64 v[9:10], v[147:148], v[37:38], v[9:10]
	v_fma_f64 v[23:24], v[92:93], v[37:38], v[23:24]
	v_fma_f64 v[21:22], v[94:95], v[37:38], v[21:22]
	v_fma_f64 v[27:28], -v[139:140], v[39:40], v[27:28]
	v_fma_f64 v[25:26], v[137:138], v[39:40], v[25:26]
	v_fma_f64 v[15:16], -v[119:120], v[39:40], v[15:16]
	v_fma_f64 v[13:14], v[117:118], v[39:40], v[13:14]
	v_fma_f64 v[11:12], -v[147:148], v[39:40], v[11:12]
	v_fma_f64 v[9:10], v[145:146], v[39:40], v[9:10]
	v_fma_f64 v[23:24], -v[94:95], v[39:40], v[23:24]
	v_fma_f64 v[21:22], v[92:93], v[39:40], v[21:22]
	s_waitcnt vmcnt(3)
	v_fma_f64 v[27:28], v[125:126], v[153:154], v[27:28]
	v_fma_f64 v[25:26], v[127:128], v[153:154], v[25:26]
	v_fma_f64 v[15:16], v[65:66], v[153:154], v[15:16]
	v_fma_f64 v[13:14], v[67:68], v[153:154], v[13:14]
	v_fma_f64 v[11:12], v[17:18], v[153:154], v[11:12]
	v_fma_f64 v[9:10], v[19:20], v[153:154], v[9:10]
	v_fma_f64 v[23:24], v[57:58], v[153:154], v[23:24]
	v_fma_f64 v[21:22], v[59:60], v[153:154], v[21:22]
	v_fma_f64 v[27:28], -v[127:128], v[155:156], v[27:28]
	v_fma_f64 v[25:26], v[125:126], v[155:156], v[25:26]
	v_fma_f64 v[15:16], -v[67:68], v[155:156], v[15:16]
	v_fma_f64 v[13:14], v[65:66], v[155:156], v[13:14]
	v_fma_f64 v[11:12], -v[19:20], v[155:156], v[11:12]
	v_fma_f64 v[9:10], v[17:18], v[155:156], v[9:10]
	v_fma_f64 v[17:18], -v[59:60], v[155:156], v[23:24]
	v_fma_f64 v[19:20], v[57:58], v[155:156], v[21:22]
	s_waitcnt vmcnt(0)
	v_fma_f64 v[21:22], v[73:74], v[108:109], v[27:28]
	v_fma_f64 v[23:24], v[75:76], v[108:109], v[25:26]
	v_fma_f64 v[15:16], v[149:150], v[108:109], v[15:16]
	v_fma_f64 v[13:14], v[151:152], v[108:109], v[13:14]
	v_fma_f64 v[11:12], v[53:54], v[108:109], v[11:12]
	v_fma_f64 v[9:10], v[55:56], v[108:109], v[9:10]
	v_fma_f64 v[17:18], v[33:34], v[108:109], v[17:18]
	v_fma_f64 v[19:20], v[35:36], v[108:109], v[19:20]
	v_fma_f64 v[96:97], -v[75:76], v[110:111], v[21:22]
	v_fma_f64 v[94:95], v[73:74], v[110:111], v[23:24]
	v_fma_f64 v[98:99], -v[151:152], v[110:111], v[15:16]
	v_fma_f64 v[88:89], v[149:150], v[110:111], v[13:14]
	v_fma_f64 v[92:93], -v[55:56], v[110:111], v[11:12]
	v_fma_f64 v[90:91], v[53:54], v[110:111], v[9:10]
	v_fma_f64 v[84:85], -v[35:36], v[110:111], v[17:18]
	v_fma_f64 v[86:87], v[33:34], v[110:111], v[19:20]
	s_andn2_b32 exec_lo, exec_lo, s9
	s_cbranch_execnz .LBB39_19
; %bb.20:
	s_or_b32 exec_lo, exec_lo, s9
.LBB39_21:
	s_or_b32 exec_lo, exec_lo, s8
.LBB39_22:
	s_or_b32 exec_lo, exec_lo, s3
	s_cbranch_execz .LBB39_24
	s_branch .LBB39_35
.LBB39_23:
                                        ; implicit-def: $vgpr94_vgpr95
                                        ; implicit-def: $vgpr96_vgpr97
                                        ; implicit-def: $vgpr84_vgpr85
                                        ; implicit-def: $vgpr86_vgpr87
                                        ; implicit-def: $vgpr92_vgpr93
                                        ; implicit-def: $vgpr90_vgpr91
                                        ; implicit-def: $vgpr98_vgpr99
                                        ; implicit-def: $vgpr88_vgpr89
.LBB39_24:
	v_mov_b32_e32 v94, 0
	v_mov_b32_e32 v96, 0
	;; [unrolled: 1-line block ×16, first 2 shown]
	s_and_saveexec_b32 s1, s0
	s_cbranch_execz .LBB39_34
; %bb.25:
	v_or_b32_e32 v9, 64, v0
	v_not_b32_e32 v13, v100
	v_not_b32_e32 v11, v101
	v_mov_b32_e32 v88, 0
	v_mov_b32_e32 v98, 0
	v_sub_co_u32 v9, s0, v9, s2
	v_sub_co_ci_u32_e64 v10, null, 0, 0, s0
	v_sub_co_u32 v14, s0, s2, v0
	v_add_co_u32 v9, vcc_lo, v9, v100
	v_add_co_ci_u32_e64 v10, null, v10, v101, vcc_lo
	v_sub_co_ci_u32_e64 v15, null, 0, 0, s0
	v_add_co_u32 v13, s0, v14, v13
	v_cmp_gt_i64_e32 vcc_lo, v[9:10], v[80:81]
	v_add_co_ci_u32_e64 v11, null, v15, v11, s0
	v_mov_b32_e32 v90, 0
	v_mov_b32_e32 v92, 0
	;; [unrolled: 1-line block ×3, first 2 shown]
	v_cndmask_b32_e32 v9, v80, v9, vcc_lo
	v_cndmask_b32_e32 v10, v81, v10, vcc_lo
	v_mov_b32_e32 v84, 0
	v_mov_b32_e32 v96, 0
	;; [unrolled: 1-line block ×3, first 2 shown]
	v_add_co_u32 v9, vcc_lo, v13, v9
	v_mov_b32_e32 v12, 0
	v_mov_b32_e32 v89, 0
	;; [unrolled: 1-line block ×4, first 2 shown]
	v_add_co_ci_u32_e64 v10, null, v11, v10, vcc_lo
	v_and_b32_e32 v11, 0xc0, v9
	v_mov_b32_e32 v93, 0
	v_mov_b32_e32 v87, 0
	;; [unrolled: 1-line block ×5, first 2 shown]
	s_mov_b32 s3, exec_lo
	v_cmpx_ne_u64_e32 0xc0, v[11:12]
	s_cbranch_execz .LBB39_29
; %bb.26:
	v_lshrrev_b32_e32 v13, 6, v9
	v_lshlrev_b64 v[11:12], 2, v[78:79]
	v_mov_b32_e32 v94, 0
	v_mov_b32_e32 v96, 0
	;; [unrolled: 1-line block ×3, first 2 shown]
	v_add_nc_u32_e32 v13, 1, v13
	v_mov_b32_e32 v86, 0
	v_add_co_u32 v11, vcc_lo, s12, v11
	v_mov_b32_e32 v92, 0
	v_and_b32_e32 v13, 3, v13
	v_mov_b32_e32 v90, 0
	v_mov_b32_e32 v98, 0
	;; [unrolled: 1-line block ×4, first 2 shown]
	v_sub_co_u32 v13, s0, 0, v13
	v_mov_b32_e32 v97, 0
	v_mov_b32_e32 v85, 0
	v_add_co_ci_u32_e64 v12, null, s13, v12, vcc_lo
	v_mov_b32_e32 v87, 0
	v_mov_b32_e32 v93, 0
	v_mov_b32_e32 v91, 0
	v_mov_b32_e32 v99, 0
	v_mov_b32_e32 v89, 0
	v_sub_co_ci_u32_e64 v14, null, 0, 0, s0
	s_mov_b32 s8, 0
.LBB39_27:                              ; =>This Inner Loop Header: Depth=1
	global_load_dword v31, v[11:12], off
	s_clause 0x3
	global_load_dwordx4 v[15:18], v[82:83], off offset:48
	global_load_dwordx4 v[19:22], v[82:83], off offset:32
	;; [unrolled: 1-line block ×3, first 2 shown]
	global_load_dwordx4 v[27:30], v[82:83], off
	v_add_co_u32 v11, s0, 0x100, v11
	v_add_co_ci_u32_e64 v12, null, 0, v12, s0
	s_waitcnt vmcnt(4)
	v_subrev_nc_u32_e32 v31, s2, v31
	v_lshlrev_b32_e32 v31, 2, v31
	v_ashrrev_i32_e32 v32, 31, v31
	v_lshlrev_b64 v[31:32], 4, v[31:32]
	v_add_co_u32 v75, vcc_lo, s6, v31
	v_add_co_ci_u32_e64 v76, null, s7, v32, vcc_lo
	global_load_dwordx4 v[31:34], v[75:76], off
	s_clause 0x3
	global_load_dwordx4 v[35:38], v[82:83], off offset:64
	global_load_dwordx4 v[39:42], v[82:83], off offset:80
	;; [unrolled: 1-line block ×5, first 2 shown]
	s_clause 0x3
	global_load_dwordx4 v[55:58], v[82:83], off offset:176
	global_load_dwordx4 v[59:62], v[82:83], off offset:160
	;; [unrolled: 1-line block ×4, first 2 shown]
	s_clause 0x1
	global_load_dwordx4 v[71:74], v[75:76], off offset:32
	global_load_dwordx4 v[100:103], v[75:76], off offset:48
	s_clause 0x3
	global_load_dwordx4 v[104:107], v[82:83], off offset:192
	global_load_dwordx4 v[108:111], v[82:83], off offset:208
	;; [unrolled: 1-line block ×4, first 2 shown]
	v_add_co_u32 v82, vcc_lo, 0x4000, v82
	v_add_co_ci_u32_e64 v83, null, 0, v83, vcc_lo
	v_add_co_u32 v13, vcc_lo, v13, 1
	v_add_co_ci_u32_e64 v14, null, 0, v14, vcc_lo
	;; [unrolled: 2-line block ×3, first 2 shown]
	v_cmp_eq_u64_e32 vcc_lo, 0, v[13:14]
	s_or_b32 s8, vcc_lo, s8
	s_waitcnt vmcnt(15)
	v_fma_f64 v[75:76], v[27:28], v[31:32], v[96:97]
	v_fma_f64 v[94:95], v[29:30], v[31:32], v[94:95]
	v_fma_f64 v[96:97], v[23:24], v[31:32], v[98:99]
	v_fma_f64 v[88:89], v[25:26], v[31:32], v[88:89]
	v_fma_f64 v[92:93], v[19:20], v[31:32], v[92:93]
	v_fma_f64 v[90:91], v[21:22], v[31:32], v[90:91]
	v_fma_f64 v[84:85], v[15:16], v[31:32], v[84:85]
	v_fma_f64 v[31:32], v[17:18], v[31:32], v[86:87]
	v_fma_f64 v[29:30], -v[29:30], v[33:34], v[75:76]
	v_fma_f64 v[27:28], v[27:28], v[33:34], v[94:95]
	v_fma_f64 v[25:26], -v[25:26], v[33:34], v[96:97]
	v_fma_f64 v[23:24], v[23:24], v[33:34], v[88:89]
	v_fma_f64 v[21:22], -v[21:22], v[33:34], v[92:93]
	v_fma_f64 v[19:20], v[19:20], v[33:34], v[90:91]
	v_fma_f64 v[17:18], -v[17:18], v[33:34], v[84:85]
	v_fma_f64 v[15:16], v[15:16], v[33:34], v[31:32]
	s_waitcnt vmcnt(10)
	v_fma_f64 v[29:30], v[35:36], v[51:52], v[29:30]
	v_fma_f64 v[27:28], v[37:38], v[51:52], v[27:28]
	v_fma_f64 v[25:26], v[39:40], v[51:52], v[25:26]
	v_fma_f64 v[23:24], v[41:42], v[51:52], v[23:24]
	v_fma_f64 v[21:22], v[43:44], v[51:52], v[21:22]
	v_fma_f64 v[19:20], v[45:46], v[51:52], v[19:20]
	v_fma_f64 v[17:18], v[47:48], v[51:52], v[17:18]
	v_fma_f64 v[15:16], v[49:50], v[51:52], v[15:16]
	v_fma_f64 v[29:30], -v[37:38], v[53:54], v[29:30]
	v_fma_f64 v[27:28], v[35:36], v[53:54], v[27:28]
	v_fma_f64 v[25:26], -v[41:42], v[53:54], v[25:26]
	v_fma_f64 v[23:24], v[39:40], v[53:54], v[23:24]
	v_fma_f64 v[21:22], -v[45:46], v[53:54], v[21:22]
	v_fma_f64 v[19:20], v[43:44], v[53:54], v[19:20]
	v_fma_f64 v[17:18], -v[49:50], v[53:54], v[17:18]
	v_fma_f64 v[15:16], v[47:48], v[53:54], v[15:16]
	;; [unrolled: 17-line block ×3, first 2 shown]
	s_waitcnt vmcnt(3)
	v_fma_f64 v[29:30], v[104:105], v[100:101], v[29:30]
	v_fma_f64 v[27:28], v[106:107], v[100:101], v[27:28]
	s_waitcnt vmcnt(2)
	v_fma_f64 v[25:26], v[108:109], v[100:101], v[25:26]
	v_fma_f64 v[23:24], v[110:111], v[100:101], v[23:24]
	s_waitcnt vmcnt(1)
	v_fma_f64 v[21:22], v[112:113], v[100:101], v[21:22]
	v_fma_f64 v[19:20], v[114:115], v[100:101], v[19:20]
	s_waitcnt vmcnt(0)
	v_fma_f64 v[17:18], v[116:117], v[100:101], v[17:18]
	v_fma_f64 v[15:16], v[118:119], v[100:101], v[15:16]
	v_fma_f64 v[96:97], -v[106:107], v[102:103], v[29:30]
	v_fma_f64 v[94:95], v[104:105], v[102:103], v[27:28]
	v_fma_f64 v[98:99], -v[110:111], v[102:103], v[25:26]
	v_fma_f64 v[88:89], v[108:109], v[102:103], v[23:24]
	;; [unrolled: 2-line block ×4, first 2 shown]
	s_andn2_b32 exec_lo, exec_lo, s8
	s_cbranch_execnz .LBB39_27
; %bb.28:
	s_or_b32 exec_lo, exec_lo, s8
.LBB39_29:
	s_or_b32 exec_lo, exec_lo, s3
	s_mov_b32 s3, exec_lo
	v_cmpx_lt_u64_e32 0xbf, v[9:10]
	s_cbranch_execz .LBB39_33
; %bb.30:
	v_lshlrev_b64 v[9:10], 2, v[78:79]
	s_mov_b32 s8, 0
	v_add_co_u32 v9, vcc_lo, s12, v9
	v_add_co_ci_u32_e64 v10, null, s13, v10, vcc_lo
	v_add_co_u32 v73, vcc_lo, 0x200, v9
	v_add_co_ci_u32_e64 v74, null, 0, v10, vcc_lo
.LBB39_31:                              ; =>This Inner Loop Header: Depth=1
	global_load_dword v101, v[73:74], off offset:-512
	s_clause 0xf
	global_load_dwordx4 v[9:12], v[82:83], off offset:48
	global_load_dwordx4 v[17:20], v[82:83], off offset:32
	;; [unrolled: 1-line block ×3, first 2 shown]
	global_load_dwordx4 v[45:48], v[82:83], off
	global_load_dwordx4 v[37:40], v[82:83], off offset:112
	global_load_dwordx4 v[49:52], v[82:83], off offset:96
	;; [unrolled: 1-line block ×12, first 2 shown]
	v_add_co_u32 v142, vcc_lo, 0x4000, v82
	v_add_co_ci_u32_e64 v143, null, 0, v83, vcc_lo
	v_add_co_u32 v144, vcc_lo, 0x8000, v82
	v_add_co_ci_u32_e64 v145, null, 0, v83, vcc_lo
	;; [unrolled: 2-line block ×3, first 2 shown]
	s_clause 0x2
	global_load_dword v156, v[73:74], off offset:-256
	global_load_dword v100, v[73:74], off
	global_load_dword v157, v[73:74], off offset:256
	s_clause 0x7
	global_load_dwordx4 v[102:105], v[142:143], off offset:48
	global_load_dwordx4 v[106:109], v[142:143], off offset:32
	global_load_dwordx4 v[110:113], v[142:143], off
	global_load_dwordx4 v[114:117], v[142:143], off offset:16
	global_load_dwordx4 v[118:121], v[142:143], off offset:112
	;; [unrolled: 1-line block ×5, first 2 shown]
	v_add_co_u32 v82, s0, 0x10000, v82
	v_add_co_ci_u32_e64 v83, null, 0, v83, s0
	s_waitcnt vmcnt(27)
	v_subrev_nc_u32_e32 v101, s2, v101
	v_lshlrev_b32_e32 v134, 2, v101
	v_ashrrev_i32_e32 v135, 31, v134
	v_lshlrev_b64 v[134:135], 4, v[134:135]
	v_add_co_u32 v146, vcc_lo, s6, v134
	v_add_co_ci_u32_e64 v147, null, s7, v135, vcc_lo
	s_clause 0x1
	global_load_dwordx4 v[134:137], v[146:147], off
	global_load_dwordx4 v[138:141], v[146:147], off offset:16
	s_waitcnt vmcnt(11)
	v_subrev_nc_u32_e32 v100, s2, v100
	s_waitcnt vmcnt(1)
	v_fma_f64 v[88:89], v[31:32], v[134:135], v[88:89]
	v_fma_f64 v[94:95], v[47:48], v[134:135], v[94:95]
	v_fma_f64 v[92:93], v[17:18], v[134:135], v[92:93]
	v_fma_f64 v[90:91], v[19:20], v[134:135], v[90:91]
	v_fma_f64 v[96:97], v[45:46], v[134:135], v[96:97]
	v_fma_f64 v[98:99], v[29:30], v[134:135], v[98:99]
	v_fma_f64 v[84:85], v[9:10], v[134:135], v[84:85]
	v_fma_f64 v[86:87], v[11:12], v[134:135], v[86:87]
	v_fma_f64 v[88:89], v[29:30], v[136:137], v[88:89]
	v_fma_f64 v[94:95], v[45:46], v[136:137], v[94:95]
	v_fma_f64 v[92:93], -v[19:20], v[136:137], v[92:93]
	v_fma_f64 v[90:91], v[17:18], v[136:137], v[90:91]
	v_fma_f64 v[96:97], -v[47:48], v[136:137], v[96:97]
	v_fma_f64 v[98:99], -v[31:32], v[136:137], v[98:99]
	;; [unrolled: 1-line block ×3, first 2 shown]
	v_fma_f64 v[136:137], v[9:10], v[136:137], v[86:87]
	s_clause 0x4
	global_load_dwordx4 v[45:48], v[142:143], off offset:176
	global_load_dwordx4 v[29:32], v[142:143], off offset:160
	;; [unrolled: 1-line block ×5, first 2 shown]
	s_waitcnt vmcnt(5)
	v_fma_f64 v[88:89], v[59:60], v[138:139], v[88:89]
	v_fma_f64 v[94:95], v[67:68], v[138:139], v[94:95]
	;; [unrolled: 1-line block ×10, first 2 shown]
	v_fma_f64 v[96:97], -v[67:68], v[140:141], v[96:97]
	global_load_dwordx4 v[65:68], v[142:143], off offset:224
	v_fma_f64 v[152:153], -v[51:52], v[140:141], v[88:89]
	v_fma_f64 v[88:89], v[37:38], v[138:139], v[134:135]
	v_fma_f64 v[98:99], -v[59:60], v[140:141], v[94:95]
	s_clause 0x1
	global_load_dwordx4 v[57:60], v[142:143], off offset:208
	global_load_dwordx4 v[49:52], v[142:143], off offset:192
	v_fma_f64 v[136:137], v[37:38], v[140:141], v[90:91]
	v_fma_f64 v[134:135], -v[39:40], v[140:141], v[88:89]
	global_load_dwordx4 v[37:40], v[144:145], off
	s_clause 0x1
	global_load_dwordx4 v[88:91], v[146:147], off offset:32
	global_load_dwordx4 v[92:95], v[146:147], off offset:48
	s_waitcnt vmcnt(1)
	v_fma_f64 v[98:99], v[61:62], v[88:89], v[98:99]
	v_fma_f64 v[142:143], v[41:42], v[88:89], v[152:153]
	;; [unrolled: 1-line block ×8, first 2 shown]
	v_fma_f64 v[98:99], -v[63:64], v[90:91], v[98:99]
	v_fma_f64 v[142:143], -v[43:44], v[90:91], v[142:143]
	v_fma_f64 v[96:97], -v[71:72], v[90:91], v[96:97]
	v_fma_f64 v[138:139], v[69:70], v[90:91], v[138:139]
	v_fma_f64 v[140:141], v[61:62], v[90:91], v[140:141]
	v_fma_f64 v[146:147], v[41:42], v[90:91], v[146:147]
	v_fma_f64 v[134:135], -v[27:28], v[90:91], v[134:135]
	v_fma_f64 v[136:137], v[25:26], v[90:91], v[88:89]
	v_subrev_nc_u32_e32 v88, s2, v156
	s_clause 0x3
	global_load_dwordx4 v[69:72], v[144:145], off offset:48
	global_load_dwordx4 v[61:64], v[144:145], off offset:32
	;; [unrolled: 1-line block ×4, first 2 shown]
	v_lshlrev_b32_e32 v88, 2, v88
	v_ashrrev_i32_e32 v89, 31, v88
	s_waitcnt vmcnt(4)
	v_fma_f64 v[98:99], v[33:34], v[92:93], v[98:99]
	v_lshlrev_b64 v[88:89], 4, v[88:89]
	v_fma_f64 v[96:97], v[53:54], v[92:93], v[96:97]
	v_fma_f64 v[138:139], v[55:56], v[92:93], v[138:139]
	;; [unrolled: 1-line block ×3, first 2 shown]
	v_add_co_u32 v148, vcc_lo, s6, v88
	v_add_co_ci_u32_e64 v149, null, s7, v89, vcc_lo
	global_load_dwordx4 v[88:91], v[144:145], off offset:96
	v_fma_f64 v[150:151], -v[35:36], v[94:95], v[98:99]
	v_fma_f64 v[98:99], v[21:22], v[92:93], v[142:143]
	v_fma_f64 v[142:143], v[23:24], v[92:93], v[146:147]
	v_fma_f64 v[96:97], -v[55:56], v[94:95], v[96:97]
	v_fma_f64 v[138:139], v[53:54], v[94:95], v[138:139]
	global_load_dwordx4 v[53:56], v[144:145], off offset:80
	v_fma_f64 v[140:141], v[33:34], v[94:95], v[140:141]
	global_load_dwordx4 v[33:36], v[144:145], off offset:64
	v_fma_f64 v[146:147], -v[23:24], v[94:95], v[98:99]
	v_fma_f64 v[98:99], v[13:14], v[92:93], v[134:135]
	v_fma_f64 v[92:93], v[15:16], v[92:93], v[136:137]
	;; [unrolled: 1-line block ×3, first 2 shown]
	global_load_dwordx4 v[21:24], v[144:145], off offset:176
	v_fma_f64 v[134:135], -v[15:16], v[94:95], v[98:99]
	v_fma_f64 v[136:137], v[13:14], v[94:95], v[92:93]
	s_clause 0x1
	global_load_dwordx4 v[13:16], v[148:149], off
	global_load_dwordx4 v[92:95], v[148:149], off offset:16
	s_waitcnt vmcnt(1)
	v_fma_f64 v[96:97], v[110:111], v[13:14], v[96:97]
	v_fma_f64 v[98:99], v[112:113], v[13:14], v[138:139]
	v_fma_f64 v[138:139], -v[112:113], v[15:16], v[96:97]
	v_fma_f64 v[152:153], v[110:111], v[15:16], v[98:99]
	v_fma_f64 v[110:111], v[114:115], v[13:14], v[150:151]
	;; [unrolled: 1-line block ×3, first 2 shown]
	global_load_dwordx4 v[96:99], v[144:145], off offset:160
	v_fma_f64 v[140:141], -v[116:117], v[15:16], v[110:111]
	v_fma_f64 v[150:151], v[114:115], v[15:16], v[112:113]
	v_fma_f64 v[114:115], v[106:107], v[13:14], v[146:147]
	v_fma_f64 v[116:117], v[108:109], v[13:14], v[142:143]
	global_load_dwordx4 v[110:113], v[144:145], off offset:144
	v_fma_f64 v[142:143], -v[108:109], v[15:16], v[114:115]
	v_fma_f64 v[146:147], v[106:107], v[15:16], v[116:117]
	v_fma_f64 v[114:115], v[102:103], v[13:14], v[134:135]
	s_waitcnt vmcnt(2)
	v_fma_f64 v[116:117], v[132:133], v[92:93], v[152:153]
	v_fma_f64 v[13:14], v[104:105], v[13:14], v[136:137]
	global_load_dwordx4 v[106:109], v[144:145], off offset:128
	v_fma_f64 v[134:135], -v[104:105], v[15:16], v[114:115]
	v_fma_f64 v[114:115], v[130:131], v[92:93], v[138:139]
	v_fma_f64 v[152:153], v[130:131], v[94:95], v[116:117]
	;; [unrolled: 1-line block ×4, first 2 shown]
	s_clause 0x1
	global_load_dwordx4 v[13:16], v[144:145], off offset:240
	global_load_dwordx4 v[101:104], v[144:145], off offset:224
	v_subrev_nc_u32_e32 v105, s2, v157
	v_fma_f64 v[138:139], -v[132:133], v[94:95], v[114:115]
	v_fma_f64 v[132:133], v[128:129], v[92:93], v[150:151]
	v_fma_f64 v[140:141], -v[128:129], v[94:95], v[130:131]
	v_fma_f64 v[130:131], v[122:123], v[92:93], v[142:143]
	global_load_dwordx4 v[114:117], v[144:145], off offset:208
	v_fma_f64 v[150:151], v[126:127], v[94:95], v[132:133]
	v_fma_f64 v[132:133], v[124:125], v[92:93], v[146:147]
	v_fma_f64 v[142:143], -v[124:125], v[94:95], v[130:131]
	v_fma_f64 v[130:131], v[118:119], v[92:93], v[134:135]
	v_fma_f64 v[92:93], v[120:121], v[92:93], v[136:137]
	global_load_dwordx4 v[126:129], v[144:145], off offset:192
	v_fma_f64 v[144:145], v[122:123], v[94:95], v[132:133]
	global_load_dwordx4 v[122:125], v[75:76], off
	v_fma_f64 v[134:135], -v[120:121], v[94:95], v[130:131]
	v_fma_f64 v[136:137], v[118:119], v[94:95], v[92:93]
	global_load_dwordx4 v[92:95], v[75:76], off offset:48
	s_clause 0x1
	global_load_dwordx4 v[118:121], v[148:149], off offset:32
	global_load_dwordx4 v[130:133], v[148:149], off offset:48
	s_waitcnt vmcnt(1)
	v_fma_f64 v[144:145], v[31:32], v[118:119], v[144:145]
	v_fma_f64 v[142:143], v[29:30], v[118:119], v[142:143]
	;; [unrolled: 1-line block ×8, first 2 shown]
	v_lshlrev_b32_e32 v150, 2, v105
	v_ashrrev_i32_e32 v151, 31, v150
	v_fma_f64 v[144:145], v[29:30], v[120:121], v[144:145]
	v_fma_f64 v[142:143], -v[31:32], v[120:121], v[142:143]
	v_fma_f64 v[138:139], -v[11:12], v[120:121], v[138:139]
	v_fma_f64 v[146:147], v[9:10], v[120:121], v[146:147]
	v_fma_f64 v[140:141], -v[19:20], v[120:121], v[140:141]
	v_fma_f64 v[148:149], v[17:18], v[120:121], v[148:149]
	;; [unrolled: 2-line block ×3, first 2 shown]
	s_clause 0x4
	global_load_dwordx4 v[9:12], v[75:76], off offset:32
	global_load_dwordx4 v[17:20], v[75:76], off offset:16
	;; [unrolled: 1-line block ×5, first 2 shown]
	s_waitcnt vmcnt(5)
	v_fma_f64 v[144:145], v[67:68], v[130:131], v[144:145]
	v_fma_f64 v[142:143], v[65:66], v[130:131], v[142:143]
	;; [unrolled: 1-line block ×7, first 2 shown]
	v_lshlrev_b32_e32 v65, 2, v100
	v_fma_f64 v[142:143], -v[67:68], v[132:133], v[142:143]
	v_fma_f64 v[67:68], v[86:87], v[130:131], v[136:137]
	v_fma_f64 v[138:139], -v[51:52], v[132:133], v[138:139]
	v_fma_f64 v[146:147], v[49:50], v[132:133], v[146:147]
	v_ashrrev_i32_e32 v66, 31, v65
	global_load_dwordx4 v[49:52], v[75:76], off offset:64
	v_fma_f64 v[140:141], -v[59:60], v[132:133], v[140:141]
	v_fma_f64 v[148:149], v[57:58], v[132:133], v[148:149]
	global_load_dwordx4 v[57:60], v[75:76], off offset:176
	v_lshlrev_b64 v[65:66], 4, v[65:66]
	v_add_co_u32 v152, vcc_lo, s6, v65
	v_add_co_ci_u32_e64 v153, null, s7, v66, vcc_lo
	v_fma_f64 v[65:66], v[84:85], v[130:131], v[134:135]
	v_fma_f64 v[136:137], v[84:85], v[132:133], v[67:68]
	v_fma_f64 v[134:135], -v[86:87], v[132:133], v[65:66]
	s_clause 0x1
	global_load_dwordx4 v[65:68], v[152:153], off
	global_load_dwordx4 v[84:87], v[152:153], off offset:16
	s_waitcnt vmcnt(1)
	v_fma_f64 v[130:131], v[37:38], v[65:66], v[138:139]
	v_fma_f64 v[132:133], v[39:40], v[65:66], v[146:147]
	;; [unrolled: 1-line block ×8, first 2 shown]
	v_fma_f64 v[138:139], -v[39:40], v[67:68], v[130:131]
	v_fma_f64 v[146:147], v[37:38], v[67:68], v[132:133]
	global_load_dwordx4 v[37:40], v[152:153], off offset:32
	v_lshlrev_b64 v[130:131], 4, v[150:151]
	v_fma_f64 v[140:141], -v[43:44], v[67:68], v[140:141]
	v_fma_f64 v[148:149], v[41:42], v[67:68], v[148:149]
	v_fma_f64 v[142:143], -v[63:64], v[67:68], v[142:143]
	v_fma_f64 v[144:145], v[61:62], v[67:68], v[144:145]
	v_fma_f64 v[134:135], -v[71:72], v[67:68], v[134:135]
	v_add_co_u32 v150, vcc_lo, s6, v130
	v_add_co_ci_u32_e64 v151, null, s7, v131, vcc_lo
	global_load_dwordx4 v[130:133], v[152:153], off offset:48
	v_fma_f64 v[136:137], v[69:70], v[67:68], v[65:66]
	v_add_co_u32 v78, vcc_lo, 0x100, v78
	s_clause 0x1
	global_load_dwordx4 v[41:44], v[150:151], off offset:16
	global_load_dwordx4 v[61:64], v[150:151], off
	s_clause 0x1
	global_load_dwordx4 v[65:68], v[75:76], off offset:160
	global_load_dwordx4 v[69:72], v[75:76], off offset:144
	v_add_co_ci_u32_e64 v79, null, 0, v79, vcc_lo
	s_waitcnt vmcnt(6)
	v_fma_f64 v[138:139], v[33:34], v[84:85], v[138:139]
	v_fma_f64 v[146:147], v[35:36], v[84:85], v[146:147]
	v_add_co_u32 v73, vcc_lo, 0x400, v73
	v_fma_f64 v[140:141], v[53:54], v[84:85], v[140:141]
	v_fma_f64 v[148:149], v[55:56], v[84:85], v[148:149]
	;; [unrolled: 1-line block ×5, first 2 shown]
	v_add_co_ci_u32_e64 v74, null, 0, v74, vcc_lo
	v_cmp_ge_i64_e32 vcc_lo, v[78:79], v[80:81]
	v_fma_f64 v[84:85], v[27:28], v[84:85], v[136:137]
	s_or_b32 s8, vcc_lo, s8
	v_fma_f64 v[138:139], -v[35:36], v[86:87], v[138:139]
	v_fma_f64 v[146:147], v[33:34], v[86:87], v[146:147]
	global_load_dwordx4 v[33:36], v[75:76], off offset:128
	v_fma_f64 v[140:141], -v[55:56], v[86:87], v[140:141]
	v_fma_f64 v[148:149], v[53:54], v[86:87], v[148:149]
	global_load_dwordx4 v[53:56], v[150:151], off offset:48
	;; [unrolled: 3-line block ×3, first 2 shown]
	v_fma_f64 v[150:151], -v[27:28], v[86:87], v[134:135]
	v_fma_f64 v[152:153], v[25:26], v[86:87], v[84:85]
	s_clause 0x1
	global_load_dwordx4 v[25:28], v[75:76], off offset:208
	global_load_dwordx4 v[84:87], v[75:76], off offset:192
	s_waitcnt vmcnt(10)
	v_fma_f64 v[134:135], v[106:107], v[37:38], v[138:139]
	v_fma_f64 v[136:137], v[108:109], v[37:38], v[146:147]
	;; [unrolled: 1-line block ×4, first 2 shown]
	v_fma_f64 v[138:139], -v[108:109], v[39:40], v[134:135]
	v_fma_f64 v[146:147], v[106:107], v[39:40], v[136:137]
	s_clause 0x1
	global_load_dwordx4 v[105:108], v[75:76], off offset:224
	global_load_dwordx4 v[134:137], v[75:76], off offset:240
	v_fma_f64 v[75:76], v[110:111], v[37:38], v[140:141]
	v_fma_f64 v[140:141], v[112:113], v[37:38], v[148:149]
	;; [unrolled: 1-line block ×4, first 2 shown]
	v_fma_f64 v[98:99], -v[98:99], v[39:40], v[142:143]
	v_fma_f64 v[96:97], v[96:97], v[39:40], v[144:145]
	v_fma_f64 v[75:76], -v[112:113], v[39:40], v[75:76]
	v_fma_f64 v[109:110], v[110:111], v[39:40], v[140:141]
	;; [unrolled: 2-line block ×3, first 2 shown]
	s_waitcnt vmcnt(11)
	v_fma_f64 v[37:38], v[126:127], v[130:131], v[138:139]
	v_fma_f64 v[39:40], v[128:129], v[130:131], v[146:147]
	;; [unrolled: 1-line block ×8, first 2 shown]
	v_fma_f64 v[37:38], -v[128:129], v[132:133], v[37:38]
	v_fma_f64 v[39:40], v[126:127], v[132:133], v[39:40]
	v_fma_f64 v[98:99], -v[103:104], v[132:133], v[98:99]
	v_fma_f64 v[96:97], v[101:102], v[132:133], v[96:97]
	;; [unrolled: 2-line block ×4, first 2 shown]
	s_waitcnt vmcnt(9)
	v_fma_f64 v[21:22], v[122:123], v[61:62], v[37:38]
	v_fma_f64 v[23:24], v[124:125], v[61:62], v[39:40]
	;; [unrolled: 1-line block ×8, first 2 shown]
	v_fma_f64 v[21:22], -v[124:125], v[63:64], v[21:22]
	v_fma_f64 v[23:24], v[122:123], v[63:64], v[23:24]
	v_fma_f64 v[9:10], v[9:10], v[63:64], v[96:97]
	v_fma_f64 v[19:20], -v[19:20], v[63:64], v[37:38]
	v_fma_f64 v[17:18], v[17:18], v[63:64], v[39:40]
	v_fma_f64 v[11:12], -v[11:12], v[63:64], v[75:76]
	v_fma_f64 v[15:16], -v[94:95], v[63:64], v[15:16]
	v_fma_f64 v[13:14], v[92:93], v[63:64], v[13:14]
	v_fma_f64 v[21:22], v[49:50], v[41:42], v[21:22]
	;; [unrolled: 1-line block ×9, first 2 shown]
	v_fma_f64 v[21:22], -v[51:52], v[43:44], v[21:22]
	v_fma_f64 v[23:24], v[49:50], v[43:44], v[23:24]
	v_fma_f64 v[9:10], v[45:46], v[43:44], v[9:10]
	v_fma_f64 v[19:20], -v[120:121], v[43:44], v[19:20]
	v_fma_f64 v[17:18], v[118:119], v[43:44], v[17:18]
	v_fma_f64 v[11:12], -v[47:48], v[43:44], v[11:12]
	v_fma_f64 v[15:16], -v[31:32], v[43:44], v[15:16]
	v_fma_f64 v[13:14], v[29:30], v[43:44], v[13:14]
	s_waitcnt vmcnt(4)
	v_fma_f64 v[21:22], v[33:34], v[88:89], v[21:22]
	v_fma_f64 v[23:24], v[35:36], v[88:89], v[23:24]
	;; [unrolled: 1-line block ×8, first 2 shown]
	v_fma_f64 v[21:22], -v[35:36], v[90:91], v[21:22]
	v_fma_f64 v[23:24], v[33:34], v[90:91], v[23:24]
	v_fma_f64 v[9:10], v[65:66], v[90:91], v[9:10]
	v_fma_f64 v[19:20], -v[71:72], v[90:91], v[19:20]
	v_fma_f64 v[17:18], v[69:70], v[90:91], v[17:18]
	v_fma_f64 v[11:12], -v[67:68], v[90:91], v[11:12]
	v_fma_f64 v[15:16], -v[59:60], v[90:91], v[15:16]
	v_fma_f64 v[13:14], v[57:58], v[90:91], v[13:14]
	s_waitcnt vmcnt(2)
	v_fma_f64 v[21:22], v[84:85], v[53:54], v[21:22]
	v_fma_f64 v[23:24], v[86:87], v[53:54], v[23:24]
	;; [unrolled: 1-line block ×4, first 2 shown]
	v_fma_f64 v[96:97], -v[86:87], v[55:56], v[21:22]
	v_fma_f64 v[94:95], v[84:85], v[55:56], v[23:24]
	v_fma_f64 v[98:99], -v[27:28], v[55:56], v[19:20]
	v_fma_f64 v[88:89], v[25:26], v[55:56], v[17:18]
	s_waitcnt vmcnt(1)
	v_fma_f64 v[11:12], v[105:106], v[53:54], v[11:12]
	v_fma_f64 v[9:10], v[107:108], v[53:54], v[9:10]
	s_waitcnt vmcnt(0)
	v_fma_f64 v[15:16], v[134:135], v[53:54], v[15:16]
	v_fma_f64 v[13:14], v[136:137], v[53:54], v[13:14]
	v_fma_f64 v[92:93], -v[107:108], v[55:56], v[11:12]
	v_fma_f64 v[90:91], v[105:106], v[55:56], v[9:10]
	v_fma_f64 v[84:85], -v[136:137], v[55:56], v[15:16]
	v_fma_f64 v[86:87], v[134:135], v[55:56], v[13:14]
	s_andn2_b32 exec_lo, exec_lo, s8
	s_cbranch_execnz .LBB39_31
; %bb.32:
	s_or_b32 exec_lo, exec_lo, s8
.LBB39_33:
	s_or_b32 exec_lo, exec_lo, s3
.LBB39_34:
	s_or_b32 exec_lo, exec_lo, s1
.LBB39_35:
	v_mbcnt_lo_u32_b32 v41, -1, 0
	v_or_b32_e32 v9, 32, v41
	v_xor_b32_e32 v25, 16, v41
	v_cmp_gt_i32_e32 vcc_lo, 32, v9
	v_cndmask_b32_e32 v9, v41, v9, vcc_lo
	v_cmp_gt_i32_e32 vcc_lo, 32, v25
	v_lshlrev_b32_e32 v24, 2, v9
	v_cndmask_b32_e32 v25, v41, v25, vcc_lo
	ds_bpermute_b32 v9, v24, v96
	ds_bpermute_b32 v10, v24, v97
	;; [unrolled: 1-line block ×16, first 2 shown]
	v_lshlrev_b32_e32 v40, 2, v25
	s_waitcnt lgkmcnt(14)
	v_add_f64 v[9:10], v[96:97], v[9:10]
	s_waitcnt lgkmcnt(12)
	v_add_f64 v[11:12], v[94:95], v[11:12]
	;; [unrolled: 2-line block ×8, first 2 shown]
	ds_bpermute_b32 v25, v40, v9
	ds_bpermute_b32 v26, v40, v10
	ds_bpermute_b32 v27, v40, v11
	ds_bpermute_b32 v28, v40, v12
	ds_bpermute_b32 v29, v40, v13
	ds_bpermute_b32 v30, v40, v14
	ds_bpermute_b32 v31, v40, v15
	ds_bpermute_b32 v32, v40, v16
	ds_bpermute_b32 v33, v40, v17
	ds_bpermute_b32 v34, v40, v18
	ds_bpermute_b32 v35, v40, v19
	ds_bpermute_b32 v36, v40, v20
	ds_bpermute_b32 v37, v40, v21
	ds_bpermute_b32 v38, v40, v22
	ds_bpermute_b32 v39, v40, v23
	ds_bpermute_b32 v40, v40, v24
	s_waitcnt lgkmcnt(14)
	v_add_f64 v[9:10], v[9:10], v[25:26]
	v_xor_b32_e32 v25, 8, v41
	s_waitcnt lgkmcnt(12)
	v_add_f64 v[11:12], v[11:12], v[27:28]
	s_waitcnt lgkmcnt(10)
	v_add_f64 v[13:14], v[13:14], v[29:30]
	v_cmp_gt_i32_e32 vcc_lo, 32, v25
	s_waitcnt lgkmcnt(8)
	v_add_f64 v[15:16], v[15:16], v[31:32]
	s_waitcnt lgkmcnt(6)
	v_add_f64 v[17:18], v[17:18], v[33:34]
	s_waitcnt lgkmcnt(4)
	v_add_f64 v[19:20], v[19:20], v[35:36]
	v_cndmask_b32_e32 v25, v41, v25, vcc_lo
	s_waitcnt lgkmcnt(2)
	v_add_f64 v[21:22], v[21:22], v[37:38]
	s_waitcnt lgkmcnt(0)
	v_add_f64 v[23:24], v[23:24], v[39:40]
	v_lshlrev_b32_e32 v40, 2, v25
	ds_bpermute_b32 v25, v40, v9
	ds_bpermute_b32 v26, v40, v10
	ds_bpermute_b32 v27, v40, v11
	ds_bpermute_b32 v28, v40, v12
	ds_bpermute_b32 v29, v40, v13
	ds_bpermute_b32 v30, v40, v14
	ds_bpermute_b32 v31, v40, v15
	ds_bpermute_b32 v32, v40, v16
	ds_bpermute_b32 v33, v40, v17
	ds_bpermute_b32 v34, v40, v18
	ds_bpermute_b32 v35, v40, v19
	ds_bpermute_b32 v36, v40, v20
	ds_bpermute_b32 v37, v40, v21
	ds_bpermute_b32 v38, v40, v22
	ds_bpermute_b32 v39, v40, v23
	ds_bpermute_b32 v40, v40, v24
	s_waitcnt lgkmcnt(14)
	v_add_f64 v[9:10], v[9:10], v[25:26]
	v_xor_b32_e32 v25, 4, v41
	s_waitcnt lgkmcnt(12)
	v_add_f64 v[11:12], v[11:12], v[27:28]
	s_waitcnt lgkmcnt(10)
	v_add_f64 v[13:14], v[13:14], v[29:30]
	v_cmp_gt_i32_e32 vcc_lo, 32, v25
	s_waitcnt lgkmcnt(8)
	v_add_f64 v[15:16], v[15:16], v[31:32]
	s_waitcnt lgkmcnt(6)
	v_add_f64 v[17:18], v[17:18], v[33:34]
	s_waitcnt lgkmcnt(4)
	v_add_f64 v[19:20], v[19:20], v[35:36]
	v_cndmask_b32_e32 v25, v41, v25, vcc_lo
	s_waitcnt lgkmcnt(2)
	v_add_f64 v[21:22], v[21:22], v[37:38]
	s_waitcnt lgkmcnt(0)
	v_add_f64 v[23:24], v[23:24], v[39:40]
	v_lshlrev_b32_e32 v40, 2, v25
	;; [unrolled: 36-line block ×3, first 2 shown]
	ds_bpermute_b32 v23, v40, v9
	ds_bpermute_b32 v24, v40, v10
	;; [unrolled: 1-line block ×16, first 2 shown]
	s_waitcnt lgkmcnt(14)
	v_add_f64 v[9:10], v[9:10], v[23:24]
	s_waitcnt lgkmcnt(12)
	v_add_f64 v[27:28], v[11:12], v[27:28]
	;; [unrolled: 2-line block ×3, first 2 shown]
	v_xor_b32_e32 v29, 1, v41
	s_waitcnt lgkmcnt(8)
	v_add_f64 v[23:24], v[15:16], v[31:32]
	s_waitcnt lgkmcnt(6)
	v_add_f64 v[13:14], v[17:18], v[33:34]
	v_cmp_gt_i32_e32 vcc_lo, 32, v29
	s_waitcnt lgkmcnt(4)
	v_add_f64 v[17:18], v[19:20], v[35:36]
	s_waitcnt lgkmcnt(2)
	v_add_f64 v[15:16], v[21:22], v[37:38]
	;; [unrolled: 2-line block ×3, first 2 shown]
	v_cndmask_b32_e32 v29, v41, v29, vcc_lo
	v_cmp_eq_u32_e32 vcc_lo, 63, v0
	v_lshlrev_b32_e32 v34, 2, v29
	ds_bpermute_b32 v21, v34, v9
	ds_bpermute_b32 v22, v34, v10
	;; [unrolled: 1-line block ×16, first 2 shown]
	s_and_b32 exec_lo, exec_lo, vcc_lo
	s_cbranch_execz .LBB39_8
; %bb.36:
	s_waitcnt lgkmcnt(12)
	v_add_f64 v[27:28], v[27:28], v[39:40]
	s_waitcnt lgkmcnt(8)
	v_add_f64 v[23:24], v[23:24], v[37:38]
	;; [unrolled: 2-line block ×4, first 2 shown]
	v_add_f64 v[9:10], v[9:10], v[21:22]
	v_add_f64 v[11:12], v[11:12], v[25:26]
	;; [unrolled: 1-line block ×4, first 2 shown]
	v_cmp_eq_f64_e32 vcc_lo, 0, v[1:2]
	v_cmp_eq_f64_e64 s0, 0, v[3:4]
	s_load_dwordx2 s[2:3], s[4:5], 0x60
	v_mul_f64 v[13:14], v[27:28], -v[7:8]
	v_mul_f64 v[15:16], v[5:6], v[27:28]
	v_mul_f64 v[27:28], v[23:24], -v[7:8]
	v_mul_f64 v[23:24], v[5:6], v[23:24]
	;; [unrolled: 2-line block ×4, first 2 shown]
	s_and_b32 s0, vcc_lo, s0
	v_fma_f64 v[17:18], v[5:6], v[9:10], v[13:14]
	v_fma_f64 v[19:20], v[7:8], v[9:10], v[15:16]
	;; [unrolled: 1-line block ×8, first 2 shown]
	v_lshlrev_b32_e32 v21, 2, v77
	s_and_saveexec_b32 s1, s0
	s_xor_b32 s0, exec_lo, s1
	s_cbranch_execz .LBB39_38
; %bb.37:
	v_ashrrev_i32_e32 v22, 31, v21
	v_lshlrev_b64 v[0:1], 4, v[21:22]
                                        ; implicit-def: $vgpr21
	s_waitcnt lgkmcnt(0)
	v_add_co_u32 v0, vcc_lo, s2, v0
	v_add_co_ci_u32_e64 v1, null, s3, v1, vcc_lo
	global_store_dwordx4 v[0:1], v[17:20], off
	global_store_dwordx4 v[0:1], v[13:16], off offset:16
	global_store_dwordx4 v[0:1], v[9:12], off offset:32
	;; [unrolled: 1-line block ×3, first 2 shown]
                                        ; implicit-def: $vgpr3_vgpr4
                                        ; implicit-def: $vgpr17_vgpr18
                                        ; implicit-def: $vgpr13_vgpr14
                                        ; implicit-def: $vgpr9_vgpr10
                                        ; implicit-def: $vgpr5_vgpr6
.LBB39_38:
	s_andn2_saveexec_b32 s0, s0
	s_cbranch_execz .LBB39_8
; %bb.39:
	v_ashrrev_i32_e32 v22, 31, v21
	v_lshlrev_b64 v[21:22], 4, v[21:22]
	s_waitcnt lgkmcnt(0)
	v_add_co_u32 v37, vcc_lo, s2, v21
	v_add_co_ci_u32_e64 v38, null, s3, v22, vcc_lo
	s_clause 0x3
	global_load_dwordx4 v[21:24], v[37:38], off
	global_load_dwordx4 v[25:28], v[37:38], off offset:16
	global_load_dwordx4 v[29:32], v[37:38], off offset:32
	;; [unrolled: 1-line block ×3, first 2 shown]
	s_waitcnt vmcnt(3)
	v_fma_f64 v[17:18], v[1:2], v[21:22], v[17:18]
	v_fma_f64 v[19:20], v[3:4], v[21:22], v[19:20]
	s_waitcnt vmcnt(2)
	v_fma_f64 v[13:14], v[1:2], v[25:26], v[13:14]
	v_fma_f64 v[15:16], v[3:4], v[25:26], v[15:16]
	;; [unrolled: 3-line block ×4, first 2 shown]
	v_fma_f64 v[5:6], -v[3:4], v[23:24], v[17:18]
	v_fma_f64 v[7:8], v[1:2], v[23:24], v[19:20]
	v_fma_f64 v[9:10], -v[3:4], v[27:28], v[13:14]
	v_fma_f64 v[11:12], v[1:2], v[27:28], v[15:16]
	;; [unrolled: 2-line block ×4, first 2 shown]
	global_store_dwordx4 v[37:38], v[5:8], off
	global_store_dwordx4 v[37:38], v[9:12], off offset:16
	global_store_dwordx4 v[37:38], v[13:16], off offset:32
	;; [unrolled: 1-line block ×3, first 2 shown]
	s_endpgm
	.section	.rodata,"a",@progbits
	.p2align	6, 0x0
	.amdhsa_kernel _ZN9rocsparseL18bsrxmvn_4x4_kernelILj128ELj64E21rocsparse_complex_numIdEliS2_S2_S2_EEvT3_20rocsparse_direction_NS_24const_host_device_scalarIT1_EES3_PKS3_PKT2_SC_S9_PKT4_PKT5_S7_PT6_21rocsparse_index_base_b
		.amdhsa_group_segment_fixed_size 0
		.amdhsa_private_segment_fixed_size 0
		.amdhsa_kernarg_size 112
		.amdhsa_user_sgpr_count 6
		.amdhsa_user_sgpr_private_segment_buffer 1
		.amdhsa_user_sgpr_dispatch_ptr 0
		.amdhsa_user_sgpr_queue_ptr 0
		.amdhsa_user_sgpr_kernarg_segment_ptr 1
		.amdhsa_user_sgpr_dispatch_id 0
		.amdhsa_user_sgpr_flat_scratch_init 0
		.amdhsa_user_sgpr_private_segment_size 0
		.amdhsa_wavefront_size32 1
		.amdhsa_uses_dynamic_stack 0
		.amdhsa_system_sgpr_private_segment_wavefront_offset 0
		.amdhsa_system_sgpr_workgroup_id_x 1
		.amdhsa_system_sgpr_workgroup_id_y 0
		.amdhsa_system_sgpr_workgroup_id_z 0
		.amdhsa_system_sgpr_workgroup_info 0
		.amdhsa_system_vgpr_workitem_id 0
		.amdhsa_next_free_vgpr 178
		.amdhsa_next_free_sgpr 16
		.amdhsa_reserve_vcc 1
		.amdhsa_reserve_flat_scratch 0
		.amdhsa_float_round_mode_32 0
		.amdhsa_float_round_mode_16_64 0
		.amdhsa_float_denorm_mode_32 3
		.amdhsa_float_denorm_mode_16_64 3
		.amdhsa_dx10_clamp 1
		.amdhsa_ieee_mode 1
		.amdhsa_fp16_overflow 0
		.amdhsa_workgroup_processor_mode 1
		.amdhsa_memory_ordered 1
		.amdhsa_forward_progress 1
		.amdhsa_shared_vgpr_count 0
		.amdhsa_exception_fp_ieee_invalid_op 0
		.amdhsa_exception_fp_denorm_src 0
		.amdhsa_exception_fp_ieee_div_zero 0
		.amdhsa_exception_fp_ieee_overflow 0
		.amdhsa_exception_fp_ieee_underflow 0
		.amdhsa_exception_fp_ieee_inexact 0
		.amdhsa_exception_int_div_zero 0
	.end_amdhsa_kernel
	.section	.text._ZN9rocsparseL18bsrxmvn_4x4_kernelILj128ELj64E21rocsparse_complex_numIdEliS2_S2_S2_EEvT3_20rocsparse_direction_NS_24const_host_device_scalarIT1_EES3_PKS3_PKT2_SC_S9_PKT4_PKT5_S7_PT6_21rocsparse_index_base_b,"axG",@progbits,_ZN9rocsparseL18bsrxmvn_4x4_kernelILj128ELj64E21rocsparse_complex_numIdEliS2_S2_S2_EEvT3_20rocsparse_direction_NS_24const_host_device_scalarIT1_EES3_PKS3_PKT2_SC_S9_PKT4_PKT5_S7_PT6_21rocsparse_index_base_b,comdat
.Lfunc_end39:
	.size	_ZN9rocsparseL18bsrxmvn_4x4_kernelILj128ELj64E21rocsparse_complex_numIdEliS2_S2_S2_EEvT3_20rocsparse_direction_NS_24const_host_device_scalarIT1_EES3_PKS3_PKT2_SC_S9_PKT4_PKT5_S7_PT6_21rocsparse_index_base_b, .Lfunc_end39-_ZN9rocsparseL18bsrxmvn_4x4_kernelILj128ELj64E21rocsparse_complex_numIdEliS2_S2_S2_EEvT3_20rocsparse_direction_NS_24const_host_device_scalarIT1_EES3_PKS3_PKT2_SC_S9_PKT4_PKT5_S7_PT6_21rocsparse_index_base_b
                                        ; -- End function
	.set _ZN9rocsparseL18bsrxmvn_4x4_kernelILj128ELj64E21rocsparse_complex_numIdEliS2_S2_S2_EEvT3_20rocsparse_direction_NS_24const_host_device_scalarIT1_EES3_PKS3_PKT2_SC_S9_PKT4_PKT5_S7_PT6_21rocsparse_index_base_b.num_vgpr, 178
	.set _ZN9rocsparseL18bsrxmvn_4x4_kernelILj128ELj64E21rocsparse_complex_numIdEliS2_S2_S2_EEvT3_20rocsparse_direction_NS_24const_host_device_scalarIT1_EES3_PKS3_PKT2_SC_S9_PKT4_PKT5_S7_PT6_21rocsparse_index_base_b.num_agpr, 0
	.set _ZN9rocsparseL18bsrxmvn_4x4_kernelILj128ELj64E21rocsparse_complex_numIdEliS2_S2_S2_EEvT3_20rocsparse_direction_NS_24const_host_device_scalarIT1_EES3_PKS3_PKT2_SC_S9_PKT4_PKT5_S7_PT6_21rocsparse_index_base_b.numbered_sgpr, 16
	.set _ZN9rocsparseL18bsrxmvn_4x4_kernelILj128ELj64E21rocsparse_complex_numIdEliS2_S2_S2_EEvT3_20rocsparse_direction_NS_24const_host_device_scalarIT1_EES3_PKS3_PKT2_SC_S9_PKT4_PKT5_S7_PT6_21rocsparse_index_base_b.num_named_barrier, 0
	.set _ZN9rocsparseL18bsrxmvn_4x4_kernelILj128ELj64E21rocsparse_complex_numIdEliS2_S2_S2_EEvT3_20rocsparse_direction_NS_24const_host_device_scalarIT1_EES3_PKS3_PKT2_SC_S9_PKT4_PKT5_S7_PT6_21rocsparse_index_base_b.private_seg_size, 0
	.set _ZN9rocsparseL18bsrxmvn_4x4_kernelILj128ELj64E21rocsparse_complex_numIdEliS2_S2_S2_EEvT3_20rocsparse_direction_NS_24const_host_device_scalarIT1_EES3_PKS3_PKT2_SC_S9_PKT4_PKT5_S7_PT6_21rocsparse_index_base_b.uses_vcc, 1
	.set _ZN9rocsparseL18bsrxmvn_4x4_kernelILj128ELj64E21rocsparse_complex_numIdEliS2_S2_S2_EEvT3_20rocsparse_direction_NS_24const_host_device_scalarIT1_EES3_PKS3_PKT2_SC_S9_PKT4_PKT5_S7_PT6_21rocsparse_index_base_b.uses_flat_scratch, 0
	.set _ZN9rocsparseL18bsrxmvn_4x4_kernelILj128ELj64E21rocsparse_complex_numIdEliS2_S2_S2_EEvT3_20rocsparse_direction_NS_24const_host_device_scalarIT1_EES3_PKS3_PKT2_SC_S9_PKT4_PKT5_S7_PT6_21rocsparse_index_base_b.has_dyn_sized_stack, 0
	.set _ZN9rocsparseL18bsrxmvn_4x4_kernelILj128ELj64E21rocsparse_complex_numIdEliS2_S2_S2_EEvT3_20rocsparse_direction_NS_24const_host_device_scalarIT1_EES3_PKS3_PKT2_SC_S9_PKT4_PKT5_S7_PT6_21rocsparse_index_base_b.has_recursion, 0
	.set _ZN9rocsparseL18bsrxmvn_4x4_kernelILj128ELj64E21rocsparse_complex_numIdEliS2_S2_S2_EEvT3_20rocsparse_direction_NS_24const_host_device_scalarIT1_EES3_PKS3_PKT2_SC_S9_PKT4_PKT5_S7_PT6_21rocsparse_index_base_b.has_indirect_call, 0
	.section	.AMDGPU.csdata,"",@progbits
; Kernel info:
; codeLenInByte = 11440
; TotalNumSgprs: 18
; NumVgprs: 178
; ScratchSize: 0
; MemoryBound: 1
; FloatMode: 240
; IeeeMode: 1
; LDSByteSize: 0 bytes/workgroup (compile time only)
; SGPRBlocks: 0
; VGPRBlocks: 22
; NumSGPRsForWavesPerEU: 18
; NumVGPRsForWavesPerEU: 178
; Occupancy: 5
; WaveLimiterHint : 1
; COMPUTE_PGM_RSRC2:SCRATCH_EN: 0
; COMPUTE_PGM_RSRC2:USER_SGPR: 6
; COMPUTE_PGM_RSRC2:TRAP_HANDLER: 0
; COMPUTE_PGM_RSRC2:TGID_X_EN: 1
; COMPUTE_PGM_RSRC2:TGID_Y_EN: 0
; COMPUTE_PGM_RSRC2:TGID_Z_EN: 0
; COMPUTE_PGM_RSRC2:TIDIG_COMP_CNT: 0
	.section	.text._ZN9rocsparseL18bsrxmvn_4x4_kernelILj128ELj4EfllfffEEvT3_20rocsparse_direction_NS_24const_host_device_scalarIT1_EES1_PKS1_PKT2_SA_S7_PKT4_PKT5_S5_PT6_21rocsparse_index_base_b,"axG",@progbits,_ZN9rocsparseL18bsrxmvn_4x4_kernelILj128ELj4EfllfffEEvT3_20rocsparse_direction_NS_24const_host_device_scalarIT1_EES1_PKS1_PKT2_SA_S7_PKT4_PKT5_S5_PT6_21rocsparse_index_base_b,comdat
	.globl	_ZN9rocsparseL18bsrxmvn_4x4_kernelILj128ELj4EfllfffEEvT3_20rocsparse_direction_NS_24const_host_device_scalarIT1_EES1_PKS1_PKT2_SA_S7_PKT4_PKT5_S5_PT6_21rocsparse_index_base_b ; -- Begin function _ZN9rocsparseL18bsrxmvn_4x4_kernelILj128ELj4EfllfffEEvT3_20rocsparse_direction_NS_24const_host_device_scalarIT1_EES1_PKS1_PKT2_SA_S7_PKT4_PKT5_S5_PT6_21rocsparse_index_base_b
	.p2align	8
	.type	_ZN9rocsparseL18bsrxmvn_4x4_kernelILj128ELj4EfllfffEEvT3_20rocsparse_direction_NS_24const_host_device_scalarIT1_EES1_PKS1_PKT2_SA_S7_PKT4_PKT5_S5_PT6_21rocsparse_index_base_b,@function
_ZN9rocsparseL18bsrxmvn_4x4_kernelILj128ELj4EfllfffEEvT3_20rocsparse_direction_NS_24const_host_device_scalarIT1_EES1_PKS1_PKT2_SA_S7_PKT4_PKT5_S5_PT6_21rocsparse_index_base_b: ; @_ZN9rocsparseL18bsrxmvn_4x4_kernelILj128ELj4EfllfffEEvT3_20rocsparse_direction_NS_24const_host_device_scalarIT1_EES1_PKS1_PKT2_SA_S7_PKT4_PKT5_S5_PT6_21rocsparse_index_base_b
; %bb.0:
	s_clause 0x2
	s_load_dwordx2 s[0:1], s[4:5], 0x60
	s_load_dwordx4 s[16:19], s[4:5], 0x10
	s_load_dwordx2 s[2:3], s[4:5], 0x50
	s_waitcnt lgkmcnt(0)
	s_bitcmp1_b32 s1, 0
	s_cselect_b32 s1, -1, 0
	s_and_b32 vcc_lo, exec_lo, s1
	s_xor_b32 s1, s1, -1
	s_cbranch_vccnz .LBB40_2
; %bb.1:
	s_load_dword s16, s[16:17], 0x0
.LBB40_2:
	s_andn2_b32 vcc_lo, exec_lo, s1
	s_cbranch_vccnz .LBB40_4
; %bb.3:
	s_load_dword s2, s[2:3], 0x0
.LBB40_4:
	s_waitcnt lgkmcnt(0)
	v_cmp_neq_f32_e64 s1, s16, 0
	v_cmp_neq_f32_e64 s3, s2, 1.0
	s_or_b32 s1, s1, s3
	s_mov_b32 s3, 0
	s_andn2_b32 vcc_lo, exec_lo, s1
	s_cbranch_vccnz .LBB40_10
; %bb.5:
	s_load_dwordx2 s[8:9], s[4:5], 0x20
	v_lshrrev_b32_e32 v1, 2, v0
	v_mov_b32_e32 v6, 0
	v_lshl_or_b32 v5, s6, 5, v1
	s_waitcnt lgkmcnt(0)
	s_cmp_lg_u64 s[8:9], 0
	s_cbranch_scc0 .LBB40_11
; %bb.6:
	s_mov_b32 s6, 0
                                        ; implicit-def: $vgpr3_vgpr4
                                        ; implicit-def: $vgpr1_vgpr2
	s_mov_b32 s1, exec_lo
	v_cmpx_gt_i64_e64 s[18:19], v[5:6]
	s_xor_b32 s7, exec_lo, s1
	s_cbranch_execz .LBB40_8
; %bb.7:
	v_lshlrev_b64 v[1:2], 3, v[5:6]
	s_mov_b32 s1, 0
	s_mov_b32 s3, exec_lo
	v_add_co_u32 v1, vcc_lo, s8, v1
	v_add_co_ci_u32_e64 v2, null, s9, v2, vcc_lo
	global_load_dwordx2 v[1:2], v[1:2], off
	s_waitcnt vmcnt(0)
	v_sub_co_u32 v3, vcc_lo, v1, s0
	v_subrev_co_ci_u32_e64 v4, null, 0, v2, vcc_lo
	v_mov_b32_e32 v2, s1
	v_mov_b32_e32 v1, s0
.LBB40_8:
	s_or_b32 exec_lo, exec_lo, s7
	s_and_b32 vcc_lo, exec_lo, s6
	s_cbranch_vccnz .LBB40_12
.LBB40_9:
	s_and_saveexec_b32 s0, s3
	s_cbranch_execnz .LBB40_15
.LBB40_10:
	s_endpgm
.LBB40_11:
                                        ; implicit-def: $vgpr3_vgpr4
                                        ; implicit-def: $vgpr1_vgpr2
	s_cbranch_execz .LBB40_9
.LBB40_12:
	s_load_dwordx2 s[6:7], s[4:5], 0x0
	s_waitcnt lgkmcnt(0)
	v_cmp_gt_i64_e32 vcc_lo, s[6:7], v[5:6]
	s_and_saveexec_b32 s6, vcc_lo
; %bb.13:
	s_mov_b32 s1, 0
	s_or_b32 s3, s3, exec_lo
; %bb.14:
	s_or_b32 exec_lo, exec_lo, s6
	v_mov_b32_e32 v2, s1
	v_mov_b32_e32 v3, v5
	;; [unrolled: 1-line block ×4, first 2 shown]
	s_and_saveexec_b32 s0, s3
	s_cbranch_execz .LBB40_10
.LBB40_15:
	s_load_dwordx8 s[8:15], s[4:5], 0x28
	v_lshlrev_b64 v[5:6], 3, v[3:4]
	v_and_b32_e32 v0, 3, v0
	s_clause 0x1
	s_load_dword s1, s[4:5], 0x8
	s_load_dwordx2 s[6:7], s[4:5], 0x48
	v_mov_b32_e32 v25, 0
	s_waitcnt lgkmcnt(0)
	v_add_co_u32 v7, vcc_lo, s8, v5
	v_add_co_ci_u32_e64 v8, null, s9, v6, vcc_lo
	v_add_co_u32 v5, vcc_lo, s10, v5
	v_add_co_ci_u32_e64 v6, null, s11, v6, vcc_lo
	v_add_co_u32 v9, vcc_lo, v7, 8
	global_load_dwordx2 v[13:14], v[7:8], off
	v_add_co_ci_u32_e64 v10, null, 0, v8, vcc_lo
	s_cmp_eq_u64 s[10:11], 0
	s_cselect_b32 vcc_lo, -1, 0
	s_cmp_eq_u32 s1, 1
	v_cndmask_b32_e32 v6, v6, v10, vcc_lo
	v_cndmask_b32_e32 v5, v5, v9, vcc_lo
	global_load_dwordx2 v[7:8], v[5:6], off
	s_waitcnt vmcnt(1)
	v_sub_co_u32 v5, vcc_lo, v13, v1
	v_sub_co_ci_u32_e64 v6, null, v14, v2, vcc_lo
	v_add_co_u32 v5, vcc_lo, v5, v0
	v_add_co_ci_u32_e64 v6, null, 0, v6, vcc_lo
	v_lshlrev_b64 v[9:10], 6, v[5:6]
	s_waitcnt vmcnt(0)
	v_sub_co_u32 v7, vcc_lo, v7, v1
	v_sub_co_ci_u32_e64 v8, null, v8, v2, vcc_lo
	v_add_co_u32 v9, vcc_lo, s14, v9
	v_cmp_lt_i64_e64 s0, v[5:6], v[7:8]
	v_add_co_ci_u32_e64 v10, null, s15, v10, vcc_lo
	s_cbranch_scc1 .LBB40_27
; %bb.16:
	v_mov_b32_e32 v26, 0
	v_mov_b32_e32 v27, 0
	;; [unrolled: 1-line block ×3, first 2 shown]
	s_and_saveexec_b32 s3, s0
	s_cbranch_execz .LBB40_26
; %bb.17:
	v_or_b32_e32 v11, 4, v0
	v_not_b32_e32 v16, v13
	v_sub_co_u32 v17, s1, v1, v0
	v_not_b32_e32 v15, v14
	v_sub_co_u32 v11, vcc_lo, v11, v1
	v_sub_co_ci_u32_e64 v12, null, 0, v2, vcc_lo
	v_subrev_co_ci_u32_e64 v18, null, 0, v2, s1
	v_add_co_u32 v11, vcc_lo, v11, v13
	v_add_co_ci_u32_e64 v12, null, v12, v14, vcc_lo
	s_mov_b32 s1, exec_lo
	v_cmp_gt_i64_e32 vcc_lo, v[11:12], v[7:8]
	v_cndmask_b32_e32 v20, v8, v12, vcc_lo
	v_cndmask_b32_e32 v11, v7, v11, vcc_lo
	v_add_co_u32 v12, vcc_lo, v17, v16
	v_add_co_ci_u32_e64 v15, null, v18, v15, vcc_lo
	v_mov_b32_e32 v18, v10
	v_add_co_u32 v19, vcc_lo, v12, v11
	v_mov_b32_e32 v12, 0
	v_add_co_ci_u32_e64 v20, null, v15, v20, vcc_lo
	v_mov_b32_e32 v16, v6
	v_and_b32_e32 v11, 12, v19
	v_mov_b32_e32 v27, v12
	v_mov_b32_e32 v26, v12
	;; [unrolled: 1-line block ×5, first 2 shown]
	v_cmpx_ne_u64_e32 12, v[11:12]
	s_cbranch_execz .LBB40_21
; %bb.18:
	v_lshrrev_b32_e32 v11, 2, v19
	v_mov_b32_e32 v18, v10
	v_mov_b32_e32 v16, v6
	;; [unrolled: 1-line block ×4, first 2 shown]
	v_add_nc_u32_e32 v21, 1, v11
	v_lshlrev_b64 v[11:12], 3, v[5:6]
	v_mov_b32_e32 v15, v5
	v_mov_b32_e32 v26, 0
	v_mov_b32_e32 v27, 0
	v_and_b32_e32 v23, 3, v21
	v_add_co_u32 v21, vcc_lo, s12, v11
	v_add_co_ci_u32_e64 v22, null, s13, v12, vcc_lo
	v_sub_co_u32 v23, s8, 0, v23
	v_sub_co_ci_u32_e64 v24, null, 0, 0, s8
	v_mov_b32_e32 v12, 0
	s_mov_b32 s8, 0
.LBB40_19:                              ; =>This Inner Loop Header: Depth=1
	global_load_dwordx2 v[44:45], v[21:22], off
	s_clause 0x3
	global_load_dwordx4 v[28:31], v[17:18], off offset:48
	global_load_dwordx4 v[32:35], v[17:18], off offset:32
	global_load_dwordx4 v[36:39], v[17:18], off offset:16
	global_load_dwordx4 v[40:43], v[17:18], off
	s_waitcnt vmcnt(4)
	v_sub_co_u32 v44, vcc_lo, v44, v1
	v_sub_co_ci_u32_e64 v45, null, v45, v2, vcc_lo
	v_lshlrev_b64 v[44:45], 4, v[44:45]
	v_add_co_u32 v44, vcc_lo, s6, v44
	v_add_co_ci_u32_e64 v45, null, s7, v45, vcc_lo
	v_add_co_u32 v17, vcc_lo, 0x100, v17
	v_add_co_ci_u32_e64 v18, null, 0, v18, vcc_lo
	global_load_dwordx4 v[44:47], v[44:45], off
	v_add_co_u32 v15, vcc_lo, v15, 4
	v_add_co_ci_u32_e64 v16, null, 0, v16, vcc_lo
	v_add_co_u32 v21, vcc_lo, v21, 32
	v_add_co_ci_u32_e64 v22, null, 0, v22, vcc_lo
	v_add_co_u32 v23, vcc_lo, v23, 1
	v_add_co_ci_u32_e64 v24, null, 0, v24, vcc_lo
	v_cmp_eq_u64_e32 vcc_lo, 0, v[23:24]
	s_or_b32 s8, vcc_lo, s8
	s_waitcnt vmcnt(0)
	v_fmac_f32_e32 v12, v40, v44
	v_fmac_f32_e32 v27, v36, v44
	;; [unrolled: 1-line block ×16, first 2 shown]
	s_andn2_b32 exec_lo, exec_lo, s8
	s_cbranch_execnz .LBB40_19
; %bb.20:
	s_or_b32 exec_lo, exec_lo, s8
.LBB40_21:
	s_or_b32 exec_lo, exec_lo, s1
	s_mov_b32 s8, exec_lo
	v_cmpx_lt_u64_e32 11, v[19:20]
	s_cbranch_execz .LBB40_25
; %bb.22:
	v_lshlrev_b64 v[19:20], 3, v[15:16]
	s_mov_b32 s9, 0
	v_add_co_u32 v11, vcc_lo, s12, v19
	v_add_co_ci_u32_e64 v20, null, s13, v20, vcc_lo
	v_add_co_u32 v19, vcc_lo, v11, 64
	v_add_co_ci_u32_e64 v20, null, 0, v20, vcc_lo
.LBB40_23:                              ; =>This Inner Loop Header: Depth=1
	s_clause 0x1
	global_load_dwordx2 v[56:57], v[19:20], off offset:-64
	global_load_dwordx2 v[58:59], v[19:20], off offset:-32
	s_clause 0x7
	global_load_dwordx4 v[21:24], v[17:18], off offset:48
	global_load_dwordx4 v[28:31], v[17:18], off offset:32
	;; [unrolled: 1-line block ×3, first 2 shown]
	global_load_dwordx4 v[36:39], v[17:18], off
	global_load_dwordx4 v[40:43], v[17:18], off offset:304
	global_load_dwordx4 v[44:47], v[17:18], off offset:288
	;; [unrolled: 1-line block ×4, first 2 shown]
	s_clause 0x1
	global_load_dwordx2 v[64:65], v[19:20], off
	global_load_dwordx2 v[66:67], v[19:20], off offset:32
	s_waitcnt vmcnt(11)
	v_sub_co_u32 v56, vcc_lo, v56, v1
	v_sub_co_ci_u32_e64 v57, null, v57, v2, vcc_lo
	s_waitcnt vmcnt(10)
	v_sub_co_u32 v58, vcc_lo, v58, v1
	v_sub_co_ci_u32_e64 v59, null, v59, v2, vcc_lo
	v_lshlrev_b64 v[56:57], 4, v[56:57]
	v_lshlrev_b64 v[58:59], 4, v[58:59]
	v_add_co_u32 v56, vcc_lo, s6, v56
	v_add_co_ci_u32_e64 v57, null, s7, v57, vcc_lo
	v_add_co_u32 v60, vcc_lo, s6, v58
	v_add_co_ci_u32_e64 v61, null, s7, v59, vcc_lo
	s_clause 0x1
	global_load_dwordx4 v[56:59], v[56:57], off
	global_load_dwordx4 v[60:63], v[60:61], off
	s_waitcnt vmcnt(3)
	v_sub_co_u32 v64, vcc_lo, v64, v1
	v_sub_co_ci_u32_e64 v65, null, v65, v2, vcc_lo
	s_waitcnt vmcnt(1)
	v_fmac_f32_e32 v25, v21, v56
	v_fmac_f32_e32 v12, v36, v56
	v_fmac_f32_e32 v27, v32, v56
	v_fmac_f32_e32 v26, v28, v56
	v_fmac_f32_e32 v25, v22, v57
	v_fmac_f32_e32 v12, v37, v57
	v_fmac_f32_e32 v27, v33, v57
	v_fmac_f32_e32 v26, v29, v57
	v_fmac_f32_e32 v25, v23, v58
	v_fmac_f32_e32 v12, v38, v58
	v_fmac_f32_e32 v27, v34, v58
	v_fmac_f32_e32 v26, v30, v58
	v_fmac_f32_e32 v25, v24, v59
	v_fmac_f32_e32 v12, v39, v59
	v_fmac_f32_e32 v27, v35, v59
	v_fmac_f32_e32 v26, v31, v59
	s_clause 0x1
	global_load_dwordx4 v[36:39], v[17:18], off offset:560
	global_load_dwordx4 v[32:35], v[17:18], off offset:544
	s_waitcnt vmcnt(2)
	v_fmac_f32_e32 v25, v40, v60
	v_fmac_f32_e32 v12, v52, v60
	;; [unrolled: 1-line block ×4, first 2 shown]
	s_clause 0x1
	global_load_dwordx4 v[28:31], v[17:18], off offset:528
	global_load_dwordx4 v[21:24], v[17:18], off offset:512
	v_fmac_f32_e32 v25, v41, v61
	v_lshlrev_b64 v[40:41], 4, v[64:65]
	v_sub_co_u32 v60, vcc_lo, v66, v1
	v_fmac_f32_e32 v12, v53, v61
	v_fmac_f32_e32 v25, v42, v62
	;; [unrolled: 1-line block ×3, first 2 shown]
	v_add_co_u32 v40, s1, s6, v40
	v_add_co_ci_u32_e64 v41, null, s7, v41, s1
	v_fmac_f32_e32 v25, v43, v63
	v_fmac_f32_e32 v26, v45, v61
	v_sub_co_ci_u32_e64 v61, null, v67, v2, vcc_lo
	global_load_dwordx4 v[40:43], v[40:41], off
	v_fmac_f32_e32 v12, v54, v62
	v_fmac_f32_e32 v27, v50, v62
	v_lshlrev_b64 v[60:61], 4, v[60:61]
	v_fmac_f32_e32 v26, v46, v62
	global_load_dwordx4 v[56:59], v[17:18], off offset:816
	v_fmac_f32_e32 v12, v55, v63
	global_load_dwordx4 v[52:55], v[17:18], off offset:800
	v_fmac_f32_e32 v27, v51, v63
	v_add_co_u32 v60, vcc_lo, s6, v60
	v_add_co_ci_u32_e64 v61, null, s7, v61, vcc_lo
	global_load_dwordx4 v[48:51], v[17:18], off offset:784
	v_fmac_f32_e32 v26, v47, v63
	global_load_dwordx4 v[44:47], v[17:18], off offset:768
	global_load_dwordx4 v[60:63], v[60:61], off
	v_add_co_u32 v17, s1, 0x400, v17
	v_add_co_ci_u32_e64 v18, null, 0, v18, s1
	v_add_co_u32 v15, s1, v15, 16
	v_add_co_ci_u32_e64 v16, null, 0, v16, s1
	v_add_co_u32 v19, vcc_lo, 0x80, v19
	v_add_co_ci_u32_e64 v20, null, 0, v20, vcc_lo
	v_cmp_ge_i64_e32 vcc_lo, v[15:16], v[7:8]
	s_or_b32 s9, vcc_lo, s9
	s_waitcnt vmcnt(5)
	v_fmac_f32_e32 v12, v21, v40
	v_fmac_f32_e32 v27, v28, v40
	;; [unrolled: 1-line block ×16, first 2 shown]
	s_waitcnt vmcnt(0)
	v_fmac_f32_e32 v12, v44, v60
	v_fmac_f32_e32 v27, v48, v60
	;; [unrolled: 1-line block ×16, first 2 shown]
	s_andn2_b32 exec_lo, exec_lo, s9
	s_cbranch_execnz .LBB40_23
; %bb.24:
	s_or_b32 exec_lo, exec_lo, s9
.LBB40_25:
	s_or_b32 exec_lo, exec_lo, s8
.LBB40_26:
	s_or_b32 exec_lo, exec_lo, s3
	s_cbranch_execz .LBB40_28
	s_branch .LBB40_39
.LBB40_27:
                                        ; implicit-def: $vgpr25
                                        ; implicit-def: $vgpr26
                                        ; implicit-def: $vgpr27
                                        ; implicit-def: $vgpr12
.LBB40_28:
	v_mov_b32_e32 v25, 0
	v_mov_b32_e32 v26, 0
	v_mov_b32_e32 v27, 0
	v_mov_b32_e32 v12, 0
	s_and_saveexec_b32 s1, s0
	s_cbranch_execz .LBB40_38
; %bb.29:
	v_or_b32_e32 v11, 4, v0
	v_sub_co_u32 v15, s0, v1, v0
	v_subrev_co_ci_u32_e64 v16, null, 0, v2, s0
	v_sub_co_u32 v11, vcc_lo, v11, v1
	v_sub_co_ci_u32_e64 v12, null, 0, v2, vcc_lo
	s_mov_b32 s0, exec_lo
	v_add_co_u32 v11, vcc_lo, v11, v13
	v_add_co_ci_u32_e64 v12, null, v12, v14, vcc_lo
	v_not_b32_e32 v13, v13
	v_not_b32_e32 v14, v14
	v_cmp_gt_i64_e32 vcc_lo, v[11:12], v[7:8]
	v_cndmask_b32_e32 v17, v8, v12, vcc_lo
	v_cndmask_b32_e32 v11, v7, v11, vcc_lo
	v_add_co_u32 v12, vcc_lo, v15, v13
	v_add_co_ci_u32_e64 v14, null, v16, v14, vcc_lo
	v_add_co_u32 v13, vcc_lo, v12, v11
	v_mov_b32_e32 v12, 0
	v_add_co_ci_u32_e64 v14, null, v14, v17, vcc_lo
	v_and_b32_e32 v11, 12, v13
	v_mov_b32_e32 v27, v12
	v_mov_b32_e32 v26, v12
	;; [unrolled: 1-line block ×3, first 2 shown]
	v_cmpx_ne_u64_e32 12, v[11:12]
	s_cbranch_execz .LBB40_33
; %bb.30:
	v_lshrrev_b32_e32 v11, 2, v13
	v_mov_b32_e32 v25, 0
	v_mov_b32_e32 v26, 0
	;; [unrolled: 1-line block ×3, first 2 shown]
	v_add_nc_u32_e32 v15, 1, v11
	v_lshlrev_b64 v[11:12], 3, v[5:6]
	v_and_b32_e32 v17, 3, v15
	v_add_co_u32 v15, vcc_lo, s12, v11
	v_add_co_ci_u32_e64 v16, null, s13, v12, vcc_lo
	v_sub_co_u32 v17, s3, 0, v17
	v_sub_co_ci_u32_e64 v18, null, 0, 0, s3
	v_mov_b32_e32 v12, 0
	s_mov_b32 s3, 0
.LBB40_31:                              ; =>This Inner Loop Header: Depth=1
	global_load_dwordx2 v[23:24], v[15:16], off
	s_clause 0x1
	global_load_dwordx4 v[19:22], v[9:10], off offset:16
	global_load_dwordx4 v[28:31], v[9:10], off
	s_waitcnt vmcnt(2)
	v_sub_co_u32 v23, vcc_lo, v23, v1
	v_sub_co_ci_u32_e64 v24, null, v24, v2, vcc_lo
	v_lshlrev_b64 v[23:24], 4, v[23:24]
	v_add_co_u32 v23, vcc_lo, s6, v23
	v_add_co_ci_u32_e64 v24, null, s7, v24, vcc_lo
	global_load_dwordx4 v[32:35], v[23:24], off
	s_clause 0x1
	global_load_dwordx4 v[36:39], v[9:10], off offset:32
	global_load_dwordx4 v[40:43], v[9:10], off offset:48
	v_add_co_u32 v9, vcc_lo, 0x100, v9
	v_add_co_ci_u32_e64 v10, null, 0, v10, vcc_lo
	v_add_co_u32 v5, vcc_lo, v5, 4
	v_add_co_ci_u32_e64 v6, null, 0, v6, vcc_lo
	;; [unrolled: 2-line block ×4, first 2 shown]
	v_cmp_eq_u64_e32 vcc_lo, 0, v[17:18]
	s_or_b32 s3, vcc_lo, s3
	s_waitcnt vmcnt(2)
	v_fmac_f32_e32 v12, v28, v32
	v_fmac_f32_e32 v27, v29, v32
	;; [unrolled: 1-line block ×8, first 2 shown]
	s_waitcnt vmcnt(1)
	v_fmac_f32_e32 v12, v36, v34
	v_fmac_f32_e32 v27, v37, v34
	;; [unrolled: 1-line block ×4, first 2 shown]
	s_waitcnt vmcnt(0)
	v_fmac_f32_e32 v12, v40, v35
	v_fmac_f32_e32 v27, v41, v35
	;; [unrolled: 1-line block ×4, first 2 shown]
	s_andn2_b32 exec_lo, exec_lo, s3
	s_cbranch_execnz .LBB40_31
; %bb.32:
	s_or_b32 exec_lo, exec_lo, s3
.LBB40_33:
	s_or_b32 exec_lo, exec_lo, s0
	s_mov_b32 s3, exec_lo
	v_cmpx_lt_u64_e32 11, v[13:14]
	s_cbranch_execz .LBB40_37
; %bb.34:
	v_lshlrev_b64 v[13:14], 3, v[5:6]
	s_mov_b32 s8, 0
	v_add_co_u32 v11, vcc_lo, s12, v13
	v_add_co_ci_u32_e64 v14, null, s13, v14, vcc_lo
	v_add_co_u32 v13, vcc_lo, v11, 64
	v_add_co_ci_u32_e64 v14, null, 0, v14, vcc_lo
.LBB40_35:                              ; =>This Inner Loop Header: Depth=1
	s_clause 0x1
	global_load_dwordx2 v[23:24], v[13:14], off offset:-64
	global_load_dwordx2 v[52:53], v[13:14], off offset:-32
	s_clause 0x7
	global_load_dwordx4 v[15:18], v[9:10], off offset:48
	global_load_dwordx4 v[19:22], v[9:10], off offset:32
	;; [unrolled: 1-line block ×3, first 2 shown]
	global_load_dwordx4 v[32:35], v[9:10], off
	global_load_dwordx4 v[36:39], v[9:10], off offset:304
	global_load_dwordx4 v[40:43], v[9:10], off offset:288
	;; [unrolled: 1-line block ×4, first 2 shown]
	s_clause 0x1
	global_load_dwordx2 v[60:61], v[13:14], off
	global_load_dwordx2 v[62:63], v[13:14], off offset:32
	s_waitcnt vmcnt(11)
	v_sub_co_u32 v23, vcc_lo, v23, v1
	v_sub_co_ci_u32_e64 v24, null, v24, v2, vcc_lo
	s_waitcnt vmcnt(10)
	v_sub_co_u32 v52, vcc_lo, v52, v1
	v_sub_co_ci_u32_e64 v53, null, v53, v2, vcc_lo
	v_lshlrev_b64 v[23:24], 4, v[23:24]
	v_lshlrev_b64 v[52:53], 4, v[52:53]
	v_add_co_u32 v23, vcc_lo, s6, v23
	v_add_co_ci_u32_e64 v24, null, s7, v24, vcc_lo
	v_add_co_u32 v56, vcc_lo, s6, v52
	v_add_co_ci_u32_e64 v57, null, s7, v53, vcc_lo
	s_clause 0x1
	global_load_dwordx4 v[52:55], v[23:24], off
	global_load_dwordx4 v[56:59], v[56:57], off
	s_waitcnt vmcnt(3)
	v_sub_co_u32 v23, vcc_lo, v60, v1
	v_sub_co_ci_u32_e64 v24, null, v61, v2, vcc_lo
	v_lshlrev_b64 v[23:24], 4, v[23:24]
	v_add_co_u32 v23, s0, s6, v23
	v_add_co_ci_u32_e64 v24, null, s7, v24, s0
	s_waitcnt vmcnt(1)
	v_fmac_f32_e32 v12, v32, v52
	v_fmac_f32_e32 v27, v33, v52
	v_fmac_f32_e32 v26, v34, v52
	v_fmac_f32_e32 v25, v35, v52
	global_load_dwordx4 v[32:35], v[9:10], off offset:560
	v_fmac_f32_e32 v12, v28, v53
	v_fmac_f32_e32 v27, v29, v53
	v_fmac_f32_e32 v26, v30, v53
	v_fmac_f32_e32 v25, v31, v53
	global_load_dwordx4 v[28:31], v[9:10], off offset:544
	;; [unrolled: 5-line block ×4, first 2 shown]
	s_waitcnt vmcnt(4)
	v_fmac_f32_e32 v12, v48, v56
	v_fmac_f32_e32 v27, v49, v56
	;; [unrolled: 1-line block ×4, first 2 shown]
	v_sub_co_u32 v56, vcc_lo, v62, v1
	v_fmac_f32_e32 v12, v44, v57
	v_fmac_f32_e32 v27, v45, v57
	;; [unrolled: 1-line block ×4, first 2 shown]
	global_load_dwordx4 v[44:47], v[23:24], off
	v_sub_co_ci_u32_e64 v57, null, v63, v2, vcc_lo
	s_clause 0x1
	global_load_dwordx4 v[52:55], v[9:10], off offset:784
	global_load_dwordx4 v[48:51], v[9:10], off offset:768
	v_fmac_f32_e32 v12, v40, v58
	v_lshlrev_b64 v[23:24], 4, v[56:57]
	v_fmac_f32_e32 v27, v41, v58
	v_fmac_f32_e32 v26, v42, v58
	;; [unrolled: 1-line block ×3, first 2 shown]
	global_load_dwordx4 v[40:43], v[9:10], off offset:800
	v_fmac_f32_e32 v12, v36, v59
	v_add_co_u32 v23, vcc_lo, s6, v23
	v_add_co_ci_u32_e64 v24, null, s7, v24, vcc_lo
	v_fmac_f32_e32 v27, v37, v59
	v_fmac_f32_e32 v26, v38, v59
	;; [unrolled: 1-line block ×3, first 2 shown]
	global_load_dwordx4 v[60:63], v[23:24], off
	global_load_dwordx4 v[36:39], v[9:10], off offset:816
	v_add_co_u32 v9, vcc_lo, 0x400, v9
	v_add_co_ci_u32_e64 v10, null, 0, v10, vcc_lo
	v_add_co_u32 v5, vcc_lo, v5, 16
	v_add_co_ci_u32_e64 v6, null, 0, v6, vcc_lo
	;; [unrolled: 2-line block ×3, first 2 shown]
	v_cmp_ge_i64_e32 vcc_lo, v[5:6], v[7:8]
	s_or_b32 s8, vcc_lo, s8
	s_waitcnt vmcnt(5)
	v_fmac_f32_e32 v12, v15, v44
	v_fmac_f32_e32 v27, v16, v44
	;; [unrolled: 1-line block ×16, first 2 shown]
	s_waitcnt vmcnt(1)
	v_fmac_f32_e32 v12, v48, v60
	v_fmac_f32_e32 v27, v49, v60
	v_fmac_f32_e32 v26, v50, v60
	v_fmac_f32_e32 v25, v51, v60
	v_fmac_f32_e32 v12, v52, v61
	v_fmac_f32_e32 v27, v53, v61
	v_fmac_f32_e32 v26, v54, v61
	v_fmac_f32_e32 v25, v55, v61
	v_fmac_f32_e32 v12, v40, v62
	v_fmac_f32_e32 v27, v41, v62
	v_fmac_f32_e32 v26, v42, v62
	v_fmac_f32_e32 v25, v43, v62
	s_waitcnt vmcnt(0)
	v_fmac_f32_e32 v12, v36, v63
	v_fmac_f32_e32 v27, v37, v63
	;; [unrolled: 1-line block ×4, first 2 shown]
	s_andn2_b32 exec_lo, exec_lo, s8
	s_cbranch_execnz .LBB40_35
; %bb.36:
	s_or_b32 exec_lo, exec_lo, s8
.LBB40_37:
	s_or_b32 exec_lo, exec_lo, s3
.LBB40_38:
	s_or_b32 exec_lo, exec_lo, s1
.LBB40_39:
	v_mbcnt_lo_u32_b32 v1, -1, 0
	s_mov_b32 s3, -1
	v_xor_b32_e32 v2, 2, v1
	v_cmp_gt_i32_e32 vcc_lo, 32, v2
	v_cndmask_b32_e32 v2, v1, v2, vcc_lo
	v_lshlrev_b32_e32 v2, 2, v2
	ds_bpermute_b32 v5, v2, v12
	ds_bpermute_b32 v6, v2, v27
	;; [unrolled: 1-line block ×4, first 2 shown]
	v_xor_b32_e32 v2, 1, v1
	v_cmp_gt_i32_e32 vcc_lo, 32, v2
	v_cndmask_b32_e32 v1, v1, v2, vcc_lo
	v_cmp_eq_u32_e32 vcc_lo, 3, v0
	v_lshlrev_b32_e32 v10, 2, v1
	s_waitcnt lgkmcnt(3)
	v_add_f32_e32 v1, v12, v5
	s_waitcnt lgkmcnt(2)
	v_add_f32_e32 v2, v27, v6
	;; [unrolled: 2-line block ×4, first 2 shown]
	ds_bpermute_b32 v7, v10, v1
	ds_bpermute_b32 v8, v10, v2
	;; [unrolled: 1-line block ×4, first 2 shown]
	s_and_b32 exec_lo, exec_lo, vcc_lo
	s_cbranch_execz .LBB40_10
; %bb.40:
	s_load_dwordx2 s[0:1], s[4:5], 0x58
	s_waitcnt lgkmcnt(0)
	v_add_f32_e32 v0, v1, v7
	v_add_f32_e32 v1, v2, v8
	;; [unrolled: 1-line block ×4, first 2 shown]
	v_cmp_eq_f32_e64 s4, s2, 0
	v_lshlrev_b64 v[4:5], 4, v[3:4]
	v_mul_f32_e32 v0, s16, v0
	v_mul_f32_e32 v1, s16, v1
	;; [unrolled: 1-line block ×4, first 2 shown]
	s_and_b32 vcc_lo, exec_lo, s4
	s_cbranch_vccz .LBB40_42
; %bb.41:
	v_add_co_u32 v6, vcc_lo, s0, v4
	v_add_co_ci_u32_e64 v7, null, s1, v5, vcc_lo
	s_mov_b32 s3, 0
	global_store_dwordx4 v[6:7], v[0:3], off
.LBB40_42:
	s_andn2_b32 vcc_lo, exec_lo, s3
	s_cbranch_vccnz .LBB40_10
; %bb.43:
	v_add_co_u32 v8, vcc_lo, s0, v4
	v_add_co_ci_u32_e64 v9, null, s1, v5, vcc_lo
	global_load_dwordx4 v[4:7], v[8:9], off
	s_waitcnt vmcnt(0)
	v_fmac_f32_e32 v0, s2, v4
	v_fmac_f32_e32 v1, s2, v5
	;; [unrolled: 1-line block ×4, first 2 shown]
	global_store_dwordx4 v[8:9], v[0:3], off
	s_endpgm
	.section	.rodata,"a",@progbits
	.p2align	6, 0x0
	.amdhsa_kernel _ZN9rocsparseL18bsrxmvn_4x4_kernelILj128ELj4EfllfffEEvT3_20rocsparse_direction_NS_24const_host_device_scalarIT1_EES1_PKS1_PKT2_SA_S7_PKT4_PKT5_S5_PT6_21rocsparse_index_base_b
		.amdhsa_group_segment_fixed_size 0
		.amdhsa_private_segment_fixed_size 0
		.amdhsa_kernarg_size 104
		.amdhsa_user_sgpr_count 6
		.amdhsa_user_sgpr_private_segment_buffer 1
		.amdhsa_user_sgpr_dispatch_ptr 0
		.amdhsa_user_sgpr_queue_ptr 0
		.amdhsa_user_sgpr_kernarg_segment_ptr 1
		.amdhsa_user_sgpr_dispatch_id 0
		.amdhsa_user_sgpr_flat_scratch_init 0
		.amdhsa_user_sgpr_private_segment_size 0
		.amdhsa_wavefront_size32 1
		.amdhsa_uses_dynamic_stack 0
		.amdhsa_system_sgpr_private_segment_wavefront_offset 0
		.amdhsa_system_sgpr_workgroup_id_x 1
		.amdhsa_system_sgpr_workgroup_id_y 0
		.amdhsa_system_sgpr_workgroup_id_z 0
		.amdhsa_system_sgpr_workgroup_info 0
		.amdhsa_system_vgpr_workitem_id 0
		.amdhsa_next_free_vgpr 68
		.amdhsa_next_free_sgpr 20
		.amdhsa_reserve_vcc 1
		.amdhsa_reserve_flat_scratch 0
		.amdhsa_float_round_mode_32 0
		.amdhsa_float_round_mode_16_64 0
		.amdhsa_float_denorm_mode_32 3
		.amdhsa_float_denorm_mode_16_64 3
		.amdhsa_dx10_clamp 1
		.amdhsa_ieee_mode 1
		.amdhsa_fp16_overflow 0
		.amdhsa_workgroup_processor_mode 1
		.amdhsa_memory_ordered 1
		.amdhsa_forward_progress 1
		.amdhsa_shared_vgpr_count 0
		.amdhsa_exception_fp_ieee_invalid_op 0
		.amdhsa_exception_fp_denorm_src 0
		.amdhsa_exception_fp_ieee_div_zero 0
		.amdhsa_exception_fp_ieee_overflow 0
		.amdhsa_exception_fp_ieee_underflow 0
		.amdhsa_exception_fp_ieee_inexact 0
		.amdhsa_exception_int_div_zero 0
	.end_amdhsa_kernel
	.section	.text._ZN9rocsparseL18bsrxmvn_4x4_kernelILj128ELj4EfllfffEEvT3_20rocsparse_direction_NS_24const_host_device_scalarIT1_EES1_PKS1_PKT2_SA_S7_PKT4_PKT5_S5_PT6_21rocsparse_index_base_b,"axG",@progbits,_ZN9rocsparseL18bsrxmvn_4x4_kernelILj128ELj4EfllfffEEvT3_20rocsparse_direction_NS_24const_host_device_scalarIT1_EES1_PKS1_PKT2_SA_S7_PKT4_PKT5_S5_PT6_21rocsparse_index_base_b,comdat
.Lfunc_end40:
	.size	_ZN9rocsparseL18bsrxmvn_4x4_kernelILj128ELj4EfllfffEEvT3_20rocsparse_direction_NS_24const_host_device_scalarIT1_EES1_PKS1_PKT2_SA_S7_PKT4_PKT5_S5_PT6_21rocsparse_index_base_b, .Lfunc_end40-_ZN9rocsparseL18bsrxmvn_4x4_kernelILj128ELj4EfllfffEEvT3_20rocsparse_direction_NS_24const_host_device_scalarIT1_EES1_PKS1_PKT2_SA_S7_PKT4_PKT5_S5_PT6_21rocsparse_index_base_b
                                        ; -- End function
	.set _ZN9rocsparseL18bsrxmvn_4x4_kernelILj128ELj4EfllfffEEvT3_20rocsparse_direction_NS_24const_host_device_scalarIT1_EES1_PKS1_PKT2_SA_S7_PKT4_PKT5_S5_PT6_21rocsparse_index_base_b.num_vgpr, 68
	.set _ZN9rocsparseL18bsrxmvn_4x4_kernelILj128ELj4EfllfffEEvT3_20rocsparse_direction_NS_24const_host_device_scalarIT1_EES1_PKS1_PKT2_SA_S7_PKT4_PKT5_S5_PT6_21rocsparse_index_base_b.num_agpr, 0
	.set _ZN9rocsparseL18bsrxmvn_4x4_kernelILj128ELj4EfllfffEEvT3_20rocsparse_direction_NS_24const_host_device_scalarIT1_EES1_PKS1_PKT2_SA_S7_PKT4_PKT5_S5_PT6_21rocsparse_index_base_b.numbered_sgpr, 20
	.set _ZN9rocsparseL18bsrxmvn_4x4_kernelILj128ELj4EfllfffEEvT3_20rocsparse_direction_NS_24const_host_device_scalarIT1_EES1_PKS1_PKT2_SA_S7_PKT4_PKT5_S5_PT6_21rocsparse_index_base_b.num_named_barrier, 0
	.set _ZN9rocsparseL18bsrxmvn_4x4_kernelILj128ELj4EfllfffEEvT3_20rocsparse_direction_NS_24const_host_device_scalarIT1_EES1_PKS1_PKT2_SA_S7_PKT4_PKT5_S5_PT6_21rocsparse_index_base_b.private_seg_size, 0
	.set _ZN9rocsparseL18bsrxmvn_4x4_kernelILj128ELj4EfllfffEEvT3_20rocsparse_direction_NS_24const_host_device_scalarIT1_EES1_PKS1_PKT2_SA_S7_PKT4_PKT5_S5_PT6_21rocsparse_index_base_b.uses_vcc, 1
	.set _ZN9rocsparseL18bsrxmvn_4x4_kernelILj128ELj4EfllfffEEvT3_20rocsparse_direction_NS_24const_host_device_scalarIT1_EES1_PKS1_PKT2_SA_S7_PKT4_PKT5_S5_PT6_21rocsparse_index_base_b.uses_flat_scratch, 0
	.set _ZN9rocsparseL18bsrxmvn_4x4_kernelILj128ELj4EfllfffEEvT3_20rocsparse_direction_NS_24const_host_device_scalarIT1_EES1_PKS1_PKT2_SA_S7_PKT4_PKT5_S5_PT6_21rocsparse_index_base_b.has_dyn_sized_stack, 0
	.set _ZN9rocsparseL18bsrxmvn_4x4_kernelILj128ELj4EfllfffEEvT3_20rocsparse_direction_NS_24const_host_device_scalarIT1_EES1_PKS1_PKT2_SA_S7_PKT4_PKT5_S5_PT6_21rocsparse_index_base_b.has_recursion, 0
	.set _ZN9rocsparseL18bsrxmvn_4x4_kernelILj128ELj4EfllfffEEvT3_20rocsparse_direction_NS_24const_host_device_scalarIT1_EES1_PKS1_PKT2_SA_S7_PKT4_PKT5_S5_PT6_21rocsparse_index_base_b.has_indirect_call, 0
	.section	.AMDGPU.csdata,"",@progbits
; Kernel info:
; codeLenInByte = 3484
; TotalNumSgprs: 22
; NumVgprs: 68
; ScratchSize: 0
; MemoryBound: 0
; FloatMode: 240
; IeeeMode: 1
; LDSByteSize: 0 bytes/workgroup (compile time only)
; SGPRBlocks: 0
; VGPRBlocks: 8
; NumSGPRsForWavesPerEU: 22
; NumVGPRsForWavesPerEU: 68
; Occupancy: 12
; WaveLimiterHint : 1
; COMPUTE_PGM_RSRC2:SCRATCH_EN: 0
; COMPUTE_PGM_RSRC2:USER_SGPR: 6
; COMPUTE_PGM_RSRC2:TRAP_HANDLER: 0
; COMPUTE_PGM_RSRC2:TGID_X_EN: 1
; COMPUTE_PGM_RSRC2:TGID_Y_EN: 0
; COMPUTE_PGM_RSRC2:TGID_Z_EN: 0
; COMPUTE_PGM_RSRC2:TIDIG_COMP_CNT: 0
	.section	.text._ZN9rocsparseL18bsrxmvn_4x4_kernelILj128ELj8EfllfffEEvT3_20rocsparse_direction_NS_24const_host_device_scalarIT1_EES1_PKS1_PKT2_SA_S7_PKT4_PKT5_S5_PT6_21rocsparse_index_base_b,"axG",@progbits,_ZN9rocsparseL18bsrxmvn_4x4_kernelILj128ELj8EfllfffEEvT3_20rocsparse_direction_NS_24const_host_device_scalarIT1_EES1_PKS1_PKT2_SA_S7_PKT4_PKT5_S5_PT6_21rocsparse_index_base_b,comdat
	.globl	_ZN9rocsparseL18bsrxmvn_4x4_kernelILj128ELj8EfllfffEEvT3_20rocsparse_direction_NS_24const_host_device_scalarIT1_EES1_PKS1_PKT2_SA_S7_PKT4_PKT5_S5_PT6_21rocsparse_index_base_b ; -- Begin function _ZN9rocsparseL18bsrxmvn_4x4_kernelILj128ELj8EfllfffEEvT3_20rocsparse_direction_NS_24const_host_device_scalarIT1_EES1_PKS1_PKT2_SA_S7_PKT4_PKT5_S5_PT6_21rocsparse_index_base_b
	.p2align	8
	.type	_ZN9rocsparseL18bsrxmvn_4x4_kernelILj128ELj8EfllfffEEvT3_20rocsparse_direction_NS_24const_host_device_scalarIT1_EES1_PKS1_PKT2_SA_S7_PKT4_PKT5_S5_PT6_21rocsparse_index_base_b,@function
_ZN9rocsparseL18bsrxmvn_4x4_kernelILj128ELj8EfllfffEEvT3_20rocsparse_direction_NS_24const_host_device_scalarIT1_EES1_PKS1_PKT2_SA_S7_PKT4_PKT5_S5_PT6_21rocsparse_index_base_b: ; @_ZN9rocsparseL18bsrxmvn_4x4_kernelILj128ELj8EfllfffEEvT3_20rocsparse_direction_NS_24const_host_device_scalarIT1_EES1_PKS1_PKT2_SA_S7_PKT4_PKT5_S5_PT6_21rocsparse_index_base_b
; %bb.0:
	s_clause 0x2
	s_load_dwordx2 s[0:1], s[4:5], 0x60
	s_load_dwordx4 s[16:19], s[4:5], 0x10
	s_load_dwordx2 s[2:3], s[4:5], 0x50
	s_waitcnt lgkmcnt(0)
	s_bitcmp1_b32 s1, 0
	s_cselect_b32 s1, -1, 0
	s_and_b32 vcc_lo, exec_lo, s1
	s_xor_b32 s1, s1, -1
	s_cbranch_vccnz .LBB41_2
; %bb.1:
	s_load_dword s16, s[16:17], 0x0
.LBB41_2:
	s_andn2_b32 vcc_lo, exec_lo, s1
	s_cbranch_vccnz .LBB41_4
; %bb.3:
	s_load_dword s2, s[2:3], 0x0
.LBB41_4:
	s_waitcnt lgkmcnt(0)
	v_cmp_neq_f32_e64 s1, s16, 0
	v_cmp_neq_f32_e64 s3, s2, 1.0
	s_or_b32 s1, s1, s3
	s_mov_b32 s3, 0
	s_andn2_b32 vcc_lo, exec_lo, s1
	s_cbranch_vccnz .LBB41_10
; %bb.5:
	s_load_dwordx2 s[8:9], s[4:5], 0x20
	v_lshrrev_b32_e32 v1, 3, v0
	v_mov_b32_e32 v6, 0
	v_lshl_or_b32 v5, s6, 4, v1
	s_waitcnt lgkmcnt(0)
	s_cmp_lg_u64 s[8:9], 0
	s_cbranch_scc0 .LBB41_11
; %bb.6:
	s_mov_b32 s6, 0
                                        ; implicit-def: $vgpr3_vgpr4
                                        ; implicit-def: $vgpr1_vgpr2
	s_mov_b32 s1, exec_lo
	v_cmpx_gt_i64_e64 s[18:19], v[5:6]
	s_xor_b32 s7, exec_lo, s1
	s_cbranch_execz .LBB41_8
; %bb.7:
	v_lshlrev_b64 v[1:2], 3, v[5:6]
	s_mov_b32 s1, 0
	s_mov_b32 s3, exec_lo
	v_add_co_u32 v1, vcc_lo, s8, v1
	v_add_co_ci_u32_e64 v2, null, s9, v2, vcc_lo
	global_load_dwordx2 v[1:2], v[1:2], off
	s_waitcnt vmcnt(0)
	v_sub_co_u32 v3, vcc_lo, v1, s0
	v_subrev_co_ci_u32_e64 v4, null, 0, v2, vcc_lo
	v_mov_b32_e32 v2, s1
	v_mov_b32_e32 v1, s0
.LBB41_8:
	s_or_b32 exec_lo, exec_lo, s7
	s_and_b32 vcc_lo, exec_lo, s6
	s_cbranch_vccnz .LBB41_12
.LBB41_9:
	s_and_saveexec_b32 s0, s3
	s_cbranch_execnz .LBB41_15
.LBB41_10:
	s_endpgm
.LBB41_11:
                                        ; implicit-def: $vgpr3_vgpr4
                                        ; implicit-def: $vgpr1_vgpr2
	s_cbranch_execz .LBB41_9
.LBB41_12:
	s_load_dwordx2 s[6:7], s[4:5], 0x0
	s_waitcnt lgkmcnt(0)
	v_cmp_gt_i64_e32 vcc_lo, s[6:7], v[5:6]
	s_and_saveexec_b32 s6, vcc_lo
; %bb.13:
	s_mov_b32 s1, 0
	s_or_b32 s3, s3, exec_lo
; %bb.14:
	s_or_b32 exec_lo, exec_lo, s6
	v_mov_b32_e32 v2, s1
	v_mov_b32_e32 v3, v5
	v_mov_b32_e32 v1, s0
	v_mov_b32_e32 v4, v6
	s_and_saveexec_b32 s0, s3
	s_cbranch_execz .LBB41_10
.LBB41_15:
	s_load_dwordx8 s[8:15], s[4:5], 0x28
	v_lshlrev_b64 v[5:6], 3, v[3:4]
	v_and_b32_e32 v0, 7, v0
	s_clause 0x1
	s_load_dword s1, s[4:5], 0x8
	s_load_dwordx2 s[6:7], s[4:5], 0x48
	v_mov_b32_e32 v25, 0
	s_waitcnt lgkmcnt(0)
	v_add_co_u32 v7, vcc_lo, s8, v5
	v_add_co_ci_u32_e64 v8, null, s9, v6, vcc_lo
	v_add_co_u32 v5, vcc_lo, s10, v5
	v_add_co_ci_u32_e64 v6, null, s11, v6, vcc_lo
	v_add_co_u32 v9, vcc_lo, v7, 8
	global_load_dwordx2 v[13:14], v[7:8], off
	v_add_co_ci_u32_e64 v10, null, 0, v8, vcc_lo
	s_cmp_eq_u64 s[10:11], 0
	s_cselect_b32 vcc_lo, -1, 0
	s_cmp_eq_u32 s1, 1
	v_cndmask_b32_e32 v6, v6, v10, vcc_lo
	v_cndmask_b32_e32 v5, v5, v9, vcc_lo
	global_load_dwordx2 v[7:8], v[5:6], off
	s_waitcnt vmcnt(1)
	v_sub_co_u32 v5, vcc_lo, v13, v1
	v_sub_co_ci_u32_e64 v6, null, v14, v2, vcc_lo
	v_add_co_u32 v5, vcc_lo, v5, v0
	v_add_co_ci_u32_e64 v6, null, 0, v6, vcc_lo
	v_lshlrev_b64 v[9:10], 6, v[5:6]
	s_waitcnt vmcnt(0)
	v_sub_co_u32 v7, vcc_lo, v7, v1
	v_sub_co_ci_u32_e64 v8, null, v8, v2, vcc_lo
	v_add_co_u32 v9, vcc_lo, s14, v9
	v_cmp_lt_i64_e64 s0, v[5:6], v[7:8]
	v_add_co_ci_u32_e64 v10, null, s15, v10, vcc_lo
	s_cbranch_scc1 .LBB41_27
; %bb.16:
	v_mov_b32_e32 v26, 0
	v_mov_b32_e32 v27, 0
	v_mov_b32_e32 v12, 0
	s_and_saveexec_b32 s3, s0
	s_cbranch_execz .LBB41_26
; %bb.17:
	v_or_b32_e32 v11, 8, v0
	v_not_b32_e32 v16, v13
	v_sub_co_u32 v17, s1, v1, v0
	v_not_b32_e32 v15, v14
	v_sub_co_u32 v11, vcc_lo, v11, v1
	v_sub_co_ci_u32_e64 v12, null, 0, v2, vcc_lo
	v_subrev_co_ci_u32_e64 v18, null, 0, v2, s1
	v_add_co_u32 v11, vcc_lo, v11, v13
	v_add_co_ci_u32_e64 v12, null, v12, v14, vcc_lo
	s_mov_b32 s1, exec_lo
	v_cmp_gt_i64_e32 vcc_lo, v[11:12], v[7:8]
	v_cndmask_b32_e32 v20, v8, v12, vcc_lo
	v_cndmask_b32_e32 v11, v7, v11, vcc_lo
	v_add_co_u32 v12, vcc_lo, v17, v16
	v_add_co_ci_u32_e64 v15, null, v18, v15, vcc_lo
	v_mov_b32_e32 v18, v10
	v_add_co_u32 v19, vcc_lo, v12, v11
	v_mov_b32_e32 v12, 0
	v_add_co_ci_u32_e64 v20, null, v15, v20, vcc_lo
	v_mov_b32_e32 v16, v6
	v_and_b32_e32 v11, 24, v19
	v_mov_b32_e32 v27, v12
	v_mov_b32_e32 v26, v12
	;; [unrolled: 1-line block ×5, first 2 shown]
	v_cmpx_ne_u64_e32 24, v[11:12]
	s_cbranch_execz .LBB41_21
; %bb.18:
	v_lshrrev_b32_e32 v11, 3, v19
	v_mov_b32_e32 v18, v10
	v_mov_b32_e32 v16, v6
	v_mov_b32_e32 v25, 0
	v_mov_b32_e32 v17, v9
	v_add_nc_u32_e32 v21, 1, v11
	v_lshlrev_b64 v[11:12], 3, v[5:6]
	v_mov_b32_e32 v15, v5
	v_mov_b32_e32 v26, 0
	v_mov_b32_e32 v27, 0
	v_and_b32_e32 v23, 3, v21
	v_add_co_u32 v21, vcc_lo, s12, v11
	v_add_co_ci_u32_e64 v22, null, s13, v12, vcc_lo
	v_sub_co_u32 v23, s8, 0, v23
	v_sub_co_ci_u32_e64 v24, null, 0, 0, s8
	v_mov_b32_e32 v12, 0
	s_mov_b32 s8, 0
.LBB41_19:                              ; =>This Inner Loop Header: Depth=1
	global_load_dwordx2 v[44:45], v[21:22], off
	s_clause 0x3
	global_load_dwordx4 v[28:31], v[17:18], off offset:48
	global_load_dwordx4 v[32:35], v[17:18], off offset:32
	global_load_dwordx4 v[36:39], v[17:18], off offset:16
	global_load_dwordx4 v[40:43], v[17:18], off
	s_waitcnt vmcnt(4)
	v_sub_co_u32 v44, vcc_lo, v44, v1
	v_sub_co_ci_u32_e64 v45, null, v45, v2, vcc_lo
	v_lshlrev_b64 v[44:45], 4, v[44:45]
	v_add_co_u32 v44, vcc_lo, s6, v44
	v_add_co_ci_u32_e64 v45, null, s7, v45, vcc_lo
	v_add_co_u32 v17, vcc_lo, 0x200, v17
	v_add_co_ci_u32_e64 v18, null, 0, v18, vcc_lo
	global_load_dwordx4 v[44:47], v[44:45], off
	v_add_co_u32 v15, vcc_lo, v15, 8
	v_add_co_ci_u32_e64 v16, null, 0, v16, vcc_lo
	v_add_co_u32 v21, vcc_lo, v21, 64
	v_add_co_ci_u32_e64 v22, null, 0, v22, vcc_lo
	;; [unrolled: 2-line block ×3, first 2 shown]
	v_cmp_eq_u64_e32 vcc_lo, 0, v[23:24]
	s_or_b32 s8, vcc_lo, s8
	s_waitcnt vmcnt(0)
	v_fmac_f32_e32 v12, v40, v44
	v_fmac_f32_e32 v27, v36, v44
	;; [unrolled: 1-line block ×16, first 2 shown]
	s_andn2_b32 exec_lo, exec_lo, s8
	s_cbranch_execnz .LBB41_19
; %bb.20:
	s_or_b32 exec_lo, exec_lo, s8
.LBB41_21:
	s_or_b32 exec_lo, exec_lo, s1
	s_mov_b32 s8, exec_lo
	v_cmpx_lt_u64_e32 23, v[19:20]
	s_cbranch_execz .LBB41_25
; %bb.22:
	v_lshlrev_b64 v[19:20], 3, v[15:16]
	s_mov_b32 s9, 0
	v_add_co_u32 v11, vcc_lo, s12, v19
	v_add_co_ci_u32_e64 v20, null, s13, v20, vcc_lo
	v_add_co_u32 v19, vcc_lo, 0x80, v11
	v_add_co_ci_u32_e64 v20, null, 0, v20, vcc_lo
.LBB41_23:                              ; =>This Inner Loop Header: Depth=1
	s_clause 0x1
	global_load_dwordx2 v[56:57], v[19:20], off offset:-128
	global_load_dwordx2 v[58:59], v[19:20], off offset:-64
	s_clause 0x7
	global_load_dwordx4 v[21:24], v[17:18], off offset:48
	global_load_dwordx4 v[28:31], v[17:18], off offset:32
	;; [unrolled: 1-line block ×3, first 2 shown]
	global_load_dwordx4 v[36:39], v[17:18], off
	global_load_dwordx4 v[40:43], v[17:18], off offset:560
	global_load_dwordx4 v[44:47], v[17:18], off offset:544
	;; [unrolled: 1-line block ×4, first 2 shown]
	s_clause 0x1
	global_load_dwordx2 v[64:65], v[19:20], off
	global_load_dwordx2 v[66:67], v[19:20], off offset:64
	s_waitcnt vmcnt(11)
	v_sub_co_u32 v56, vcc_lo, v56, v1
	v_sub_co_ci_u32_e64 v57, null, v57, v2, vcc_lo
	s_waitcnt vmcnt(10)
	v_sub_co_u32 v58, vcc_lo, v58, v1
	v_sub_co_ci_u32_e64 v59, null, v59, v2, vcc_lo
	v_lshlrev_b64 v[56:57], 4, v[56:57]
	v_lshlrev_b64 v[58:59], 4, v[58:59]
	v_add_co_u32 v56, vcc_lo, s6, v56
	v_add_co_ci_u32_e64 v57, null, s7, v57, vcc_lo
	v_add_co_u32 v60, vcc_lo, s6, v58
	v_add_co_ci_u32_e64 v61, null, s7, v59, vcc_lo
	s_clause 0x1
	global_load_dwordx4 v[56:59], v[56:57], off
	global_load_dwordx4 v[60:63], v[60:61], off
	s_waitcnt vmcnt(3)
	v_sub_co_u32 v64, vcc_lo, v64, v1
	v_sub_co_ci_u32_e64 v65, null, v65, v2, vcc_lo
	s_waitcnt vmcnt(1)
	v_fmac_f32_e32 v25, v21, v56
	v_fmac_f32_e32 v12, v36, v56
	;; [unrolled: 1-line block ×16, first 2 shown]
	s_clause 0x1
	global_load_dwordx4 v[36:39], v[17:18], off offset:1072
	global_load_dwordx4 v[32:35], v[17:18], off offset:1056
	s_waitcnt vmcnt(2)
	v_fmac_f32_e32 v25, v40, v60
	v_fmac_f32_e32 v12, v52, v60
	;; [unrolled: 1-line block ×4, first 2 shown]
	s_clause 0x1
	global_load_dwordx4 v[28:31], v[17:18], off offset:1040
	global_load_dwordx4 v[21:24], v[17:18], off offset:1024
	v_fmac_f32_e32 v25, v41, v61
	v_lshlrev_b64 v[40:41], 4, v[64:65]
	v_sub_co_u32 v60, vcc_lo, v66, v1
	v_fmac_f32_e32 v12, v53, v61
	v_fmac_f32_e32 v25, v42, v62
	;; [unrolled: 1-line block ×3, first 2 shown]
	v_add_co_u32 v40, s1, s6, v40
	v_add_co_ci_u32_e64 v41, null, s7, v41, s1
	v_fmac_f32_e32 v25, v43, v63
	v_fmac_f32_e32 v26, v45, v61
	v_sub_co_ci_u32_e64 v61, null, v67, v2, vcc_lo
	global_load_dwordx4 v[40:43], v[40:41], off
	v_fmac_f32_e32 v12, v54, v62
	v_fmac_f32_e32 v27, v50, v62
	v_lshlrev_b64 v[60:61], 4, v[60:61]
	v_fmac_f32_e32 v26, v46, v62
	global_load_dwordx4 v[56:59], v[17:18], off offset:1584
	v_fmac_f32_e32 v12, v55, v63
	global_load_dwordx4 v[52:55], v[17:18], off offset:1568
	v_fmac_f32_e32 v27, v51, v63
	v_add_co_u32 v60, vcc_lo, s6, v60
	v_add_co_ci_u32_e64 v61, null, s7, v61, vcc_lo
	global_load_dwordx4 v[48:51], v[17:18], off offset:1552
	v_fmac_f32_e32 v26, v47, v63
	global_load_dwordx4 v[44:47], v[17:18], off offset:1536
	global_load_dwordx4 v[60:63], v[60:61], off
	v_add_co_u32 v17, s1, 0x800, v17
	v_add_co_ci_u32_e64 v18, null, 0, v18, s1
	v_add_co_u32 v15, s1, v15, 32
	v_add_co_ci_u32_e64 v16, null, 0, v16, s1
	v_add_co_u32 v19, vcc_lo, 0x100, v19
	v_add_co_ci_u32_e64 v20, null, 0, v20, vcc_lo
	v_cmp_ge_i64_e32 vcc_lo, v[15:16], v[7:8]
	s_or_b32 s9, vcc_lo, s9
	s_waitcnt vmcnt(5)
	v_fmac_f32_e32 v12, v21, v40
	v_fmac_f32_e32 v27, v28, v40
	v_fmac_f32_e32 v26, v32, v40
	v_fmac_f32_e32 v25, v36, v40
	v_fmac_f32_e32 v12, v22, v41
	v_fmac_f32_e32 v27, v29, v41
	v_fmac_f32_e32 v26, v33, v41
	v_fmac_f32_e32 v25, v37, v41
	v_fmac_f32_e32 v12, v23, v42
	v_fmac_f32_e32 v27, v30, v42
	v_fmac_f32_e32 v26, v34, v42
	v_fmac_f32_e32 v25, v38, v42
	v_fmac_f32_e32 v12, v24, v43
	v_fmac_f32_e32 v27, v31, v43
	v_fmac_f32_e32 v26, v35, v43
	v_fmac_f32_e32 v25, v39, v43
	s_waitcnt vmcnt(0)
	v_fmac_f32_e32 v12, v44, v60
	v_fmac_f32_e32 v27, v48, v60
	;; [unrolled: 1-line block ×16, first 2 shown]
	s_andn2_b32 exec_lo, exec_lo, s9
	s_cbranch_execnz .LBB41_23
; %bb.24:
	s_or_b32 exec_lo, exec_lo, s9
.LBB41_25:
	s_or_b32 exec_lo, exec_lo, s8
.LBB41_26:
	s_or_b32 exec_lo, exec_lo, s3
	s_cbranch_execz .LBB41_28
	s_branch .LBB41_39
.LBB41_27:
                                        ; implicit-def: $vgpr25
                                        ; implicit-def: $vgpr26
                                        ; implicit-def: $vgpr27
                                        ; implicit-def: $vgpr12
.LBB41_28:
	v_mov_b32_e32 v25, 0
	v_mov_b32_e32 v26, 0
	;; [unrolled: 1-line block ×4, first 2 shown]
	s_and_saveexec_b32 s1, s0
	s_cbranch_execz .LBB41_38
; %bb.29:
	v_or_b32_e32 v11, 8, v0
	v_sub_co_u32 v15, s0, v1, v0
	v_subrev_co_ci_u32_e64 v16, null, 0, v2, s0
	v_sub_co_u32 v11, vcc_lo, v11, v1
	v_sub_co_ci_u32_e64 v12, null, 0, v2, vcc_lo
	s_mov_b32 s0, exec_lo
	v_add_co_u32 v11, vcc_lo, v11, v13
	v_add_co_ci_u32_e64 v12, null, v12, v14, vcc_lo
	v_not_b32_e32 v13, v13
	v_not_b32_e32 v14, v14
	v_cmp_gt_i64_e32 vcc_lo, v[11:12], v[7:8]
	v_cndmask_b32_e32 v17, v8, v12, vcc_lo
	v_cndmask_b32_e32 v11, v7, v11, vcc_lo
	v_add_co_u32 v12, vcc_lo, v15, v13
	v_add_co_ci_u32_e64 v14, null, v16, v14, vcc_lo
	v_add_co_u32 v13, vcc_lo, v12, v11
	v_mov_b32_e32 v12, 0
	v_add_co_ci_u32_e64 v14, null, v14, v17, vcc_lo
	v_and_b32_e32 v11, 24, v13
	v_mov_b32_e32 v27, v12
	v_mov_b32_e32 v26, v12
	;; [unrolled: 1-line block ×3, first 2 shown]
	v_cmpx_ne_u64_e32 24, v[11:12]
	s_cbranch_execz .LBB41_33
; %bb.30:
	v_lshrrev_b32_e32 v11, 3, v13
	v_mov_b32_e32 v25, 0
	v_mov_b32_e32 v26, 0
	;; [unrolled: 1-line block ×3, first 2 shown]
	v_add_nc_u32_e32 v15, 1, v11
	v_lshlrev_b64 v[11:12], 3, v[5:6]
	v_and_b32_e32 v17, 3, v15
	v_add_co_u32 v15, vcc_lo, s12, v11
	v_add_co_ci_u32_e64 v16, null, s13, v12, vcc_lo
	v_sub_co_u32 v17, s3, 0, v17
	v_sub_co_ci_u32_e64 v18, null, 0, 0, s3
	v_mov_b32_e32 v12, 0
	s_mov_b32 s3, 0
.LBB41_31:                              ; =>This Inner Loop Header: Depth=1
	global_load_dwordx2 v[23:24], v[15:16], off
	s_clause 0x1
	global_load_dwordx4 v[19:22], v[9:10], off offset:16
	global_load_dwordx4 v[28:31], v[9:10], off
	s_waitcnt vmcnt(2)
	v_sub_co_u32 v23, vcc_lo, v23, v1
	v_sub_co_ci_u32_e64 v24, null, v24, v2, vcc_lo
	v_lshlrev_b64 v[23:24], 4, v[23:24]
	v_add_co_u32 v23, vcc_lo, s6, v23
	v_add_co_ci_u32_e64 v24, null, s7, v24, vcc_lo
	global_load_dwordx4 v[32:35], v[23:24], off
	s_clause 0x1
	global_load_dwordx4 v[36:39], v[9:10], off offset:32
	global_load_dwordx4 v[40:43], v[9:10], off offset:48
	v_add_co_u32 v9, vcc_lo, 0x200, v9
	v_add_co_ci_u32_e64 v10, null, 0, v10, vcc_lo
	v_add_co_u32 v5, vcc_lo, v5, 8
	v_add_co_ci_u32_e64 v6, null, 0, v6, vcc_lo
	;; [unrolled: 2-line block ×4, first 2 shown]
	v_cmp_eq_u64_e32 vcc_lo, 0, v[17:18]
	s_or_b32 s3, vcc_lo, s3
	s_waitcnt vmcnt(2)
	v_fmac_f32_e32 v12, v28, v32
	v_fmac_f32_e32 v27, v29, v32
	;; [unrolled: 1-line block ×8, first 2 shown]
	s_waitcnt vmcnt(1)
	v_fmac_f32_e32 v12, v36, v34
	v_fmac_f32_e32 v27, v37, v34
	;; [unrolled: 1-line block ×4, first 2 shown]
	s_waitcnt vmcnt(0)
	v_fmac_f32_e32 v12, v40, v35
	v_fmac_f32_e32 v27, v41, v35
	v_fmac_f32_e32 v26, v42, v35
	v_fmac_f32_e32 v25, v43, v35
	s_andn2_b32 exec_lo, exec_lo, s3
	s_cbranch_execnz .LBB41_31
; %bb.32:
	s_or_b32 exec_lo, exec_lo, s3
.LBB41_33:
	s_or_b32 exec_lo, exec_lo, s0
	s_mov_b32 s3, exec_lo
	v_cmpx_lt_u64_e32 23, v[13:14]
	s_cbranch_execz .LBB41_37
; %bb.34:
	v_lshlrev_b64 v[13:14], 3, v[5:6]
	s_mov_b32 s8, 0
	v_add_co_u32 v11, vcc_lo, s12, v13
	v_add_co_ci_u32_e64 v14, null, s13, v14, vcc_lo
	v_add_co_u32 v13, vcc_lo, 0x80, v11
	v_add_co_ci_u32_e64 v14, null, 0, v14, vcc_lo
.LBB41_35:                              ; =>This Inner Loop Header: Depth=1
	s_clause 0x1
	global_load_dwordx2 v[23:24], v[13:14], off offset:-128
	global_load_dwordx2 v[52:53], v[13:14], off offset:-64
	s_clause 0x7
	global_load_dwordx4 v[15:18], v[9:10], off offset:48
	global_load_dwordx4 v[19:22], v[9:10], off offset:32
	;; [unrolled: 1-line block ×3, first 2 shown]
	global_load_dwordx4 v[32:35], v[9:10], off
	global_load_dwordx4 v[36:39], v[9:10], off offset:560
	global_load_dwordx4 v[40:43], v[9:10], off offset:544
	global_load_dwordx4 v[44:47], v[9:10], off offset:528
	global_load_dwordx4 v[48:51], v[9:10], off offset:512
	s_clause 0x1
	global_load_dwordx2 v[60:61], v[13:14], off
	global_load_dwordx2 v[62:63], v[13:14], off offset:64
	s_waitcnt vmcnt(11)
	v_sub_co_u32 v23, vcc_lo, v23, v1
	v_sub_co_ci_u32_e64 v24, null, v24, v2, vcc_lo
	s_waitcnt vmcnt(10)
	v_sub_co_u32 v52, vcc_lo, v52, v1
	v_sub_co_ci_u32_e64 v53, null, v53, v2, vcc_lo
	v_lshlrev_b64 v[23:24], 4, v[23:24]
	v_lshlrev_b64 v[52:53], 4, v[52:53]
	v_add_co_u32 v23, vcc_lo, s6, v23
	v_add_co_ci_u32_e64 v24, null, s7, v24, vcc_lo
	v_add_co_u32 v56, vcc_lo, s6, v52
	v_add_co_ci_u32_e64 v57, null, s7, v53, vcc_lo
	s_clause 0x1
	global_load_dwordx4 v[52:55], v[23:24], off
	global_load_dwordx4 v[56:59], v[56:57], off
	s_waitcnt vmcnt(3)
	v_sub_co_u32 v23, vcc_lo, v60, v1
	v_sub_co_ci_u32_e64 v24, null, v61, v2, vcc_lo
	v_lshlrev_b64 v[23:24], 4, v[23:24]
	v_add_co_u32 v23, s0, s6, v23
	v_add_co_ci_u32_e64 v24, null, s7, v24, s0
	s_waitcnt vmcnt(1)
	v_fmac_f32_e32 v12, v32, v52
	v_fmac_f32_e32 v27, v33, v52
	v_fmac_f32_e32 v26, v34, v52
	v_fmac_f32_e32 v25, v35, v52
	global_load_dwordx4 v[32:35], v[9:10], off offset:1072
	v_fmac_f32_e32 v12, v28, v53
	v_fmac_f32_e32 v27, v29, v53
	v_fmac_f32_e32 v26, v30, v53
	v_fmac_f32_e32 v25, v31, v53
	global_load_dwordx4 v[28:31], v[9:10], off offset:1056
	;; [unrolled: 5-line block ×4, first 2 shown]
	s_waitcnt vmcnt(4)
	v_fmac_f32_e32 v12, v48, v56
	v_fmac_f32_e32 v27, v49, v56
	;; [unrolled: 1-line block ×4, first 2 shown]
	v_sub_co_u32 v56, vcc_lo, v62, v1
	v_fmac_f32_e32 v12, v44, v57
	v_fmac_f32_e32 v27, v45, v57
	;; [unrolled: 1-line block ×4, first 2 shown]
	global_load_dwordx4 v[44:47], v[23:24], off
	v_sub_co_ci_u32_e64 v57, null, v63, v2, vcc_lo
	s_clause 0x1
	global_load_dwordx4 v[52:55], v[9:10], off offset:1552
	global_load_dwordx4 v[48:51], v[9:10], off offset:1536
	v_fmac_f32_e32 v12, v40, v58
	v_lshlrev_b64 v[23:24], 4, v[56:57]
	v_fmac_f32_e32 v27, v41, v58
	v_fmac_f32_e32 v26, v42, v58
	;; [unrolled: 1-line block ×3, first 2 shown]
	global_load_dwordx4 v[40:43], v[9:10], off offset:1568
	v_fmac_f32_e32 v12, v36, v59
	v_add_co_u32 v23, vcc_lo, s6, v23
	v_add_co_ci_u32_e64 v24, null, s7, v24, vcc_lo
	v_fmac_f32_e32 v27, v37, v59
	v_fmac_f32_e32 v26, v38, v59
	;; [unrolled: 1-line block ×3, first 2 shown]
	global_load_dwordx4 v[60:63], v[23:24], off
	global_load_dwordx4 v[36:39], v[9:10], off offset:1584
	v_add_co_u32 v9, vcc_lo, 0x800, v9
	v_add_co_ci_u32_e64 v10, null, 0, v10, vcc_lo
	v_add_co_u32 v5, vcc_lo, v5, 32
	v_add_co_ci_u32_e64 v6, null, 0, v6, vcc_lo
	;; [unrolled: 2-line block ×3, first 2 shown]
	v_cmp_ge_i64_e32 vcc_lo, v[5:6], v[7:8]
	s_or_b32 s8, vcc_lo, s8
	s_waitcnt vmcnt(5)
	v_fmac_f32_e32 v12, v15, v44
	v_fmac_f32_e32 v27, v16, v44
	;; [unrolled: 1-line block ×16, first 2 shown]
	s_waitcnt vmcnt(1)
	v_fmac_f32_e32 v12, v48, v60
	v_fmac_f32_e32 v27, v49, v60
	;; [unrolled: 1-line block ×12, first 2 shown]
	s_waitcnt vmcnt(0)
	v_fmac_f32_e32 v12, v36, v63
	v_fmac_f32_e32 v27, v37, v63
	;; [unrolled: 1-line block ×4, first 2 shown]
	s_andn2_b32 exec_lo, exec_lo, s8
	s_cbranch_execnz .LBB41_35
; %bb.36:
	s_or_b32 exec_lo, exec_lo, s8
.LBB41_37:
	s_or_b32 exec_lo, exec_lo, s3
.LBB41_38:
	s_or_b32 exec_lo, exec_lo, s1
.LBB41_39:
	v_mbcnt_lo_u32_b32 v1, -1, 0
	s_mov_b32 s3, -1
	v_xor_b32_e32 v2, 4, v1
	v_xor_b32_e32 v8, 2, v1
	v_cmp_gt_i32_e32 vcc_lo, 32, v2
	v_cndmask_b32_e32 v2, v1, v2, vcc_lo
	v_cmp_gt_i32_e32 vcc_lo, 32, v8
	v_lshlrev_b32_e32 v2, 2, v2
	v_cndmask_b32_e32 v8, v1, v8, vcc_lo
	ds_bpermute_b32 v5, v2, v12
	ds_bpermute_b32 v6, v2, v27
	;; [unrolled: 1-line block ×4, first 2 shown]
	v_lshlrev_b32_e32 v8, 2, v8
	s_waitcnt lgkmcnt(3)
	v_add_f32_e32 v5, v12, v5
	s_waitcnt lgkmcnt(2)
	v_add_f32_e32 v6, v27, v6
	;; [unrolled: 2-line block ×4, first 2 shown]
	v_xor_b32_e32 v12, 1, v1
	ds_bpermute_b32 v2, v8, v5
	ds_bpermute_b32 v10, v8, v6
	;; [unrolled: 1-line block ×4, first 2 shown]
	v_cmp_gt_i32_e32 vcc_lo, 32, v12
	v_cndmask_b32_e32 v1, v1, v12, vcc_lo
	v_cmp_eq_u32_e32 vcc_lo, 7, v0
	v_lshlrev_b32_e32 v12, 2, v1
	s_waitcnt lgkmcnt(3)
	v_add_f32_e32 v1, v5, v2
	s_waitcnt lgkmcnt(2)
	v_add_f32_e32 v2, v6, v10
	;; [unrolled: 2-line block ×4, first 2 shown]
	ds_bpermute_b32 v7, v12, v1
	ds_bpermute_b32 v8, v12, v2
	ds_bpermute_b32 v9, v12, v5
	ds_bpermute_b32 v10, v12, v6
	s_and_b32 exec_lo, exec_lo, vcc_lo
	s_cbranch_execz .LBB41_10
; %bb.40:
	s_load_dwordx2 s[0:1], s[4:5], 0x58
	s_waitcnt lgkmcnt(0)
	v_add_f32_e32 v0, v1, v7
	v_add_f32_e32 v1, v2, v8
	v_add_f32_e32 v2, v5, v9
	v_add_f32_e32 v6, v6, v10
	v_cmp_eq_f32_e64 s4, s2, 0
	v_lshlrev_b64 v[4:5], 4, v[3:4]
	v_mul_f32_e32 v0, s16, v0
	v_mul_f32_e32 v1, s16, v1
	;; [unrolled: 1-line block ×4, first 2 shown]
	s_and_b32 vcc_lo, exec_lo, s4
	s_cbranch_vccz .LBB41_42
; %bb.41:
	v_add_co_u32 v6, vcc_lo, s0, v4
	v_add_co_ci_u32_e64 v7, null, s1, v5, vcc_lo
	s_mov_b32 s3, 0
	global_store_dwordx4 v[6:7], v[0:3], off
.LBB41_42:
	s_andn2_b32 vcc_lo, exec_lo, s3
	s_cbranch_vccnz .LBB41_10
; %bb.43:
	v_add_co_u32 v8, vcc_lo, s0, v4
	v_add_co_ci_u32_e64 v9, null, s1, v5, vcc_lo
	global_load_dwordx4 v[4:7], v[8:9], off
	s_waitcnt vmcnt(0)
	v_fmac_f32_e32 v0, s2, v4
	v_fmac_f32_e32 v1, s2, v5
	v_fmac_f32_e32 v2, s2, v6
	v_fmac_f32_e32 v3, s2, v7
	global_store_dwordx4 v[8:9], v[0:3], off
	s_endpgm
	.section	.rodata,"a",@progbits
	.p2align	6, 0x0
	.amdhsa_kernel _ZN9rocsparseL18bsrxmvn_4x4_kernelILj128ELj8EfllfffEEvT3_20rocsparse_direction_NS_24const_host_device_scalarIT1_EES1_PKS1_PKT2_SA_S7_PKT4_PKT5_S5_PT6_21rocsparse_index_base_b
		.amdhsa_group_segment_fixed_size 0
		.amdhsa_private_segment_fixed_size 0
		.amdhsa_kernarg_size 104
		.amdhsa_user_sgpr_count 6
		.amdhsa_user_sgpr_private_segment_buffer 1
		.amdhsa_user_sgpr_dispatch_ptr 0
		.amdhsa_user_sgpr_queue_ptr 0
		.amdhsa_user_sgpr_kernarg_segment_ptr 1
		.amdhsa_user_sgpr_dispatch_id 0
		.amdhsa_user_sgpr_flat_scratch_init 0
		.amdhsa_user_sgpr_private_segment_size 0
		.amdhsa_wavefront_size32 1
		.amdhsa_uses_dynamic_stack 0
		.amdhsa_system_sgpr_private_segment_wavefront_offset 0
		.amdhsa_system_sgpr_workgroup_id_x 1
		.amdhsa_system_sgpr_workgroup_id_y 0
		.amdhsa_system_sgpr_workgroup_id_z 0
		.amdhsa_system_sgpr_workgroup_info 0
		.amdhsa_system_vgpr_workitem_id 0
		.amdhsa_next_free_vgpr 68
		.amdhsa_next_free_sgpr 20
		.amdhsa_reserve_vcc 1
		.amdhsa_reserve_flat_scratch 0
		.amdhsa_float_round_mode_32 0
		.amdhsa_float_round_mode_16_64 0
		.amdhsa_float_denorm_mode_32 3
		.amdhsa_float_denorm_mode_16_64 3
		.amdhsa_dx10_clamp 1
		.amdhsa_ieee_mode 1
		.amdhsa_fp16_overflow 0
		.amdhsa_workgroup_processor_mode 1
		.amdhsa_memory_ordered 1
		.amdhsa_forward_progress 1
		.amdhsa_shared_vgpr_count 0
		.amdhsa_exception_fp_ieee_invalid_op 0
		.amdhsa_exception_fp_denorm_src 0
		.amdhsa_exception_fp_ieee_div_zero 0
		.amdhsa_exception_fp_ieee_overflow 0
		.amdhsa_exception_fp_ieee_underflow 0
		.amdhsa_exception_fp_ieee_inexact 0
		.amdhsa_exception_int_div_zero 0
	.end_amdhsa_kernel
	.section	.text._ZN9rocsparseL18bsrxmvn_4x4_kernelILj128ELj8EfllfffEEvT3_20rocsparse_direction_NS_24const_host_device_scalarIT1_EES1_PKS1_PKT2_SA_S7_PKT4_PKT5_S5_PT6_21rocsparse_index_base_b,"axG",@progbits,_ZN9rocsparseL18bsrxmvn_4x4_kernelILj128ELj8EfllfffEEvT3_20rocsparse_direction_NS_24const_host_device_scalarIT1_EES1_PKS1_PKT2_SA_S7_PKT4_PKT5_S5_PT6_21rocsparse_index_base_b,comdat
.Lfunc_end41:
	.size	_ZN9rocsparseL18bsrxmvn_4x4_kernelILj128ELj8EfllfffEEvT3_20rocsparse_direction_NS_24const_host_device_scalarIT1_EES1_PKS1_PKT2_SA_S7_PKT4_PKT5_S5_PT6_21rocsparse_index_base_b, .Lfunc_end41-_ZN9rocsparseL18bsrxmvn_4x4_kernelILj128ELj8EfllfffEEvT3_20rocsparse_direction_NS_24const_host_device_scalarIT1_EES1_PKS1_PKT2_SA_S7_PKT4_PKT5_S5_PT6_21rocsparse_index_base_b
                                        ; -- End function
	.set _ZN9rocsparseL18bsrxmvn_4x4_kernelILj128ELj8EfllfffEEvT3_20rocsparse_direction_NS_24const_host_device_scalarIT1_EES1_PKS1_PKT2_SA_S7_PKT4_PKT5_S5_PT6_21rocsparse_index_base_b.num_vgpr, 68
	.set _ZN9rocsparseL18bsrxmvn_4x4_kernelILj128ELj8EfllfffEEvT3_20rocsparse_direction_NS_24const_host_device_scalarIT1_EES1_PKS1_PKT2_SA_S7_PKT4_PKT5_S5_PT6_21rocsparse_index_base_b.num_agpr, 0
	.set _ZN9rocsparseL18bsrxmvn_4x4_kernelILj128ELj8EfllfffEEvT3_20rocsparse_direction_NS_24const_host_device_scalarIT1_EES1_PKS1_PKT2_SA_S7_PKT4_PKT5_S5_PT6_21rocsparse_index_base_b.numbered_sgpr, 20
	.set _ZN9rocsparseL18bsrxmvn_4x4_kernelILj128ELj8EfllfffEEvT3_20rocsparse_direction_NS_24const_host_device_scalarIT1_EES1_PKS1_PKT2_SA_S7_PKT4_PKT5_S5_PT6_21rocsparse_index_base_b.num_named_barrier, 0
	.set _ZN9rocsparseL18bsrxmvn_4x4_kernelILj128ELj8EfllfffEEvT3_20rocsparse_direction_NS_24const_host_device_scalarIT1_EES1_PKS1_PKT2_SA_S7_PKT4_PKT5_S5_PT6_21rocsparse_index_base_b.private_seg_size, 0
	.set _ZN9rocsparseL18bsrxmvn_4x4_kernelILj128ELj8EfllfffEEvT3_20rocsparse_direction_NS_24const_host_device_scalarIT1_EES1_PKS1_PKT2_SA_S7_PKT4_PKT5_S5_PT6_21rocsparse_index_base_b.uses_vcc, 1
	.set _ZN9rocsparseL18bsrxmvn_4x4_kernelILj128ELj8EfllfffEEvT3_20rocsparse_direction_NS_24const_host_device_scalarIT1_EES1_PKS1_PKT2_SA_S7_PKT4_PKT5_S5_PT6_21rocsparse_index_base_b.uses_flat_scratch, 0
	.set _ZN9rocsparseL18bsrxmvn_4x4_kernelILj128ELj8EfllfffEEvT3_20rocsparse_direction_NS_24const_host_device_scalarIT1_EES1_PKS1_PKT2_SA_S7_PKT4_PKT5_S5_PT6_21rocsparse_index_base_b.has_dyn_sized_stack, 0
	.set _ZN9rocsparseL18bsrxmvn_4x4_kernelILj128ELj8EfllfffEEvT3_20rocsparse_direction_NS_24const_host_device_scalarIT1_EES1_PKS1_PKT2_SA_S7_PKT4_PKT5_S5_PT6_21rocsparse_index_base_b.has_recursion, 0
	.set _ZN9rocsparseL18bsrxmvn_4x4_kernelILj128ELj8EfllfffEEvT3_20rocsparse_direction_NS_24const_host_device_scalarIT1_EES1_PKS1_PKT2_SA_S7_PKT4_PKT5_S5_PT6_21rocsparse_index_base_b.has_indirect_call, 0
	.section	.AMDGPU.csdata,"",@progbits
; Kernel info:
; codeLenInByte = 3572
; TotalNumSgprs: 22
; NumVgprs: 68
; ScratchSize: 0
; MemoryBound: 0
; FloatMode: 240
; IeeeMode: 1
; LDSByteSize: 0 bytes/workgroup (compile time only)
; SGPRBlocks: 0
; VGPRBlocks: 8
; NumSGPRsForWavesPerEU: 22
; NumVGPRsForWavesPerEU: 68
; Occupancy: 12
; WaveLimiterHint : 1
; COMPUTE_PGM_RSRC2:SCRATCH_EN: 0
; COMPUTE_PGM_RSRC2:USER_SGPR: 6
; COMPUTE_PGM_RSRC2:TRAP_HANDLER: 0
; COMPUTE_PGM_RSRC2:TGID_X_EN: 1
; COMPUTE_PGM_RSRC2:TGID_Y_EN: 0
; COMPUTE_PGM_RSRC2:TGID_Z_EN: 0
; COMPUTE_PGM_RSRC2:TIDIG_COMP_CNT: 0
	.section	.text._ZN9rocsparseL18bsrxmvn_4x4_kernelILj128ELj16EfllfffEEvT3_20rocsparse_direction_NS_24const_host_device_scalarIT1_EES1_PKS1_PKT2_SA_S7_PKT4_PKT5_S5_PT6_21rocsparse_index_base_b,"axG",@progbits,_ZN9rocsparseL18bsrxmvn_4x4_kernelILj128ELj16EfllfffEEvT3_20rocsparse_direction_NS_24const_host_device_scalarIT1_EES1_PKS1_PKT2_SA_S7_PKT4_PKT5_S5_PT6_21rocsparse_index_base_b,comdat
	.globl	_ZN9rocsparseL18bsrxmvn_4x4_kernelILj128ELj16EfllfffEEvT3_20rocsparse_direction_NS_24const_host_device_scalarIT1_EES1_PKS1_PKT2_SA_S7_PKT4_PKT5_S5_PT6_21rocsparse_index_base_b ; -- Begin function _ZN9rocsparseL18bsrxmvn_4x4_kernelILj128ELj16EfllfffEEvT3_20rocsparse_direction_NS_24const_host_device_scalarIT1_EES1_PKS1_PKT2_SA_S7_PKT4_PKT5_S5_PT6_21rocsparse_index_base_b
	.p2align	8
	.type	_ZN9rocsparseL18bsrxmvn_4x4_kernelILj128ELj16EfllfffEEvT3_20rocsparse_direction_NS_24const_host_device_scalarIT1_EES1_PKS1_PKT2_SA_S7_PKT4_PKT5_S5_PT6_21rocsparse_index_base_b,@function
_ZN9rocsparseL18bsrxmvn_4x4_kernelILj128ELj16EfllfffEEvT3_20rocsparse_direction_NS_24const_host_device_scalarIT1_EES1_PKS1_PKT2_SA_S7_PKT4_PKT5_S5_PT6_21rocsparse_index_base_b: ; @_ZN9rocsparseL18bsrxmvn_4x4_kernelILj128ELj16EfllfffEEvT3_20rocsparse_direction_NS_24const_host_device_scalarIT1_EES1_PKS1_PKT2_SA_S7_PKT4_PKT5_S5_PT6_21rocsparse_index_base_b
; %bb.0:
	s_clause 0x2
	s_load_dwordx2 s[0:1], s[4:5], 0x60
	s_load_dwordx4 s[16:19], s[4:5], 0x10
	s_load_dwordx2 s[2:3], s[4:5], 0x50
	s_waitcnt lgkmcnt(0)
	s_bitcmp1_b32 s1, 0
	s_cselect_b32 s1, -1, 0
	s_and_b32 vcc_lo, exec_lo, s1
	s_xor_b32 s1, s1, -1
	s_cbranch_vccnz .LBB42_2
; %bb.1:
	s_load_dword s16, s[16:17], 0x0
.LBB42_2:
	s_andn2_b32 vcc_lo, exec_lo, s1
	s_cbranch_vccnz .LBB42_4
; %bb.3:
	s_load_dword s2, s[2:3], 0x0
.LBB42_4:
	s_waitcnt lgkmcnt(0)
	v_cmp_neq_f32_e64 s1, s16, 0
	v_cmp_neq_f32_e64 s3, s2, 1.0
	s_or_b32 s1, s1, s3
	s_mov_b32 s3, 0
	s_andn2_b32 vcc_lo, exec_lo, s1
	s_cbranch_vccnz .LBB42_10
; %bb.5:
	s_load_dwordx2 s[8:9], s[4:5], 0x20
	v_lshrrev_b32_e32 v1, 4, v0
	v_mov_b32_e32 v6, 0
	v_lshl_or_b32 v5, s6, 3, v1
	s_waitcnt lgkmcnt(0)
	s_cmp_lg_u64 s[8:9], 0
	s_cbranch_scc0 .LBB42_11
; %bb.6:
	s_mov_b32 s6, 0
                                        ; implicit-def: $vgpr3_vgpr4
                                        ; implicit-def: $vgpr1_vgpr2
	s_mov_b32 s1, exec_lo
	v_cmpx_gt_i64_e64 s[18:19], v[5:6]
	s_xor_b32 s7, exec_lo, s1
	s_cbranch_execz .LBB42_8
; %bb.7:
	v_lshlrev_b64 v[1:2], 3, v[5:6]
	s_mov_b32 s1, 0
	s_mov_b32 s3, exec_lo
	v_add_co_u32 v1, vcc_lo, s8, v1
	v_add_co_ci_u32_e64 v2, null, s9, v2, vcc_lo
	global_load_dwordx2 v[1:2], v[1:2], off
	s_waitcnt vmcnt(0)
	v_sub_co_u32 v3, vcc_lo, v1, s0
	v_subrev_co_ci_u32_e64 v4, null, 0, v2, vcc_lo
	v_mov_b32_e32 v2, s1
	v_mov_b32_e32 v1, s0
.LBB42_8:
	s_or_b32 exec_lo, exec_lo, s7
	s_and_b32 vcc_lo, exec_lo, s6
	s_cbranch_vccnz .LBB42_12
.LBB42_9:
	s_and_saveexec_b32 s0, s3
	s_cbranch_execnz .LBB42_15
.LBB42_10:
	s_endpgm
.LBB42_11:
                                        ; implicit-def: $vgpr3_vgpr4
                                        ; implicit-def: $vgpr1_vgpr2
	s_cbranch_execz .LBB42_9
.LBB42_12:
	s_load_dwordx2 s[6:7], s[4:5], 0x0
	s_waitcnt lgkmcnt(0)
	v_cmp_gt_i64_e32 vcc_lo, s[6:7], v[5:6]
	s_and_saveexec_b32 s6, vcc_lo
; %bb.13:
	s_mov_b32 s1, 0
	s_or_b32 s3, s3, exec_lo
; %bb.14:
	s_or_b32 exec_lo, exec_lo, s6
	v_mov_b32_e32 v2, s1
	v_mov_b32_e32 v3, v5
	;; [unrolled: 1-line block ×4, first 2 shown]
	s_and_saveexec_b32 s0, s3
	s_cbranch_execz .LBB42_10
.LBB42_15:
	s_load_dwordx8 s[8:15], s[4:5], 0x28
	v_lshlrev_b64 v[5:6], 3, v[3:4]
	v_and_b32_e32 v0, 15, v0
	s_clause 0x1
	s_load_dword s1, s[4:5], 0x8
	s_load_dwordx2 s[6:7], s[4:5], 0x48
	v_mov_b32_e32 v25, 0
	s_waitcnt lgkmcnt(0)
	v_add_co_u32 v7, vcc_lo, s8, v5
	v_add_co_ci_u32_e64 v8, null, s9, v6, vcc_lo
	v_add_co_u32 v5, vcc_lo, s10, v5
	v_add_co_ci_u32_e64 v6, null, s11, v6, vcc_lo
	v_add_co_u32 v9, vcc_lo, v7, 8
	global_load_dwordx2 v[13:14], v[7:8], off
	v_add_co_ci_u32_e64 v10, null, 0, v8, vcc_lo
	s_cmp_eq_u64 s[10:11], 0
	s_cselect_b32 vcc_lo, -1, 0
	s_cmp_eq_u32 s1, 1
	v_cndmask_b32_e32 v6, v6, v10, vcc_lo
	v_cndmask_b32_e32 v5, v5, v9, vcc_lo
	global_load_dwordx2 v[7:8], v[5:6], off
	s_waitcnt vmcnt(1)
	v_sub_co_u32 v5, vcc_lo, v13, v1
	v_sub_co_ci_u32_e64 v6, null, v14, v2, vcc_lo
	v_add_co_u32 v5, vcc_lo, v5, v0
	v_add_co_ci_u32_e64 v6, null, 0, v6, vcc_lo
	v_lshlrev_b64 v[9:10], 6, v[5:6]
	s_waitcnt vmcnt(0)
	v_sub_co_u32 v7, vcc_lo, v7, v1
	v_sub_co_ci_u32_e64 v8, null, v8, v2, vcc_lo
	v_add_co_u32 v9, vcc_lo, s14, v9
	v_cmp_lt_i64_e64 s0, v[5:6], v[7:8]
	v_add_co_ci_u32_e64 v10, null, s15, v10, vcc_lo
	s_cbranch_scc1 .LBB42_27
; %bb.16:
	v_mov_b32_e32 v26, 0
	v_mov_b32_e32 v27, 0
	;; [unrolled: 1-line block ×3, first 2 shown]
	s_and_saveexec_b32 s3, s0
	s_cbranch_execz .LBB42_26
; %bb.17:
	v_or_b32_e32 v11, 16, v0
	v_not_b32_e32 v16, v13
	v_sub_co_u32 v17, s1, v1, v0
	v_not_b32_e32 v15, v14
	v_sub_co_u32 v11, vcc_lo, v11, v1
	v_sub_co_ci_u32_e64 v12, null, 0, v2, vcc_lo
	v_subrev_co_ci_u32_e64 v18, null, 0, v2, s1
	v_add_co_u32 v11, vcc_lo, v11, v13
	v_add_co_ci_u32_e64 v12, null, v12, v14, vcc_lo
	s_mov_b32 s1, exec_lo
	v_cmp_gt_i64_e32 vcc_lo, v[11:12], v[7:8]
	v_cndmask_b32_e32 v20, v8, v12, vcc_lo
	v_cndmask_b32_e32 v11, v7, v11, vcc_lo
	v_add_co_u32 v12, vcc_lo, v17, v16
	v_add_co_ci_u32_e64 v15, null, v18, v15, vcc_lo
	v_mov_b32_e32 v18, v10
	v_add_co_u32 v19, vcc_lo, v12, v11
	v_mov_b32_e32 v12, 0
	v_add_co_ci_u32_e64 v20, null, v15, v20, vcc_lo
	v_mov_b32_e32 v16, v6
	v_and_b32_e32 v11, 48, v19
	v_mov_b32_e32 v27, v12
	v_mov_b32_e32 v26, v12
	;; [unrolled: 1-line block ×5, first 2 shown]
	v_cmpx_ne_u64_e32 48, v[11:12]
	s_cbranch_execz .LBB42_21
; %bb.18:
	v_lshrrev_b32_e32 v11, 4, v19
	v_mov_b32_e32 v18, v10
	v_mov_b32_e32 v16, v6
	;; [unrolled: 1-line block ×4, first 2 shown]
	v_add_nc_u32_e32 v21, 1, v11
	v_lshlrev_b64 v[11:12], 3, v[5:6]
	v_mov_b32_e32 v15, v5
	v_mov_b32_e32 v26, 0
	;; [unrolled: 1-line block ×3, first 2 shown]
	v_and_b32_e32 v23, 3, v21
	v_add_co_u32 v21, vcc_lo, s12, v11
	v_add_co_ci_u32_e64 v22, null, s13, v12, vcc_lo
	v_sub_co_u32 v23, s8, 0, v23
	v_sub_co_ci_u32_e64 v24, null, 0, 0, s8
	v_mov_b32_e32 v12, 0
	s_mov_b32 s8, 0
.LBB42_19:                              ; =>This Inner Loop Header: Depth=1
	global_load_dwordx2 v[44:45], v[21:22], off
	s_clause 0x3
	global_load_dwordx4 v[28:31], v[17:18], off offset:48
	global_load_dwordx4 v[32:35], v[17:18], off offset:32
	global_load_dwordx4 v[36:39], v[17:18], off offset:16
	global_load_dwordx4 v[40:43], v[17:18], off
	s_waitcnt vmcnt(4)
	v_sub_co_u32 v44, vcc_lo, v44, v1
	v_sub_co_ci_u32_e64 v45, null, v45, v2, vcc_lo
	v_lshlrev_b64 v[44:45], 4, v[44:45]
	v_add_co_u32 v44, vcc_lo, s6, v44
	v_add_co_ci_u32_e64 v45, null, s7, v45, vcc_lo
	v_add_co_u32 v17, vcc_lo, 0x400, v17
	v_add_co_ci_u32_e64 v18, null, 0, v18, vcc_lo
	global_load_dwordx4 v[44:47], v[44:45], off
	v_add_co_u32 v15, vcc_lo, v15, 16
	v_add_co_ci_u32_e64 v16, null, 0, v16, vcc_lo
	v_add_co_u32 v21, vcc_lo, 0x80, v21
	v_add_co_ci_u32_e64 v22, null, 0, v22, vcc_lo
	;; [unrolled: 2-line block ×3, first 2 shown]
	v_cmp_eq_u64_e32 vcc_lo, 0, v[23:24]
	s_or_b32 s8, vcc_lo, s8
	s_waitcnt vmcnt(0)
	v_fmac_f32_e32 v12, v40, v44
	v_fmac_f32_e32 v27, v36, v44
	;; [unrolled: 1-line block ×16, first 2 shown]
	s_andn2_b32 exec_lo, exec_lo, s8
	s_cbranch_execnz .LBB42_19
; %bb.20:
	s_or_b32 exec_lo, exec_lo, s8
.LBB42_21:
	s_or_b32 exec_lo, exec_lo, s1
	s_mov_b32 s8, exec_lo
	v_cmpx_lt_u64_e32 47, v[19:20]
	s_cbranch_execz .LBB42_25
; %bb.22:
	v_lshlrev_b64 v[19:20], 3, v[15:16]
	s_mov_b32 s9, 0
	v_add_co_u32 v11, vcc_lo, s12, v19
	v_add_co_ci_u32_e64 v20, null, s13, v20, vcc_lo
	v_add_co_u32 v19, vcc_lo, 0x100, v11
	v_add_co_ci_u32_e64 v20, null, 0, v20, vcc_lo
.LBB42_23:                              ; =>This Inner Loop Header: Depth=1
	s_clause 0x1
	global_load_dwordx2 v[56:57], v[19:20], off offset:-256
	global_load_dwordx2 v[58:59], v[19:20], off offset:-128
	s_clause 0x7
	global_load_dwordx4 v[21:24], v[17:18], off offset:48
	global_load_dwordx4 v[28:31], v[17:18], off offset:32
	;; [unrolled: 1-line block ×3, first 2 shown]
	global_load_dwordx4 v[36:39], v[17:18], off
	global_load_dwordx4 v[40:43], v[17:18], off offset:1072
	global_load_dwordx4 v[44:47], v[17:18], off offset:1056
	;; [unrolled: 1-line block ×4, first 2 shown]
	s_clause 0x1
	global_load_dwordx2 v[64:65], v[19:20], off
	global_load_dwordx2 v[66:67], v[19:20], off offset:128
	s_waitcnt vmcnt(11)
	v_sub_co_u32 v56, vcc_lo, v56, v1
	v_sub_co_ci_u32_e64 v57, null, v57, v2, vcc_lo
	s_waitcnt vmcnt(10)
	v_sub_co_u32 v58, vcc_lo, v58, v1
	v_sub_co_ci_u32_e64 v59, null, v59, v2, vcc_lo
	v_lshlrev_b64 v[56:57], 4, v[56:57]
	v_lshlrev_b64 v[58:59], 4, v[58:59]
	v_add_co_u32 v56, vcc_lo, s6, v56
	v_add_co_ci_u32_e64 v57, null, s7, v57, vcc_lo
	v_add_co_u32 v60, vcc_lo, s6, v58
	v_add_co_ci_u32_e64 v61, null, s7, v59, vcc_lo
	s_clause 0x1
	global_load_dwordx4 v[56:59], v[56:57], off
	global_load_dwordx4 v[60:63], v[60:61], off
	v_add_co_u32 v68, vcc_lo, 0x800, v17
	v_add_co_ci_u32_e64 v69, null, 0, v18, vcc_lo
	s_waitcnt vmcnt(3)
	v_sub_co_u32 v64, vcc_lo, v64, v1
	v_sub_co_ci_u32_e64 v65, null, v65, v2, vcc_lo
	s_waitcnt vmcnt(1)
	v_fmac_f32_e32 v25, v21, v56
	v_fmac_f32_e32 v12, v36, v56
	;; [unrolled: 1-line block ×16, first 2 shown]
	s_clause 0x1
	global_load_dwordx4 v[32:35], v[68:69], off offset:48
	global_load_dwordx4 v[28:31], v[68:69], off offset:32
	s_waitcnt vmcnt(2)
	v_fmac_f32_e32 v25, v40, v60
	v_fmac_f32_e32 v12, v52, v60
	;; [unrolled: 1-line block ×4, first 2 shown]
	s_clause 0x1
	global_load_dwordx4 v[21:24], v[68:69], off
	global_load_dwordx4 v[36:39], v[68:69], off offset:16
	v_fmac_f32_e32 v25, v41, v61
	v_lshlrev_b64 v[40:41], 4, v[64:65]
	v_sub_co_u32 v60, vcc_lo, v66, v1
	v_fmac_f32_e32 v12, v53, v61
	v_fmac_f32_e32 v25, v42, v62
	v_fmac_f32_e32 v27, v49, v61
	v_add_co_u32 v40, s1, s6, v40
	v_add_co_ci_u32_e64 v41, null, s7, v41, s1
	v_fmac_f32_e32 v25, v43, v63
	v_fmac_f32_e32 v26, v45, v61
	v_sub_co_ci_u32_e64 v61, null, v67, v2, vcc_lo
	global_load_dwordx4 v[40:43], v[40:41], off
	v_fmac_f32_e32 v12, v54, v62
	v_fmac_f32_e32 v27, v50, v62
	v_lshlrev_b64 v[60:61], 4, v[60:61]
	v_fmac_f32_e32 v26, v46, v62
	global_load_dwordx4 v[56:59], v[68:69], off offset:1024
	v_fmac_f32_e32 v12, v55, v63
	global_load_dwordx4 v[52:55], v[68:69], off offset:1072
	v_fmac_f32_e32 v27, v51, v63
	v_add_co_u32 v60, vcc_lo, s6, v60
	v_add_co_ci_u32_e64 v61, null, s7, v61, vcc_lo
	global_load_dwordx4 v[48:51], v[68:69], off offset:1056
	v_fmac_f32_e32 v26, v47, v63
	global_load_dwordx4 v[44:47], v[68:69], off offset:1040
	global_load_dwordx4 v[60:63], v[60:61], off
	v_add_co_u32 v15, s1, v15, 64
	v_add_co_ci_u32_e64 v16, null, 0, v16, s1
	v_add_co_u32 v17, vcc_lo, 0x1000, v17
	v_add_co_ci_u32_e64 v18, null, 0, v18, vcc_lo
	v_cmp_ge_i64_e32 vcc_lo, v[15:16], v[7:8]
	v_add_co_u32 v19, s1, 0x200, v19
	v_add_co_ci_u32_e64 v20, null, 0, v20, s1
	s_or_b32 s9, vcc_lo, s9
	s_waitcnt vmcnt(5)
	v_fmac_f32_e32 v12, v21, v40
	v_fmac_f32_e32 v27, v36, v40
	;; [unrolled: 1-line block ×16, first 2 shown]
	s_waitcnt vmcnt(0)
	v_fmac_f32_e32 v12, v56, v60
	v_fmac_f32_e32 v27, v44, v60
	;; [unrolled: 1-line block ×16, first 2 shown]
	s_andn2_b32 exec_lo, exec_lo, s9
	s_cbranch_execnz .LBB42_23
; %bb.24:
	s_or_b32 exec_lo, exec_lo, s9
.LBB42_25:
	s_or_b32 exec_lo, exec_lo, s8
.LBB42_26:
	s_or_b32 exec_lo, exec_lo, s3
	s_cbranch_execz .LBB42_28
	s_branch .LBB42_39
.LBB42_27:
                                        ; implicit-def: $vgpr25
                                        ; implicit-def: $vgpr26
                                        ; implicit-def: $vgpr27
                                        ; implicit-def: $vgpr12
.LBB42_28:
	v_mov_b32_e32 v25, 0
	v_mov_b32_e32 v26, 0
	;; [unrolled: 1-line block ×4, first 2 shown]
	s_and_saveexec_b32 s1, s0
	s_cbranch_execz .LBB42_38
; %bb.29:
	v_or_b32_e32 v11, 16, v0
	v_sub_co_u32 v15, s0, v1, v0
	v_subrev_co_ci_u32_e64 v16, null, 0, v2, s0
	v_sub_co_u32 v11, vcc_lo, v11, v1
	v_sub_co_ci_u32_e64 v12, null, 0, v2, vcc_lo
	s_mov_b32 s0, exec_lo
	v_add_co_u32 v11, vcc_lo, v11, v13
	v_add_co_ci_u32_e64 v12, null, v12, v14, vcc_lo
	v_not_b32_e32 v13, v13
	v_not_b32_e32 v14, v14
	v_cmp_gt_i64_e32 vcc_lo, v[11:12], v[7:8]
	v_cndmask_b32_e32 v17, v8, v12, vcc_lo
	v_cndmask_b32_e32 v11, v7, v11, vcc_lo
	v_add_co_u32 v12, vcc_lo, v15, v13
	v_add_co_ci_u32_e64 v14, null, v16, v14, vcc_lo
	v_add_co_u32 v13, vcc_lo, v12, v11
	v_mov_b32_e32 v12, 0
	v_add_co_ci_u32_e64 v14, null, v14, v17, vcc_lo
	v_and_b32_e32 v11, 48, v13
	v_mov_b32_e32 v27, v12
	v_mov_b32_e32 v26, v12
	;; [unrolled: 1-line block ×3, first 2 shown]
	v_cmpx_ne_u64_e32 48, v[11:12]
	s_cbranch_execz .LBB42_33
; %bb.30:
	v_lshrrev_b32_e32 v11, 4, v13
	v_mov_b32_e32 v25, 0
	v_mov_b32_e32 v26, 0
	;; [unrolled: 1-line block ×3, first 2 shown]
	v_add_nc_u32_e32 v15, 1, v11
	v_lshlrev_b64 v[11:12], 3, v[5:6]
	v_and_b32_e32 v17, 3, v15
	v_add_co_u32 v15, vcc_lo, s12, v11
	v_add_co_ci_u32_e64 v16, null, s13, v12, vcc_lo
	v_sub_co_u32 v17, s3, 0, v17
	v_sub_co_ci_u32_e64 v18, null, 0, 0, s3
	v_mov_b32_e32 v12, 0
	s_mov_b32 s3, 0
.LBB42_31:                              ; =>This Inner Loop Header: Depth=1
	global_load_dwordx2 v[23:24], v[15:16], off
	s_clause 0x1
	global_load_dwordx4 v[19:22], v[9:10], off offset:16
	global_load_dwordx4 v[28:31], v[9:10], off
	s_waitcnt vmcnt(2)
	v_sub_co_u32 v23, vcc_lo, v23, v1
	v_sub_co_ci_u32_e64 v24, null, v24, v2, vcc_lo
	v_lshlrev_b64 v[23:24], 4, v[23:24]
	v_add_co_u32 v23, vcc_lo, s6, v23
	v_add_co_ci_u32_e64 v24, null, s7, v24, vcc_lo
	global_load_dwordx4 v[32:35], v[23:24], off
	s_clause 0x1
	global_load_dwordx4 v[36:39], v[9:10], off offset:32
	global_load_dwordx4 v[40:43], v[9:10], off offset:48
	v_add_co_u32 v9, vcc_lo, 0x400, v9
	v_add_co_ci_u32_e64 v10, null, 0, v10, vcc_lo
	v_add_co_u32 v5, vcc_lo, v5, 16
	v_add_co_ci_u32_e64 v6, null, 0, v6, vcc_lo
	;; [unrolled: 2-line block ×4, first 2 shown]
	v_cmp_eq_u64_e32 vcc_lo, 0, v[17:18]
	s_or_b32 s3, vcc_lo, s3
	s_waitcnt vmcnt(2)
	v_fmac_f32_e32 v12, v28, v32
	v_fmac_f32_e32 v27, v29, v32
	v_fmac_f32_e32 v26, v30, v32
	v_fmac_f32_e32 v25, v31, v32
	v_fmac_f32_e32 v12, v19, v33
	v_fmac_f32_e32 v27, v20, v33
	v_fmac_f32_e32 v26, v21, v33
	v_fmac_f32_e32 v25, v22, v33
	s_waitcnt vmcnt(1)
	v_fmac_f32_e32 v12, v36, v34
	v_fmac_f32_e32 v27, v37, v34
	;; [unrolled: 1-line block ×4, first 2 shown]
	s_waitcnt vmcnt(0)
	v_fmac_f32_e32 v12, v40, v35
	v_fmac_f32_e32 v27, v41, v35
	;; [unrolled: 1-line block ×4, first 2 shown]
	s_andn2_b32 exec_lo, exec_lo, s3
	s_cbranch_execnz .LBB42_31
; %bb.32:
	s_or_b32 exec_lo, exec_lo, s3
.LBB42_33:
	s_or_b32 exec_lo, exec_lo, s0
	s_mov_b32 s0, exec_lo
	v_cmpx_lt_u64_e32 47, v[13:14]
	s_cbranch_execz .LBB42_37
; %bb.34:
	v_lshlrev_b64 v[13:14], 3, v[5:6]
	s_mov_b32 s3, 0
	v_add_co_u32 v11, vcc_lo, s12, v13
	v_add_co_ci_u32_e64 v14, null, s13, v14, vcc_lo
	v_add_co_u32 v13, vcc_lo, 0x100, v11
	v_add_co_ci_u32_e64 v14, null, 0, v14, vcc_lo
.LBB42_35:                              ; =>This Inner Loop Header: Depth=1
	s_clause 0x1
	global_load_dwordx2 v[23:24], v[13:14], off offset:-256
	global_load_dwordx2 v[52:53], v[13:14], off offset:-128
	s_clause 0x7
	global_load_dwordx4 v[15:18], v[9:10], off offset:48
	global_load_dwordx4 v[19:22], v[9:10], off offset:32
	;; [unrolled: 1-line block ×3, first 2 shown]
	global_load_dwordx4 v[32:35], v[9:10], off
	global_load_dwordx4 v[36:39], v[9:10], off offset:1072
	global_load_dwordx4 v[40:43], v[9:10], off offset:1056
	;; [unrolled: 1-line block ×4, first 2 shown]
	s_clause 0x1
	global_load_dwordx2 v[60:61], v[13:14], off
	global_load_dwordx2 v[62:63], v[13:14], off offset:128
	s_waitcnt vmcnt(11)
	v_sub_co_u32 v23, vcc_lo, v23, v1
	v_sub_co_ci_u32_e64 v24, null, v24, v2, vcc_lo
	s_waitcnt vmcnt(10)
	v_sub_co_u32 v52, vcc_lo, v52, v1
	v_sub_co_ci_u32_e64 v53, null, v53, v2, vcc_lo
	v_lshlrev_b64 v[23:24], 4, v[23:24]
	v_lshlrev_b64 v[52:53], 4, v[52:53]
	v_add_co_u32 v23, vcc_lo, s6, v23
	v_add_co_ci_u32_e64 v24, null, s7, v24, vcc_lo
	v_add_co_u32 v56, vcc_lo, s6, v52
	v_add_co_ci_u32_e64 v57, null, s7, v53, vcc_lo
	s_clause 0x1
	global_load_dwordx4 v[52:55], v[23:24], off
	global_load_dwordx4 v[56:59], v[56:57], off
	v_add_co_u32 v23, vcc_lo, 0x800, v9
	v_add_co_ci_u32_e64 v24, null, 0, v10, vcc_lo
	s_waitcnt vmcnt(1)
	v_fmac_f32_e32 v12, v32, v52
	v_sub_co_u32 v32, vcc_lo, v60, v1
	v_fmac_f32_e32 v27, v33, v52
	v_sub_co_ci_u32_e64 v33, null, v61, v2, vcc_lo
	v_fmac_f32_e32 v26, v34, v52
	v_fmac_f32_e32 v25, v35, v52
	v_sub_co_u32 v34, vcc_lo, v62, v1
	v_sub_co_ci_u32_e64 v35, null, v63, v2, vcc_lo
	v_lshlrev_b64 v[32:33], 4, v[32:33]
	v_fmac_f32_e32 v12, v28, v53
	v_fmac_f32_e32 v27, v29, v53
	;; [unrolled: 1-line block ×4, first 2 shown]
	v_lshlrev_b64 v[34:35], 4, v[34:35]
	v_add_co_u32 v32, vcc_lo, s6, v32
	v_fmac_f32_e32 v12, v19, v54
	v_fmac_f32_e32 v27, v20, v54
	;; [unrolled: 1-line block ×4, first 2 shown]
	v_add_co_ci_u32_e64 v33, null, s7, v33, vcc_lo
	v_add_co_u32 v60, vcc_lo, s6, v34
	s_clause 0x1
	global_load_dwordx4 v[28:31], v[23:24], off
	global_load_dwordx4 v[19:22], v[23:24], off offset:48
	v_fmac_f32_e32 v12, v15, v55
	v_fmac_f32_e32 v27, v16, v55
	;; [unrolled: 1-line block ×4, first 2 shown]
	global_load_dwordx4 v[15:18], v[23:24], off offset:32
	v_add_co_ci_u32_e64 v61, null, s7, v35, vcc_lo
	global_load_dwordx4 v[32:35], v[32:33], off
	global_load_dwordx4 v[52:55], v[23:24], off offset:16
	s_waitcnt vmcnt(5)
	v_fmac_f32_e32 v12, v48, v56
	v_fmac_f32_e32 v27, v49, v56
	;; [unrolled: 1-line block ×4, first 2 shown]
	global_load_dwordx4 v[48:51], v[23:24], off offset:1040
	v_fmac_f32_e32 v12, v44, v57
	v_fmac_f32_e32 v27, v45, v57
	;; [unrolled: 1-line block ×4, first 2 shown]
	global_load_dwordx4 v[44:47], v[23:24], off offset:1024
	v_fmac_f32_e32 v12, v40, v58
	v_fmac_f32_e32 v27, v41, v58
	;; [unrolled: 1-line block ×4, first 2 shown]
	global_load_dwordx4 v[40:43], v[60:61], off
	v_fmac_f32_e32 v12, v36, v59
	v_fmac_f32_e32 v27, v37, v59
	;; [unrolled: 1-line block ×4, first 2 shown]
	s_clause 0x1
	global_load_dwordx4 v[36:39], v[23:24], off offset:1056
	global_load_dwordx4 v[56:59], v[23:24], off offset:1072
	v_add_co_u32 v5, vcc_lo, v5, 64
	v_add_co_ci_u32_e64 v6, null, 0, v6, vcc_lo
	v_add_co_u32 v13, vcc_lo, 0x200, v13
	v_add_co_ci_u32_e64 v14, null, 0, v14, vcc_lo
	;; [unrolled: 2-line block ×3, first 2 shown]
	v_cmp_ge_i64_e32 vcc_lo, v[5:6], v[7:8]
	s_or_b32 s3, vcc_lo, s3
	s_waitcnt vmcnt(6)
	v_fmac_f32_e32 v12, v28, v32
	v_fmac_f32_e32 v27, v29, v32
	;; [unrolled: 1-line block ×4, first 2 shown]
	s_waitcnt vmcnt(5)
	v_fmac_f32_e32 v12, v52, v33
	v_fmac_f32_e32 v27, v53, v33
	;; [unrolled: 1-line block ×12, first 2 shown]
	s_waitcnt vmcnt(2)
	v_fmac_f32_e32 v12, v44, v40
	v_fmac_f32_e32 v27, v45, v40
	;; [unrolled: 1-line block ×8, first 2 shown]
	s_waitcnt vmcnt(1)
	v_fmac_f32_e32 v12, v36, v42
	v_fmac_f32_e32 v27, v37, v42
	;; [unrolled: 1-line block ×4, first 2 shown]
	s_waitcnt vmcnt(0)
	v_fmac_f32_e32 v12, v56, v43
	v_fmac_f32_e32 v27, v57, v43
	;; [unrolled: 1-line block ×4, first 2 shown]
	s_andn2_b32 exec_lo, exec_lo, s3
	s_cbranch_execnz .LBB42_35
; %bb.36:
	s_or_b32 exec_lo, exec_lo, s3
.LBB42_37:
	s_or_b32 exec_lo, exec_lo, s0
.LBB42_38:
	s_or_b32 exec_lo, exec_lo, s1
.LBB42_39:
	v_mbcnt_lo_u32_b32 v1, -1, 0
	s_mov_b32 s3, -1
	v_xor_b32_e32 v2, 8, v1
	v_xor_b32_e32 v8, 4, v1
	v_cmp_gt_i32_e32 vcc_lo, 32, v2
	v_cndmask_b32_e32 v2, v1, v2, vcc_lo
	v_cmp_gt_i32_e32 vcc_lo, 32, v8
	v_lshlrev_b32_e32 v2, 2, v2
	v_cndmask_b32_e32 v8, v1, v8, vcc_lo
	ds_bpermute_b32 v5, v2, v12
	ds_bpermute_b32 v6, v2, v27
	;; [unrolled: 1-line block ×4, first 2 shown]
	v_lshlrev_b32_e32 v8, 2, v8
	s_waitcnt lgkmcnt(3)
	v_add_f32_e32 v5, v12, v5
	s_waitcnt lgkmcnt(2)
	v_add_f32_e32 v6, v27, v6
	;; [unrolled: 2-line block ×4, first 2 shown]
	v_xor_b32_e32 v12, 2, v1
	ds_bpermute_b32 v9, v8, v5
	ds_bpermute_b32 v10, v8, v6
	;; [unrolled: 1-line block ×4, first 2 shown]
	v_cmp_gt_i32_e32 vcc_lo, 32, v12
	v_cndmask_b32_e32 v12, v1, v12, vcc_lo
	v_lshlrev_b32_e32 v12, 2, v12
	s_waitcnt lgkmcnt(3)
	v_add_f32_e32 v5, v5, v9
	s_waitcnt lgkmcnt(2)
	v_add_f32_e32 v6, v6, v10
	s_waitcnt lgkmcnt(1)
	v_add_f32_e32 v7, v7, v11
	s_waitcnt lgkmcnt(0)
	v_add_f32_e32 v8, v2, v8
	ds_bpermute_b32 v2, v12, v5
	ds_bpermute_b32 v9, v12, v6
	ds_bpermute_b32 v10, v12, v7
	ds_bpermute_b32 v11, v12, v8
	v_xor_b32_e32 v12, 1, v1
	v_cmp_gt_i32_e32 vcc_lo, 32, v12
	v_cndmask_b32_e32 v1, v1, v12, vcc_lo
	v_cmp_eq_u32_e32 vcc_lo, 15, v0
	v_lshlrev_b32_e32 v12, 2, v1
	s_waitcnt lgkmcnt(3)
	v_add_f32_e32 v1, v5, v2
	s_waitcnt lgkmcnt(2)
	v_add_f32_e32 v2, v6, v9
	;; [unrolled: 2-line block ×4, first 2 shown]
	ds_bpermute_b32 v7, v12, v1
	ds_bpermute_b32 v8, v12, v2
	;; [unrolled: 1-line block ×4, first 2 shown]
	s_and_b32 exec_lo, exec_lo, vcc_lo
	s_cbranch_execz .LBB42_10
; %bb.40:
	s_load_dwordx2 s[0:1], s[4:5], 0x58
	s_waitcnt lgkmcnt(0)
	v_add_f32_e32 v0, v1, v7
	v_add_f32_e32 v1, v2, v8
	;; [unrolled: 1-line block ×4, first 2 shown]
	v_cmp_eq_f32_e64 s4, s2, 0
	v_lshlrev_b64 v[4:5], 4, v[3:4]
	v_mul_f32_e32 v0, s16, v0
	v_mul_f32_e32 v1, s16, v1
	;; [unrolled: 1-line block ×4, first 2 shown]
	s_and_b32 vcc_lo, exec_lo, s4
	s_cbranch_vccz .LBB42_42
; %bb.41:
	v_add_co_u32 v6, vcc_lo, s0, v4
	v_add_co_ci_u32_e64 v7, null, s1, v5, vcc_lo
	s_mov_b32 s3, 0
	global_store_dwordx4 v[6:7], v[0:3], off
.LBB42_42:
	s_andn2_b32 vcc_lo, exec_lo, s3
	s_cbranch_vccnz .LBB42_10
; %bb.43:
	v_add_co_u32 v8, vcc_lo, s0, v4
	v_add_co_ci_u32_e64 v9, null, s1, v5, vcc_lo
	global_load_dwordx4 v[4:7], v[8:9], off
	s_waitcnt vmcnt(0)
	v_fmac_f32_e32 v0, s2, v4
	v_fmac_f32_e32 v1, s2, v5
	;; [unrolled: 1-line block ×4, first 2 shown]
	global_store_dwordx4 v[8:9], v[0:3], off
	s_endpgm
	.section	.rodata,"a",@progbits
	.p2align	6, 0x0
	.amdhsa_kernel _ZN9rocsparseL18bsrxmvn_4x4_kernelILj128ELj16EfllfffEEvT3_20rocsparse_direction_NS_24const_host_device_scalarIT1_EES1_PKS1_PKT2_SA_S7_PKT4_PKT5_S5_PT6_21rocsparse_index_base_b
		.amdhsa_group_segment_fixed_size 0
		.amdhsa_private_segment_fixed_size 0
		.amdhsa_kernarg_size 104
		.amdhsa_user_sgpr_count 6
		.amdhsa_user_sgpr_private_segment_buffer 1
		.amdhsa_user_sgpr_dispatch_ptr 0
		.amdhsa_user_sgpr_queue_ptr 0
		.amdhsa_user_sgpr_kernarg_segment_ptr 1
		.amdhsa_user_sgpr_dispatch_id 0
		.amdhsa_user_sgpr_flat_scratch_init 0
		.amdhsa_user_sgpr_private_segment_size 0
		.amdhsa_wavefront_size32 1
		.amdhsa_uses_dynamic_stack 0
		.amdhsa_system_sgpr_private_segment_wavefront_offset 0
		.amdhsa_system_sgpr_workgroup_id_x 1
		.amdhsa_system_sgpr_workgroup_id_y 0
		.amdhsa_system_sgpr_workgroup_id_z 0
		.amdhsa_system_sgpr_workgroup_info 0
		.amdhsa_system_vgpr_workitem_id 0
		.amdhsa_next_free_vgpr 70
		.amdhsa_next_free_sgpr 20
		.amdhsa_reserve_vcc 1
		.amdhsa_reserve_flat_scratch 0
		.amdhsa_float_round_mode_32 0
		.amdhsa_float_round_mode_16_64 0
		.amdhsa_float_denorm_mode_32 3
		.amdhsa_float_denorm_mode_16_64 3
		.amdhsa_dx10_clamp 1
		.amdhsa_ieee_mode 1
		.amdhsa_fp16_overflow 0
		.amdhsa_workgroup_processor_mode 1
		.amdhsa_memory_ordered 1
		.amdhsa_forward_progress 1
		.amdhsa_shared_vgpr_count 0
		.amdhsa_exception_fp_ieee_invalid_op 0
		.amdhsa_exception_fp_denorm_src 0
		.amdhsa_exception_fp_ieee_div_zero 0
		.amdhsa_exception_fp_ieee_overflow 0
		.amdhsa_exception_fp_ieee_underflow 0
		.amdhsa_exception_fp_ieee_inexact 0
		.amdhsa_exception_int_div_zero 0
	.end_amdhsa_kernel
	.section	.text._ZN9rocsparseL18bsrxmvn_4x4_kernelILj128ELj16EfllfffEEvT3_20rocsparse_direction_NS_24const_host_device_scalarIT1_EES1_PKS1_PKT2_SA_S7_PKT4_PKT5_S5_PT6_21rocsparse_index_base_b,"axG",@progbits,_ZN9rocsparseL18bsrxmvn_4x4_kernelILj128ELj16EfllfffEEvT3_20rocsparse_direction_NS_24const_host_device_scalarIT1_EES1_PKS1_PKT2_SA_S7_PKT4_PKT5_S5_PT6_21rocsparse_index_base_b,comdat
.Lfunc_end42:
	.size	_ZN9rocsparseL18bsrxmvn_4x4_kernelILj128ELj16EfllfffEEvT3_20rocsparse_direction_NS_24const_host_device_scalarIT1_EES1_PKS1_PKT2_SA_S7_PKT4_PKT5_S5_PT6_21rocsparse_index_base_b, .Lfunc_end42-_ZN9rocsparseL18bsrxmvn_4x4_kernelILj128ELj16EfllfffEEvT3_20rocsparse_direction_NS_24const_host_device_scalarIT1_EES1_PKS1_PKT2_SA_S7_PKT4_PKT5_S5_PT6_21rocsparse_index_base_b
                                        ; -- End function
	.set _ZN9rocsparseL18bsrxmvn_4x4_kernelILj128ELj16EfllfffEEvT3_20rocsparse_direction_NS_24const_host_device_scalarIT1_EES1_PKS1_PKT2_SA_S7_PKT4_PKT5_S5_PT6_21rocsparse_index_base_b.num_vgpr, 70
	.set _ZN9rocsparseL18bsrxmvn_4x4_kernelILj128ELj16EfllfffEEvT3_20rocsparse_direction_NS_24const_host_device_scalarIT1_EES1_PKS1_PKT2_SA_S7_PKT4_PKT5_S5_PT6_21rocsparse_index_base_b.num_agpr, 0
	.set _ZN9rocsparseL18bsrxmvn_4x4_kernelILj128ELj16EfllfffEEvT3_20rocsparse_direction_NS_24const_host_device_scalarIT1_EES1_PKS1_PKT2_SA_S7_PKT4_PKT5_S5_PT6_21rocsparse_index_base_b.numbered_sgpr, 20
	.set _ZN9rocsparseL18bsrxmvn_4x4_kernelILj128ELj16EfllfffEEvT3_20rocsparse_direction_NS_24const_host_device_scalarIT1_EES1_PKS1_PKT2_SA_S7_PKT4_PKT5_S5_PT6_21rocsparse_index_base_b.num_named_barrier, 0
	.set _ZN9rocsparseL18bsrxmvn_4x4_kernelILj128ELj16EfllfffEEvT3_20rocsparse_direction_NS_24const_host_device_scalarIT1_EES1_PKS1_PKT2_SA_S7_PKT4_PKT5_S5_PT6_21rocsparse_index_base_b.private_seg_size, 0
	.set _ZN9rocsparseL18bsrxmvn_4x4_kernelILj128ELj16EfllfffEEvT3_20rocsparse_direction_NS_24const_host_device_scalarIT1_EES1_PKS1_PKT2_SA_S7_PKT4_PKT5_S5_PT6_21rocsparse_index_base_b.uses_vcc, 1
	.set _ZN9rocsparseL18bsrxmvn_4x4_kernelILj128ELj16EfllfffEEvT3_20rocsparse_direction_NS_24const_host_device_scalarIT1_EES1_PKS1_PKT2_SA_S7_PKT4_PKT5_S5_PT6_21rocsparse_index_base_b.uses_flat_scratch, 0
	.set _ZN9rocsparseL18bsrxmvn_4x4_kernelILj128ELj16EfllfffEEvT3_20rocsparse_direction_NS_24const_host_device_scalarIT1_EES1_PKS1_PKT2_SA_S7_PKT4_PKT5_S5_PT6_21rocsparse_index_base_b.has_dyn_sized_stack, 0
	.set _ZN9rocsparseL18bsrxmvn_4x4_kernelILj128ELj16EfllfffEEvT3_20rocsparse_direction_NS_24const_host_device_scalarIT1_EES1_PKS1_PKT2_SA_S7_PKT4_PKT5_S5_PT6_21rocsparse_index_base_b.has_recursion, 0
	.set _ZN9rocsparseL18bsrxmvn_4x4_kernelILj128ELj16EfllfffEEvT3_20rocsparse_direction_NS_24const_host_device_scalarIT1_EES1_PKS1_PKT2_SA_S7_PKT4_PKT5_S5_PT6_21rocsparse_index_base_b.has_indirect_call, 0
	.section	.AMDGPU.csdata,"",@progbits
; Kernel info:
; codeLenInByte = 3708
; TotalNumSgprs: 22
; NumVgprs: 70
; ScratchSize: 0
; MemoryBound: 0
; FloatMode: 240
; IeeeMode: 1
; LDSByteSize: 0 bytes/workgroup (compile time only)
; SGPRBlocks: 0
; VGPRBlocks: 8
; NumSGPRsForWavesPerEU: 22
; NumVGPRsForWavesPerEU: 70
; Occupancy: 12
; WaveLimiterHint : 1
; COMPUTE_PGM_RSRC2:SCRATCH_EN: 0
; COMPUTE_PGM_RSRC2:USER_SGPR: 6
; COMPUTE_PGM_RSRC2:TRAP_HANDLER: 0
; COMPUTE_PGM_RSRC2:TGID_X_EN: 1
; COMPUTE_PGM_RSRC2:TGID_Y_EN: 0
; COMPUTE_PGM_RSRC2:TGID_Z_EN: 0
; COMPUTE_PGM_RSRC2:TIDIG_COMP_CNT: 0
	.section	.text._ZN9rocsparseL18bsrxmvn_4x4_kernelILj128ELj32EfllfffEEvT3_20rocsparse_direction_NS_24const_host_device_scalarIT1_EES1_PKS1_PKT2_SA_S7_PKT4_PKT5_S5_PT6_21rocsparse_index_base_b,"axG",@progbits,_ZN9rocsparseL18bsrxmvn_4x4_kernelILj128ELj32EfllfffEEvT3_20rocsparse_direction_NS_24const_host_device_scalarIT1_EES1_PKS1_PKT2_SA_S7_PKT4_PKT5_S5_PT6_21rocsparse_index_base_b,comdat
	.globl	_ZN9rocsparseL18bsrxmvn_4x4_kernelILj128ELj32EfllfffEEvT3_20rocsparse_direction_NS_24const_host_device_scalarIT1_EES1_PKS1_PKT2_SA_S7_PKT4_PKT5_S5_PT6_21rocsparse_index_base_b ; -- Begin function _ZN9rocsparseL18bsrxmvn_4x4_kernelILj128ELj32EfllfffEEvT3_20rocsparse_direction_NS_24const_host_device_scalarIT1_EES1_PKS1_PKT2_SA_S7_PKT4_PKT5_S5_PT6_21rocsparse_index_base_b
	.p2align	8
	.type	_ZN9rocsparseL18bsrxmvn_4x4_kernelILj128ELj32EfllfffEEvT3_20rocsparse_direction_NS_24const_host_device_scalarIT1_EES1_PKS1_PKT2_SA_S7_PKT4_PKT5_S5_PT6_21rocsparse_index_base_b,@function
_ZN9rocsparseL18bsrxmvn_4x4_kernelILj128ELj32EfllfffEEvT3_20rocsparse_direction_NS_24const_host_device_scalarIT1_EES1_PKS1_PKT2_SA_S7_PKT4_PKT5_S5_PT6_21rocsparse_index_base_b: ; @_ZN9rocsparseL18bsrxmvn_4x4_kernelILj128ELj32EfllfffEEvT3_20rocsparse_direction_NS_24const_host_device_scalarIT1_EES1_PKS1_PKT2_SA_S7_PKT4_PKT5_S5_PT6_21rocsparse_index_base_b
; %bb.0:
	s_clause 0x2
	s_load_dwordx2 s[0:1], s[4:5], 0x60
	s_load_dwordx4 s[16:19], s[4:5], 0x10
	s_load_dwordx2 s[2:3], s[4:5], 0x50
	s_waitcnt lgkmcnt(0)
	s_bitcmp1_b32 s1, 0
	s_cselect_b32 s1, -1, 0
	s_and_b32 vcc_lo, exec_lo, s1
	s_xor_b32 s1, s1, -1
	s_cbranch_vccnz .LBB43_2
; %bb.1:
	s_load_dword s16, s[16:17], 0x0
.LBB43_2:
	s_andn2_b32 vcc_lo, exec_lo, s1
	s_cbranch_vccnz .LBB43_4
; %bb.3:
	s_load_dword s2, s[2:3], 0x0
.LBB43_4:
	s_waitcnt lgkmcnt(0)
	v_cmp_neq_f32_e64 s1, s16, 0
	v_cmp_neq_f32_e64 s3, s2, 1.0
	s_or_b32 s1, s1, s3
	s_mov_b32 s3, 0
	s_andn2_b32 vcc_lo, exec_lo, s1
	s_cbranch_vccnz .LBB43_10
; %bb.5:
	s_load_dwordx2 s[8:9], s[4:5], 0x20
	v_lshrrev_b32_e32 v1, 5, v0
	v_mov_b32_e32 v6, 0
	v_lshl_or_b32 v5, s6, 2, v1
	s_waitcnt lgkmcnt(0)
	s_cmp_lg_u64 s[8:9], 0
	s_cbranch_scc0 .LBB43_11
; %bb.6:
	s_mov_b32 s6, 0
                                        ; implicit-def: $vgpr3_vgpr4
                                        ; implicit-def: $vgpr1_vgpr2
	s_mov_b32 s1, exec_lo
	v_cmpx_gt_i64_e64 s[18:19], v[5:6]
	s_xor_b32 s7, exec_lo, s1
	s_cbranch_execz .LBB43_8
; %bb.7:
	v_lshlrev_b64 v[1:2], 3, v[5:6]
	s_mov_b32 s1, 0
	s_mov_b32 s3, exec_lo
	v_add_co_u32 v1, vcc_lo, s8, v1
	v_add_co_ci_u32_e64 v2, null, s9, v2, vcc_lo
	global_load_dwordx2 v[1:2], v[1:2], off
	s_waitcnt vmcnt(0)
	v_sub_co_u32 v3, vcc_lo, v1, s0
	v_subrev_co_ci_u32_e64 v4, null, 0, v2, vcc_lo
	v_mov_b32_e32 v2, s1
	v_mov_b32_e32 v1, s0
.LBB43_8:
	s_or_b32 exec_lo, exec_lo, s7
	s_and_b32 vcc_lo, exec_lo, s6
	s_cbranch_vccnz .LBB43_12
.LBB43_9:
	s_and_saveexec_b32 s0, s3
	s_cbranch_execnz .LBB43_15
.LBB43_10:
	s_endpgm
.LBB43_11:
                                        ; implicit-def: $vgpr3_vgpr4
                                        ; implicit-def: $vgpr1_vgpr2
	s_cbranch_execz .LBB43_9
.LBB43_12:
	s_load_dwordx2 s[6:7], s[4:5], 0x0
	s_waitcnt lgkmcnt(0)
	v_cmp_gt_i64_e32 vcc_lo, s[6:7], v[5:6]
	s_and_saveexec_b32 s6, vcc_lo
; %bb.13:
	s_mov_b32 s1, 0
	s_or_b32 s3, s3, exec_lo
; %bb.14:
	s_or_b32 exec_lo, exec_lo, s6
	v_mov_b32_e32 v2, s1
	v_mov_b32_e32 v3, v5
	;; [unrolled: 1-line block ×4, first 2 shown]
	s_and_saveexec_b32 s0, s3
	s_cbranch_execz .LBB43_10
.LBB43_15:
	s_load_dwordx8 s[8:15], s[4:5], 0x28
	v_lshlrev_b64 v[5:6], 3, v[3:4]
	v_and_b32_e32 v0, 31, v0
	s_clause 0x1
	s_load_dword s1, s[4:5], 0x8
	s_load_dwordx2 s[6:7], s[4:5], 0x48
	v_mov_b32_e32 v25, 0
	s_waitcnt lgkmcnt(0)
	v_add_co_u32 v7, vcc_lo, s8, v5
	v_add_co_ci_u32_e64 v8, null, s9, v6, vcc_lo
	v_add_co_u32 v5, vcc_lo, s10, v5
	v_add_co_ci_u32_e64 v6, null, s11, v6, vcc_lo
	v_add_co_u32 v9, vcc_lo, v7, 8
	global_load_dwordx2 v[13:14], v[7:8], off
	v_add_co_ci_u32_e64 v10, null, 0, v8, vcc_lo
	s_cmp_eq_u64 s[10:11], 0
	s_cselect_b32 vcc_lo, -1, 0
	s_cmp_eq_u32 s1, 1
	v_cndmask_b32_e32 v6, v6, v10, vcc_lo
	v_cndmask_b32_e32 v5, v5, v9, vcc_lo
	global_load_dwordx2 v[7:8], v[5:6], off
	s_waitcnt vmcnt(1)
	v_sub_co_u32 v5, vcc_lo, v13, v1
	v_sub_co_ci_u32_e64 v6, null, v14, v2, vcc_lo
	v_add_co_u32 v5, vcc_lo, v5, v0
	v_add_co_ci_u32_e64 v6, null, 0, v6, vcc_lo
	v_lshlrev_b64 v[9:10], 6, v[5:6]
	s_waitcnt vmcnt(0)
	v_sub_co_u32 v7, vcc_lo, v7, v1
	v_sub_co_ci_u32_e64 v8, null, v8, v2, vcc_lo
	v_add_co_u32 v9, vcc_lo, s14, v9
	v_cmp_lt_i64_e64 s0, v[5:6], v[7:8]
	v_add_co_ci_u32_e64 v10, null, s15, v10, vcc_lo
	s_cbranch_scc1 .LBB43_27
; %bb.16:
	v_mov_b32_e32 v26, 0
	v_mov_b32_e32 v27, 0
	;; [unrolled: 1-line block ×3, first 2 shown]
	s_and_saveexec_b32 s3, s0
	s_cbranch_execz .LBB43_26
; %bb.17:
	v_or_b32_e32 v11, 32, v0
	v_not_b32_e32 v16, v13
	v_sub_co_u32 v17, s1, v1, v0
	v_not_b32_e32 v15, v14
	v_sub_co_u32 v11, vcc_lo, v11, v1
	v_sub_co_ci_u32_e64 v12, null, 0, v2, vcc_lo
	v_subrev_co_ci_u32_e64 v18, null, 0, v2, s1
	v_add_co_u32 v11, vcc_lo, v11, v13
	v_add_co_ci_u32_e64 v12, null, v12, v14, vcc_lo
	s_mov_b32 s1, exec_lo
	v_cmp_gt_i64_e32 vcc_lo, v[11:12], v[7:8]
	v_cndmask_b32_e32 v20, v8, v12, vcc_lo
	v_cndmask_b32_e32 v11, v7, v11, vcc_lo
	v_add_co_u32 v12, vcc_lo, v17, v16
	v_add_co_ci_u32_e64 v15, null, v18, v15, vcc_lo
	v_mov_b32_e32 v18, v10
	v_add_co_u32 v19, vcc_lo, v12, v11
	v_mov_b32_e32 v12, 0
	v_add_co_ci_u32_e64 v20, null, v15, v20, vcc_lo
	v_mov_b32_e32 v16, v6
	v_and_b32_e32 v11, 0x60, v19
	v_mov_b32_e32 v27, v12
	v_mov_b32_e32 v26, v12
	;; [unrolled: 1-line block ×5, first 2 shown]
	v_cmpx_ne_u64_e32 0x60, v[11:12]
	s_cbranch_execz .LBB43_21
; %bb.18:
	v_lshrrev_b32_e32 v11, 5, v19
	v_mov_b32_e32 v18, v10
	v_mov_b32_e32 v16, v6
	;; [unrolled: 1-line block ×4, first 2 shown]
	v_add_nc_u32_e32 v21, 1, v11
	v_lshlrev_b64 v[11:12], 3, v[5:6]
	v_mov_b32_e32 v15, v5
	v_mov_b32_e32 v26, 0
	;; [unrolled: 1-line block ×3, first 2 shown]
	v_and_b32_e32 v23, 3, v21
	v_add_co_u32 v21, vcc_lo, s12, v11
	v_add_co_ci_u32_e64 v22, null, s13, v12, vcc_lo
	v_sub_co_u32 v23, s8, 0, v23
	v_sub_co_ci_u32_e64 v24, null, 0, 0, s8
	v_mov_b32_e32 v12, 0
	s_mov_b32 s8, 0
.LBB43_19:                              ; =>This Inner Loop Header: Depth=1
	global_load_dwordx2 v[44:45], v[21:22], off
	s_clause 0x3
	global_load_dwordx4 v[28:31], v[17:18], off offset:48
	global_load_dwordx4 v[32:35], v[17:18], off offset:32
	;; [unrolled: 1-line block ×3, first 2 shown]
	global_load_dwordx4 v[40:43], v[17:18], off
	s_waitcnt vmcnt(4)
	v_sub_co_u32 v44, vcc_lo, v44, v1
	v_sub_co_ci_u32_e64 v45, null, v45, v2, vcc_lo
	v_lshlrev_b64 v[44:45], 4, v[44:45]
	v_add_co_u32 v44, vcc_lo, s6, v44
	v_add_co_ci_u32_e64 v45, null, s7, v45, vcc_lo
	v_add_co_u32 v17, vcc_lo, 0x800, v17
	v_add_co_ci_u32_e64 v18, null, 0, v18, vcc_lo
	global_load_dwordx4 v[44:47], v[44:45], off
	v_add_co_u32 v15, vcc_lo, v15, 32
	v_add_co_ci_u32_e64 v16, null, 0, v16, vcc_lo
	v_add_co_u32 v21, vcc_lo, 0x100, v21
	v_add_co_ci_u32_e64 v22, null, 0, v22, vcc_lo
	v_add_co_u32 v23, vcc_lo, v23, 1
	v_add_co_ci_u32_e64 v24, null, 0, v24, vcc_lo
	v_cmp_eq_u64_e32 vcc_lo, 0, v[23:24]
	s_or_b32 s8, vcc_lo, s8
	s_waitcnt vmcnt(0)
	v_fmac_f32_e32 v12, v40, v44
	v_fmac_f32_e32 v27, v36, v44
	;; [unrolled: 1-line block ×16, first 2 shown]
	s_andn2_b32 exec_lo, exec_lo, s8
	s_cbranch_execnz .LBB43_19
; %bb.20:
	s_or_b32 exec_lo, exec_lo, s8
.LBB43_21:
	s_or_b32 exec_lo, exec_lo, s1
	s_mov_b32 s8, exec_lo
	v_cmpx_lt_u64_e32 0x5f, v[19:20]
	s_cbranch_execz .LBB43_25
; %bb.22:
	v_lshlrev_b64 v[19:20], 3, v[15:16]
	s_mov_b32 s9, 0
	v_add_co_u32 v11, vcc_lo, s12, v19
	v_add_co_ci_u32_e64 v20, null, s13, v20, vcc_lo
	v_add_co_u32 v19, vcc_lo, 0x200, v11
	v_add_co_ci_u32_e64 v20, null, 0, v20, vcc_lo
.LBB43_23:                              ; =>This Inner Loop Header: Depth=1
	global_load_dwordx2 v[48:49], v[19:20], off offset:-512
	s_clause 0x3
	global_load_dwordx4 v[21:24], v[17:18], off offset:48
	global_load_dwordx4 v[28:31], v[17:18], off offset:32
	;; [unrolled: 1-line block ×3, first 2 shown]
	global_load_dwordx4 v[36:39], v[17:18], off
	s_clause 0x2
	global_load_dwordx2 v[56:57], v[19:20], off offset:-256
	global_load_dwordx2 v[60:61], v[19:20], off
	global_load_dwordx2 v[64:65], v[19:20], off offset:256
	v_add_co_u32 v52, vcc_lo, 0x800, v17
	v_add_co_ci_u32_e64 v53, null, 0, v18, vcc_lo
	v_add_co_u32 v58, vcc_lo, v17, 0x1000
	v_add_co_ci_u32_e64 v59, null, 0, v18, vcc_lo
	;; [unrolled: 2-line block ×4, first 2 shown]
	s_clause 0x1
	global_load_dwordx4 v[40:43], v[58:59], off offset:-2048
	global_load_dwordx4 v[44:47], v[52:53], off offset:48
	s_waitcnt vmcnt(9)
	v_sub_co_u32 v48, vcc_lo, v48, v1
	v_sub_co_ci_u32_e64 v49, null, v49, v2, vcc_lo
	v_lshlrev_b64 v[48:49], 4, v[48:49]
	v_add_co_u32 v48, vcc_lo, s6, v48
	v_add_co_ci_u32_e64 v49, null, s7, v49, vcc_lo
	s_waitcnt vmcnt(4)
	v_sub_co_u32 v56, vcc_lo, v56, v1
	v_sub_co_ci_u32_e64 v57, null, v57, v2, vcc_lo
	global_load_dwordx4 v[48:51], v[48:49], off
	v_lshlrev_b64 v[56:57], 4, v[56:57]
	v_add_co_u32 v56, vcc_lo, s6, v56
	v_add_co_ci_u32_e64 v57, null, s7, v57, vcc_lo
	s_waitcnt vmcnt(4)
	v_sub_co_u32 v68, vcc_lo, v60, v1
	v_sub_co_ci_u32_e64 v69, null, v61, v2, vcc_lo
	s_waitcnt vmcnt(0)
	v_fmac_f32_e32 v12, v36, v48
	v_fmac_f32_e32 v27, v32, v48
	;; [unrolled: 1-line block ×13, first 2 shown]
	s_clause 0x1
	global_load_dwordx4 v[36:39], v[52:53], off offset:32
	global_load_dwordx4 v[52:55], v[52:53], off offset:16
	v_fmac_f32_e32 v27, v35, v51
	global_load_dwordx4 v[32:35], v[58:59], off
	v_fmac_f32_e32 v26, v31, v51
	global_load_dwordx4 v[28:31], v[62:63], off offset:48
	v_fmac_f32_e32 v25, v24, v51
	s_clause 0x1
	global_load_dwordx4 v[21:24], v[62:63], off offset:32
	global_load_dwordx4 v[48:51], v[62:63], off offset:16
	global_load_dwordx4 v[56:59], v[56:57], off
	global_load_dwordx4 v[60:63], v[66:67], off offset:16
	s_waitcnt vmcnt(1)
	v_fmac_f32_e32 v25, v44, v56
	v_fmac_f32_e32 v12, v40, v56
	v_fmac_f32_e32 v27, v52, v56
	v_fmac_f32_e32 v26, v36, v56
	v_sub_co_u32 v56, vcc_lo, v64, v1
	v_fmac_f32_e32 v25, v45, v57
	v_lshlrev_b64 v[44:45], 4, v[68:69]
	v_fmac_f32_e32 v12, v41, v57
	v_fmac_f32_e32 v27, v53, v57
	v_fmac_f32_e32 v26, v37, v57
	v_fmac_f32_e32 v25, v46, v58
	v_sub_co_ci_u32_e64 v57, null, v65, v2, vcc_lo
	v_add_co_u32 v44, s1, s6, v44
	v_add_co_ci_u32_e64 v45, null, s7, v45, s1
	v_fmac_f32_e32 v25, v47, v59
	v_lshlrev_b64 v[56:57], 4, v[56:57]
	v_fmac_f32_e32 v12, v42, v58
	global_load_dwordx4 v[44:47], v[44:45], off
	v_fmac_f32_e32 v27, v54, v58
	v_fmac_f32_e32 v26, v38, v58
	v_add_co_u32 v15, s1, 0x80, v15
	v_add_co_u32 v56, vcc_lo, s6, v56
	v_add_co_ci_u32_e64 v57, null, s7, v57, vcc_lo
	v_fmac_f32_e32 v12, v43, v59
	global_load_dwordx4 v[40:43], v[66:67], off
	v_fmac_f32_e32 v27, v55, v59
	global_load_dwordx4 v[52:55], v[66:67], off offset:48
	v_fmac_f32_e32 v26, v39, v59
	global_load_dwordx4 v[36:39], v[66:67], off offset:32
	global_load_dwordx4 v[56:59], v[56:57], off
	v_add_co_ci_u32_e64 v16, null, 0, v16, s1
	v_add_co_u32 v17, vcc_lo, 0x2000, v17
	v_add_co_ci_u32_e64 v18, null, 0, v18, vcc_lo
	v_cmp_ge_i64_e32 vcc_lo, v[15:16], v[7:8]
	v_add_co_u32 v19, s1, 0x400, v19
	v_add_co_ci_u32_e64 v20, null, 0, v20, s1
	s_or_b32 s9, vcc_lo, s9
	s_waitcnt vmcnt(4)
	v_fmac_f32_e32 v12, v32, v44
	v_fmac_f32_e32 v27, v48, v44
	;; [unrolled: 1-line block ×16, first 2 shown]
	s_waitcnt vmcnt(0)
	v_fmac_f32_e32 v12, v40, v56
	v_fmac_f32_e32 v27, v60, v56
	;; [unrolled: 1-line block ×16, first 2 shown]
	s_andn2_b32 exec_lo, exec_lo, s9
	s_cbranch_execnz .LBB43_23
; %bb.24:
	s_or_b32 exec_lo, exec_lo, s9
.LBB43_25:
	s_or_b32 exec_lo, exec_lo, s8
.LBB43_26:
	s_or_b32 exec_lo, exec_lo, s3
	s_cbranch_execz .LBB43_28
	s_branch .LBB43_39
.LBB43_27:
                                        ; implicit-def: $vgpr25
                                        ; implicit-def: $vgpr26
                                        ; implicit-def: $vgpr27
                                        ; implicit-def: $vgpr12
.LBB43_28:
	v_mov_b32_e32 v25, 0
	v_mov_b32_e32 v26, 0
	;; [unrolled: 1-line block ×4, first 2 shown]
	s_and_saveexec_b32 s1, s0
	s_cbranch_execz .LBB43_38
; %bb.29:
	v_or_b32_e32 v11, 32, v0
	v_sub_co_u32 v15, s0, v1, v0
	v_subrev_co_ci_u32_e64 v16, null, 0, v2, s0
	v_sub_co_u32 v11, vcc_lo, v11, v1
	v_sub_co_ci_u32_e64 v12, null, 0, v2, vcc_lo
	s_mov_b32 s0, exec_lo
	v_add_co_u32 v11, vcc_lo, v11, v13
	v_add_co_ci_u32_e64 v12, null, v12, v14, vcc_lo
	v_not_b32_e32 v13, v13
	v_not_b32_e32 v14, v14
	v_cmp_gt_i64_e32 vcc_lo, v[11:12], v[7:8]
	v_cndmask_b32_e32 v17, v8, v12, vcc_lo
	v_cndmask_b32_e32 v11, v7, v11, vcc_lo
	v_add_co_u32 v12, vcc_lo, v15, v13
	v_add_co_ci_u32_e64 v14, null, v16, v14, vcc_lo
	v_add_co_u32 v13, vcc_lo, v12, v11
	v_mov_b32_e32 v12, 0
	v_add_co_ci_u32_e64 v14, null, v14, v17, vcc_lo
	v_and_b32_e32 v11, 0x60, v13
	v_mov_b32_e32 v27, v12
	v_mov_b32_e32 v26, v12
	;; [unrolled: 1-line block ×3, first 2 shown]
	v_cmpx_ne_u64_e32 0x60, v[11:12]
	s_cbranch_execz .LBB43_33
; %bb.30:
	v_lshrrev_b32_e32 v11, 5, v13
	v_mov_b32_e32 v25, 0
	v_mov_b32_e32 v26, 0
	;; [unrolled: 1-line block ×3, first 2 shown]
	v_add_nc_u32_e32 v15, 1, v11
	v_lshlrev_b64 v[11:12], 3, v[5:6]
	v_and_b32_e32 v17, 3, v15
	v_add_co_u32 v15, vcc_lo, s12, v11
	v_add_co_ci_u32_e64 v16, null, s13, v12, vcc_lo
	v_sub_co_u32 v17, s3, 0, v17
	v_sub_co_ci_u32_e64 v18, null, 0, 0, s3
	v_mov_b32_e32 v12, 0
	s_mov_b32 s3, 0
.LBB43_31:                              ; =>This Inner Loop Header: Depth=1
	global_load_dwordx2 v[23:24], v[15:16], off
	s_clause 0x1
	global_load_dwordx4 v[19:22], v[9:10], off offset:16
	global_load_dwordx4 v[28:31], v[9:10], off
	s_waitcnt vmcnt(2)
	v_sub_co_u32 v23, vcc_lo, v23, v1
	v_sub_co_ci_u32_e64 v24, null, v24, v2, vcc_lo
	v_lshlrev_b64 v[23:24], 4, v[23:24]
	v_add_co_u32 v23, vcc_lo, s6, v23
	v_add_co_ci_u32_e64 v24, null, s7, v24, vcc_lo
	global_load_dwordx4 v[32:35], v[23:24], off
	s_clause 0x1
	global_load_dwordx4 v[36:39], v[9:10], off offset:32
	global_load_dwordx4 v[40:43], v[9:10], off offset:48
	v_add_co_u32 v9, vcc_lo, 0x800, v9
	v_add_co_ci_u32_e64 v10, null, 0, v10, vcc_lo
	v_add_co_u32 v5, vcc_lo, v5, 32
	v_add_co_ci_u32_e64 v6, null, 0, v6, vcc_lo
	;; [unrolled: 2-line block ×4, first 2 shown]
	v_cmp_eq_u64_e32 vcc_lo, 0, v[17:18]
	s_or_b32 s3, vcc_lo, s3
	s_waitcnt vmcnt(2)
	v_fmac_f32_e32 v12, v28, v32
	v_fmac_f32_e32 v27, v29, v32
	v_fmac_f32_e32 v26, v30, v32
	v_fmac_f32_e32 v25, v31, v32
	v_fmac_f32_e32 v12, v19, v33
	v_fmac_f32_e32 v27, v20, v33
	v_fmac_f32_e32 v26, v21, v33
	v_fmac_f32_e32 v25, v22, v33
	s_waitcnt vmcnt(1)
	v_fmac_f32_e32 v12, v36, v34
	v_fmac_f32_e32 v27, v37, v34
	;; [unrolled: 1-line block ×4, first 2 shown]
	s_waitcnt vmcnt(0)
	v_fmac_f32_e32 v12, v40, v35
	v_fmac_f32_e32 v27, v41, v35
	;; [unrolled: 1-line block ×4, first 2 shown]
	s_andn2_b32 exec_lo, exec_lo, s3
	s_cbranch_execnz .LBB43_31
; %bb.32:
	s_or_b32 exec_lo, exec_lo, s3
.LBB43_33:
	s_or_b32 exec_lo, exec_lo, s0
	s_mov_b32 s3, exec_lo
	v_cmpx_lt_u64_e32 0x5f, v[13:14]
	s_cbranch_execz .LBB43_37
; %bb.34:
	v_lshlrev_b64 v[13:14], 3, v[5:6]
	s_mov_b32 s8, 0
	v_add_co_u32 v11, vcc_lo, s12, v13
	v_add_co_ci_u32_e64 v14, null, s13, v14, vcc_lo
	v_add_co_u32 v13, vcc_lo, 0x200, v11
	v_add_co_ci_u32_e64 v14, null, 0, v14, vcc_lo
.LBB43_35:                              ; =>This Inner Loop Header: Depth=1
	global_load_dwordx2 v[23:24], v[13:14], off offset:-512
	s_clause 0x3
	global_load_dwordx4 v[15:18], v[9:10], off offset:48
	global_load_dwordx4 v[19:22], v[9:10], off offset:32
	;; [unrolled: 1-line block ×3, first 2 shown]
	global_load_dwordx4 v[32:35], v[9:10], off
	v_add_co_u32 v48, vcc_lo, 0x800, v9
	v_add_co_ci_u32_e64 v49, null, 0, v10, vcc_lo
	v_add_co_u32 v52, vcc_lo, v9, 0x1000
	v_add_co_ci_u32_e64 v53, null, 0, v10, vcc_lo
	;; [unrolled: 2-line block ×4, first 2 shown]
	s_clause 0x2
	global_load_dwordx2 v[54:55], v[13:14], off offset:-256
	global_load_dwordx2 v[58:59], v[13:14], off
	global_load_dwordx2 v[60:61], v[13:14], off offset:256
	s_clause 0x1
	global_load_dwordx4 v[36:39], v[52:53], off offset:-2048
	global_load_dwordx4 v[40:43], v[48:49], off offset:48
	s_waitcnt vmcnt(9)
	v_sub_co_u32 v23, vcc_lo, v23, v1
	v_sub_co_ci_u32_e64 v24, null, v24, v2, vcc_lo
	v_lshlrev_b64 v[23:24], 4, v[23:24]
	v_add_co_u32 v23, vcc_lo, s6, v23
	v_add_co_ci_u32_e64 v24, null, s7, v24, vcc_lo
	global_load_dwordx4 v[44:47], v[23:24], off
	s_waitcnt vmcnt(5)
	v_sub_co_u32 v23, vcc_lo, v54, v1
	v_sub_co_ci_u32_e64 v24, null, v55, v2, vcc_lo
	v_lshlrev_b64 v[23:24], 4, v[23:24]
	v_add_co_u32 v23, s0, s6, v23
	v_add_co_ci_u32_e64 v24, null, s7, v24, s0
	s_waitcnt vmcnt(0)
	v_fmac_f32_e32 v12, v32, v44
	v_fmac_f32_e32 v27, v33, v44
	;; [unrolled: 1-line block ×4, first 2 shown]
	s_clause 0x1
	global_load_dwordx4 v[32:35], v[48:49], off offset:32
	global_load_dwordx4 v[48:51], v[48:49], off offset:16
	v_fmac_f32_e32 v12, v28, v45
	v_fmac_f32_e32 v27, v29, v45
	;; [unrolled: 1-line block ×4, first 2 shown]
	global_load_dwordx4 v[28:31], v[52:53], off
	v_fmac_f32_e32 v12, v19, v46
	v_fmac_f32_e32 v27, v20, v46
	;; [unrolled: 1-line block ×4, first 2 shown]
	global_load_dwordx4 v[19:22], v[56:57], off offset:32
	v_fmac_f32_e32 v12, v15, v47
	v_fmac_f32_e32 v27, v16, v47
	;; [unrolled: 1-line block ×4, first 2 shown]
	global_load_dwordx4 v[44:47], v[23:24], off
	global_load_dwordx4 v[15:18], v[56:57], off offset:16
	v_sub_co_u32 v52, vcc_lo, v58, v1
	v_sub_co_ci_u32_e64 v53, null, v59, v2, vcc_lo
	v_sub_co_u32 v58, vcc_lo, v60, v1
	v_sub_co_ci_u32_e64 v59, null, v61, v2, vcc_lo
	v_lshlrev_b64 v[23:24], 4, v[52:53]
	v_add_co_u32 v23, vcc_lo, s6, v23
	v_add_co_ci_u32_e64 v24, null, s7, v24, vcc_lo
	global_load_dwordx4 v[52:55], v[23:24], off
	v_lshlrev_b64 v[23:24], 4, v[58:59]
	v_add_co_u32 v23, vcc_lo, s6, v23
	v_add_co_ci_u32_e64 v24, null, s7, v24, vcc_lo
	v_add_co_u32 v5, vcc_lo, 0x80, v5
	v_add_co_ci_u32_e64 v6, null, 0, v6, vcc_lo
	;; [unrolled: 2-line block ×4, first 2 shown]
	v_cmp_ge_i64_e32 vcc_lo, v[5:6], v[7:8]
	s_or_b32 s8, vcc_lo, s8
	s_waitcnt vmcnt(2)
	v_fmac_f32_e32 v12, v36, v44
	v_fmac_f32_e32 v27, v37, v44
	;; [unrolled: 1-line block ×4, first 2 shown]
	s_clause 0x1
	global_load_dwordx4 v[36:39], v[62:63], off
	global_load_dwordx4 v[56:59], v[56:57], off offset:48
	v_fmac_f32_e32 v12, v48, v45
	v_fmac_f32_e32 v27, v49, v45
	;; [unrolled: 1-line block ×4, first 2 shown]
	global_load_dwordx4 v[48:51], v[23:24], off
	v_fmac_f32_e32 v12, v32, v46
	v_fmac_f32_e32 v27, v33, v46
	;; [unrolled: 1-line block ×4, first 2 shown]
	global_load_dwordx4 v[32:35], v[62:63], off offset:16
	v_fmac_f32_e32 v12, v40, v47
	v_fmac_f32_e32 v27, v41, v47
	v_fmac_f32_e32 v26, v42, v47
	v_fmac_f32_e32 v25, v43, v47
	s_clause 0x1
	global_load_dwordx4 v[40:43], v[62:63], off offset:32
	global_load_dwordx4 v[44:47], v[62:63], off offset:48
	s_waitcnt vmcnt(6)
	v_fmac_f32_e32 v12, v28, v52
	v_fmac_f32_e32 v27, v29, v52
	;; [unrolled: 1-line block ×12, first 2 shown]
	s_waitcnt vmcnt(4)
	v_fmac_f32_e32 v12, v56, v55
	v_fmac_f32_e32 v27, v57, v55
	v_fmac_f32_e32 v26, v58, v55
	v_fmac_f32_e32 v25, v59, v55
	s_waitcnt vmcnt(3)
	v_fmac_f32_e32 v12, v36, v48
	v_fmac_f32_e32 v27, v37, v48
	v_fmac_f32_e32 v26, v38, v48
	v_fmac_f32_e32 v25, v39, v48
	;; [unrolled: 5-line block ×5, first 2 shown]
	s_andn2_b32 exec_lo, exec_lo, s8
	s_cbranch_execnz .LBB43_35
; %bb.36:
	s_or_b32 exec_lo, exec_lo, s8
.LBB43_37:
	s_or_b32 exec_lo, exec_lo, s3
.LBB43_38:
	s_or_b32 exec_lo, exec_lo, s1
.LBB43_39:
	v_mbcnt_lo_u32_b32 v1, -1, 0
	s_mov_b32 s3, -1
	v_xor_b32_e32 v2, 16, v1
	v_xor_b32_e32 v8, 8, v1
	v_cmp_gt_i32_e32 vcc_lo, 32, v2
	v_cndmask_b32_e32 v2, v1, v2, vcc_lo
	v_cmp_gt_i32_e32 vcc_lo, 32, v8
	v_lshlrev_b32_e32 v2, 2, v2
	v_cndmask_b32_e32 v8, v1, v8, vcc_lo
	ds_bpermute_b32 v5, v2, v12
	ds_bpermute_b32 v6, v2, v27
	ds_bpermute_b32 v7, v2, v26
	ds_bpermute_b32 v2, v2, v25
	v_lshlrev_b32_e32 v8, 2, v8
	s_waitcnt lgkmcnt(3)
	v_add_f32_e32 v5, v12, v5
	s_waitcnt lgkmcnt(2)
	v_add_f32_e32 v6, v27, v6
	;; [unrolled: 2-line block ×4, first 2 shown]
	v_xor_b32_e32 v12, 4, v1
	ds_bpermute_b32 v9, v8, v5
	ds_bpermute_b32 v10, v8, v6
	;; [unrolled: 1-line block ×4, first 2 shown]
	v_cmp_gt_i32_e32 vcc_lo, 32, v12
	v_cndmask_b32_e32 v12, v1, v12, vcc_lo
	v_lshlrev_b32_e32 v12, 2, v12
	s_waitcnt lgkmcnt(3)
	v_add_f32_e32 v5, v5, v9
	s_waitcnt lgkmcnt(2)
	v_add_f32_e32 v6, v6, v10
	;; [unrolled: 2-line block ×4, first 2 shown]
	ds_bpermute_b32 v8, v12, v5
	ds_bpermute_b32 v9, v12, v6
	;; [unrolled: 1-line block ×4, first 2 shown]
	v_xor_b32_e32 v12, 2, v1
	v_cmp_gt_i32_e32 vcc_lo, 32, v12
	v_cndmask_b32_e32 v12, v1, v12, vcc_lo
	v_lshlrev_b32_e32 v12, 2, v12
	s_waitcnt lgkmcnt(3)
	v_add_f32_e32 v5, v5, v8
	s_waitcnt lgkmcnt(2)
	v_add_f32_e32 v6, v6, v9
	s_waitcnt lgkmcnt(1)
	v_add_f32_e32 v7, v7, v10
	s_waitcnt lgkmcnt(0)
	v_add_f32_e32 v8, v2, v11
	ds_bpermute_b32 v2, v12, v5
	ds_bpermute_b32 v9, v12, v6
	;; [unrolled: 1-line block ×4, first 2 shown]
	v_xor_b32_e32 v12, 1, v1
	v_cmp_gt_i32_e32 vcc_lo, 32, v12
	v_cndmask_b32_e32 v1, v1, v12, vcc_lo
	v_cmp_eq_u32_e32 vcc_lo, 31, v0
	v_lshlrev_b32_e32 v12, 2, v1
	s_waitcnt lgkmcnt(3)
	v_add_f32_e32 v1, v5, v2
	s_waitcnt lgkmcnt(2)
	v_add_f32_e32 v2, v6, v9
	;; [unrolled: 2-line block ×4, first 2 shown]
	ds_bpermute_b32 v7, v12, v1
	ds_bpermute_b32 v8, v12, v2
	;; [unrolled: 1-line block ×4, first 2 shown]
	s_and_b32 exec_lo, exec_lo, vcc_lo
	s_cbranch_execz .LBB43_10
; %bb.40:
	s_load_dwordx2 s[0:1], s[4:5], 0x58
	s_waitcnt lgkmcnt(0)
	v_add_f32_e32 v0, v1, v7
	v_add_f32_e32 v1, v2, v8
	v_add_f32_e32 v2, v5, v9
	v_add_f32_e32 v6, v6, v10
	v_cmp_eq_f32_e64 s4, s2, 0
	v_lshlrev_b64 v[4:5], 4, v[3:4]
	v_mul_f32_e32 v0, s16, v0
	v_mul_f32_e32 v1, s16, v1
	;; [unrolled: 1-line block ×4, first 2 shown]
	s_and_b32 vcc_lo, exec_lo, s4
	s_cbranch_vccz .LBB43_42
; %bb.41:
	v_add_co_u32 v6, vcc_lo, s0, v4
	v_add_co_ci_u32_e64 v7, null, s1, v5, vcc_lo
	s_mov_b32 s3, 0
	global_store_dwordx4 v[6:7], v[0:3], off
.LBB43_42:
	s_andn2_b32 vcc_lo, exec_lo, s3
	s_cbranch_vccnz .LBB43_10
; %bb.43:
	v_add_co_u32 v8, vcc_lo, s0, v4
	v_add_co_ci_u32_e64 v9, null, s1, v5, vcc_lo
	global_load_dwordx4 v[4:7], v[8:9], off
	s_waitcnt vmcnt(0)
	v_fmac_f32_e32 v0, s2, v4
	v_fmac_f32_e32 v1, s2, v5
	v_fmac_f32_e32 v2, s2, v6
	v_fmac_f32_e32 v3, s2, v7
	global_store_dwordx4 v[8:9], v[0:3], off
	s_endpgm
	.section	.rodata,"a",@progbits
	.p2align	6, 0x0
	.amdhsa_kernel _ZN9rocsparseL18bsrxmvn_4x4_kernelILj128ELj32EfllfffEEvT3_20rocsparse_direction_NS_24const_host_device_scalarIT1_EES1_PKS1_PKT2_SA_S7_PKT4_PKT5_S5_PT6_21rocsparse_index_base_b
		.amdhsa_group_segment_fixed_size 0
		.amdhsa_private_segment_fixed_size 0
		.amdhsa_kernarg_size 104
		.amdhsa_user_sgpr_count 6
		.amdhsa_user_sgpr_private_segment_buffer 1
		.amdhsa_user_sgpr_dispatch_ptr 0
		.amdhsa_user_sgpr_queue_ptr 0
		.amdhsa_user_sgpr_kernarg_segment_ptr 1
		.amdhsa_user_sgpr_dispatch_id 0
		.amdhsa_user_sgpr_flat_scratch_init 0
		.amdhsa_user_sgpr_private_segment_size 0
		.amdhsa_wavefront_size32 1
		.amdhsa_uses_dynamic_stack 0
		.amdhsa_system_sgpr_private_segment_wavefront_offset 0
		.amdhsa_system_sgpr_workgroup_id_x 1
		.amdhsa_system_sgpr_workgroup_id_y 0
		.amdhsa_system_sgpr_workgroup_id_z 0
		.amdhsa_system_sgpr_workgroup_info 0
		.amdhsa_system_vgpr_workitem_id 0
		.amdhsa_next_free_vgpr 70
		.amdhsa_next_free_sgpr 20
		.amdhsa_reserve_vcc 1
		.amdhsa_reserve_flat_scratch 0
		.amdhsa_float_round_mode_32 0
		.amdhsa_float_round_mode_16_64 0
		.amdhsa_float_denorm_mode_32 3
		.amdhsa_float_denorm_mode_16_64 3
		.amdhsa_dx10_clamp 1
		.amdhsa_ieee_mode 1
		.amdhsa_fp16_overflow 0
		.amdhsa_workgroup_processor_mode 1
		.amdhsa_memory_ordered 1
		.amdhsa_forward_progress 1
		.amdhsa_shared_vgpr_count 0
		.amdhsa_exception_fp_ieee_invalid_op 0
		.amdhsa_exception_fp_denorm_src 0
		.amdhsa_exception_fp_ieee_div_zero 0
		.amdhsa_exception_fp_ieee_overflow 0
		.amdhsa_exception_fp_ieee_underflow 0
		.amdhsa_exception_fp_ieee_inexact 0
		.amdhsa_exception_int_div_zero 0
	.end_amdhsa_kernel
	.section	.text._ZN9rocsparseL18bsrxmvn_4x4_kernelILj128ELj32EfllfffEEvT3_20rocsparse_direction_NS_24const_host_device_scalarIT1_EES1_PKS1_PKT2_SA_S7_PKT4_PKT5_S5_PT6_21rocsparse_index_base_b,"axG",@progbits,_ZN9rocsparseL18bsrxmvn_4x4_kernelILj128ELj32EfllfffEEvT3_20rocsparse_direction_NS_24const_host_device_scalarIT1_EES1_PKS1_PKT2_SA_S7_PKT4_PKT5_S5_PT6_21rocsparse_index_base_b,comdat
.Lfunc_end43:
	.size	_ZN9rocsparseL18bsrxmvn_4x4_kernelILj128ELj32EfllfffEEvT3_20rocsparse_direction_NS_24const_host_device_scalarIT1_EES1_PKS1_PKT2_SA_S7_PKT4_PKT5_S5_PT6_21rocsparse_index_base_b, .Lfunc_end43-_ZN9rocsparseL18bsrxmvn_4x4_kernelILj128ELj32EfllfffEEvT3_20rocsparse_direction_NS_24const_host_device_scalarIT1_EES1_PKS1_PKT2_SA_S7_PKT4_PKT5_S5_PT6_21rocsparse_index_base_b
                                        ; -- End function
	.set _ZN9rocsparseL18bsrxmvn_4x4_kernelILj128ELj32EfllfffEEvT3_20rocsparse_direction_NS_24const_host_device_scalarIT1_EES1_PKS1_PKT2_SA_S7_PKT4_PKT5_S5_PT6_21rocsparse_index_base_b.num_vgpr, 70
	.set _ZN9rocsparseL18bsrxmvn_4x4_kernelILj128ELj32EfllfffEEvT3_20rocsparse_direction_NS_24const_host_device_scalarIT1_EES1_PKS1_PKT2_SA_S7_PKT4_PKT5_S5_PT6_21rocsparse_index_base_b.num_agpr, 0
	.set _ZN9rocsparseL18bsrxmvn_4x4_kernelILj128ELj32EfllfffEEvT3_20rocsparse_direction_NS_24const_host_device_scalarIT1_EES1_PKS1_PKT2_SA_S7_PKT4_PKT5_S5_PT6_21rocsparse_index_base_b.numbered_sgpr, 20
	.set _ZN9rocsparseL18bsrxmvn_4x4_kernelILj128ELj32EfllfffEEvT3_20rocsparse_direction_NS_24const_host_device_scalarIT1_EES1_PKS1_PKT2_SA_S7_PKT4_PKT5_S5_PT6_21rocsparse_index_base_b.num_named_barrier, 0
	.set _ZN9rocsparseL18bsrxmvn_4x4_kernelILj128ELj32EfllfffEEvT3_20rocsparse_direction_NS_24const_host_device_scalarIT1_EES1_PKS1_PKT2_SA_S7_PKT4_PKT5_S5_PT6_21rocsparse_index_base_b.private_seg_size, 0
	.set _ZN9rocsparseL18bsrxmvn_4x4_kernelILj128ELj32EfllfffEEvT3_20rocsparse_direction_NS_24const_host_device_scalarIT1_EES1_PKS1_PKT2_SA_S7_PKT4_PKT5_S5_PT6_21rocsparse_index_base_b.uses_vcc, 1
	.set _ZN9rocsparseL18bsrxmvn_4x4_kernelILj128ELj32EfllfffEEvT3_20rocsparse_direction_NS_24const_host_device_scalarIT1_EES1_PKS1_PKT2_SA_S7_PKT4_PKT5_S5_PT6_21rocsparse_index_base_b.uses_flat_scratch, 0
	.set _ZN9rocsparseL18bsrxmvn_4x4_kernelILj128ELj32EfllfffEEvT3_20rocsparse_direction_NS_24const_host_device_scalarIT1_EES1_PKS1_PKT2_SA_S7_PKT4_PKT5_S5_PT6_21rocsparse_index_base_b.has_dyn_sized_stack, 0
	.set _ZN9rocsparseL18bsrxmvn_4x4_kernelILj128ELj32EfllfffEEvT3_20rocsparse_direction_NS_24const_host_device_scalarIT1_EES1_PKS1_PKT2_SA_S7_PKT4_PKT5_S5_PT6_21rocsparse_index_base_b.has_recursion, 0
	.set _ZN9rocsparseL18bsrxmvn_4x4_kernelILj128ELj32EfllfffEEvT3_20rocsparse_direction_NS_24const_host_device_scalarIT1_EES1_PKS1_PKT2_SA_S7_PKT4_PKT5_S5_PT6_21rocsparse_index_base_b.has_indirect_call, 0
	.section	.AMDGPU.csdata,"",@progbits
; Kernel info:
; codeLenInByte = 3940
; TotalNumSgprs: 22
; NumVgprs: 70
; ScratchSize: 0
; MemoryBound: 0
; FloatMode: 240
; IeeeMode: 1
; LDSByteSize: 0 bytes/workgroup (compile time only)
; SGPRBlocks: 0
; VGPRBlocks: 8
; NumSGPRsForWavesPerEU: 22
; NumVGPRsForWavesPerEU: 70
; Occupancy: 12
; WaveLimiterHint : 1
; COMPUTE_PGM_RSRC2:SCRATCH_EN: 0
; COMPUTE_PGM_RSRC2:USER_SGPR: 6
; COMPUTE_PGM_RSRC2:TRAP_HANDLER: 0
; COMPUTE_PGM_RSRC2:TGID_X_EN: 1
; COMPUTE_PGM_RSRC2:TGID_Y_EN: 0
; COMPUTE_PGM_RSRC2:TGID_Z_EN: 0
; COMPUTE_PGM_RSRC2:TIDIG_COMP_CNT: 0
	.section	.text._ZN9rocsparseL18bsrxmvn_4x4_kernelILj128ELj64EfllfffEEvT3_20rocsparse_direction_NS_24const_host_device_scalarIT1_EES1_PKS1_PKT2_SA_S7_PKT4_PKT5_S5_PT6_21rocsparse_index_base_b,"axG",@progbits,_ZN9rocsparseL18bsrxmvn_4x4_kernelILj128ELj64EfllfffEEvT3_20rocsparse_direction_NS_24const_host_device_scalarIT1_EES1_PKS1_PKT2_SA_S7_PKT4_PKT5_S5_PT6_21rocsparse_index_base_b,comdat
	.globl	_ZN9rocsparseL18bsrxmvn_4x4_kernelILj128ELj64EfllfffEEvT3_20rocsparse_direction_NS_24const_host_device_scalarIT1_EES1_PKS1_PKT2_SA_S7_PKT4_PKT5_S5_PT6_21rocsparse_index_base_b ; -- Begin function _ZN9rocsparseL18bsrxmvn_4x4_kernelILj128ELj64EfllfffEEvT3_20rocsparse_direction_NS_24const_host_device_scalarIT1_EES1_PKS1_PKT2_SA_S7_PKT4_PKT5_S5_PT6_21rocsparse_index_base_b
	.p2align	8
	.type	_ZN9rocsparseL18bsrxmvn_4x4_kernelILj128ELj64EfllfffEEvT3_20rocsparse_direction_NS_24const_host_device_scalarIT1_EES1_PKS1_PKT2_SA_S7_PKT4_PKT5_S5_PT6_21rocsparse_index_base_b,@function
_ZN9rocsparseL18bsrxmvn_4x4_kernelILj128ELj64EfllfffEEvT3_20rocsparse_direction_NS_24const_host_device_scalarIT1_EES1_PKS1_PKT2_SA_S7_PKT4_PKT5_S5_PT6_21rocsparse_index_base_b: ; @_ZN9rocsparseL18bsrxmvn_4x4_kernelILj128ELj64EfllfffEEvT3_20rocsparse_direction_NS_24const_host_device_scalarIT1_EES1_PKS1_PKT2_SA_S7_PKT4_PKT5_S5_PT6_21rocsparse_index_base_b
; %bb.0:
	s_clause 0x2
	s_load_dwordx2 s[0:1], s[4:5], 0x60
	s_load_dwordx4 s[16:19], s[4:5], 0x10
	s_load_dwordx2 s[2:3], s[4:5], 0x50
	s_waitcnt lgkmcnt(0)
	s_bitcmp1_b32 s1, 0
	s_cselect_b32 s1, -1, 0
	s_and_b32 vcc_lo, exec_lo, s1
	s_xor_b32 s1, s1, -1
	s_cbranch_vccnz .LBB44_2
; %bb.1:
	s_load_dword s16, s[16:17], 0x0
.LBB44_2:
	s_andn2_b32 vcc_lo, exec_lo, s1
	s_cbranch_vccnz .LBB44_4
; %bb.3:
	s_load_dword s2, s[2:3], 0x0
.LBB44_4:
	s_waitcnt lgkmcnt(0)
	v_cmp_neq_f32_e64 s1, s16, 0
	v_cmp_neq_f32_e64 s3, s2, 1.0
	s_or_b32 s1, s1, s3
	s_mov_b32 s3, 0
	s_andn2_b32 vcc_lo, exec_lo, s1
	s_cbranch_vccnz .LBB44_10
; %bb.5:
	s_load_dwordx2 s[8:9], s[4:5], 0x20
	v_lshrrev_b32_e32 v1, 6, v0
	v_mov_b32_e32 v6, 0
	v_lshl_or_b32 v5, s6, 1, v1
	s_waitcnt lgkmcnt(0)
	s_cmp_lg_u64 s[8:9], 0
	s_cbranch_scc0 .LBB44_11
; %bb.6:
	s_mov_b32 s6, 0
                                        ; implicit-def: $vgpr3_vgpr4
                                        ; implicit-def: $vgpr1_vgpr2
	s_mov_b32 s1, exec_lo
	v_cmpx_gt_i64_e64 s[18:19], v[5:6]
	s_xor_b32 s7, exec_lo, s1
	s_cbranch_execz .LBB44_8
; %bb.7:
	v_lshlrev_b64 v[1:2], 3, v[5:6]
	s_mov_b32 s1, 0
	s_mov_b32 s3, exec_lo
	v_add_co_u32 v1, vcc_lo, s8, v1
	v_add_co_ci_u32_e64 v2, null, s9, v2, vcc_lo
	global_load_dwordx2 v[1:2], v[1:2], off
	s_waitcnt vmcnt(0)
	v_sub_co_u32 v3, vcc_lo, v1, s0
	v_subrev_co_ci_u32_e64 v4, null, 0, v2, vcc_lo
	v_mov_b32_e32 v2, s1
	v_mov_b32_e32 v1, s0
.LBB44_8:
	s_or_b32 exec_lo, exec_lo, s7
	s_and_b32 vcc_lo, exec_lo, s6
	s_cbranch_vccnz .LBB44_12
.LBB44_9:
	s_and_saveexec_b32 s0, s3
	s_cbranch_execnz .LBB44_15
.LBB44_10:
	s_endpgm
.LBB44_11:
                                        ; implicit-def: $vgpr3_vgpr4
                                        ; implicit-def: $vgpr1_vgpr2
	s_cbranch_execz .LBB44_9
.LBB44_12:
	s_load_dwordx2 s[6:7], s[4:5], 0x0
	s_waitcnt lgkmcnt(0)
	v_cmp_gt_i64_e32 vcc_lo, s[6:7], v[5:6]
	s_and_saveexec_b32 s6, vcc_lo
; %bb.13:
	s_mov_b32 s1, 0
	s_or_b32 s3, s3, exec_lo
; %bb.14:
	s_or_b32 exec_lo, exec_lo, s6
	v_mov_b32_e32 v2, s1
	v_mov_b32_e32 v3, v5
	;; [unrolled: 1-line block ×4, first 2 shown]
	s_and_saveexec_b32 s0, s3
	s_cbranch_execz .LBB44_10
.LBB44_15:
	s_load_dwordx8 s[8:15], s[4:5], 0x28
	v_lshlrev_b64 v[5:6], 3, v[3:4]
	v_and_b32_e32 v0, 63, v0
	s_clause 0x1
	s_load_dword s1, s[4:5], 0x8
	s_load_dwordx2 s[6:7], s[4:5], 0x48
	v_mov_b32_e32 v25, 0
	s_waitcnt lgkmcnt(0)
	v_add_co_u32 v7, vcc_lo, s8, v5
	v_add_co_ci_u32_e64 v8, null, s9, v6, vcc_lo
	v_add_co_u32 v5, vcc_lo, s10, v5
	v_add_co_ci_u32_e64 v6, null, s11, v6, vcc_lo
	v_add_co_u32 v9, vcc_lo, v7, 8
	global_load_dwordx2 v[13:14], v[7:8], off
	v_add_co_ci_u32_e64 v10, null, 0, v8, vcc_lo
	s_cmp_eq_u64 s[10:11], 0
	s_cselect_b32 vcc_lo, -1, 0
	s_cmp_eq_u32 s1, 1
	v_cndmask_b32_e32 v6, v6, v10, vcc_lo
	v_cndmask_b32_e32 v5, v5, v9, vcc_lo
	global_load_dwordx2 v[7:8], v[5:6], off
	s_waitcnt vmcnt(1)
	v_sub_co_u32 v5, vcc_lo, v13, v1
	v_sub_co_ci_u32_e64 v6, null, v14, v2, vcc_lo
	v_add_co_u32 v5, vcc_lo, v5, v0
	v_add_co_ci_u32_e64 v6, null, 0, v6, vcc_lo
	v_lshlrev_b64 v[9:10], 6, v[5:6]
	s_waitcnt vmcnt(0)
	v_sub_co_u32 v7, vcc_lo, v7, v1
	v_sub_co_ci_u32_e64 v8, null, v8, v2, vcc_lo
	v_add_co_u32 v9, vcc_lo, s14, v9
	v_cmp_lt_i64_e64 s0, v[5:6], v[7:8]
	v_add_co_ci_u32_e64 v10, null, s15, v10, vcc_lo
	s_cbranch_scc1 .LBB44_27
; %bb.16:
	v_mov_b32_e32 v26, 0
	v_mov_b32_e32 v27, 0
	;; [unrolled: 1-line block ×3, first 2 shown]
	s_and_saveexec_b32 s3, s0
	s_cbranch_execz .LBB44_26
; %bb.17:
	v_or_b32_e32 v11, 64, v0
	v_not_b32_e32 v16, v13
	v_sub_co_u32 v17, s1, v1, v0
	v_not_b32_e32 v15, v14
	v_sub_co_u32 v11, vcc_lo, v11, v1
	v_sub_co_ci_u32_e64 v12, null, 0, v2, vcc_lo
	v_subrev_co_ci_u32_e64 v18, null, 0, v2, s1
	v_add_co_u32 v11, vcc_lo, v11, v13
	v_add_co_ci_u32_e64 v12, null, v12, v14, vcc_lo
	s_mov_b32 s1, exec_lo
	v_cmp_gt_i64_e32 vcc_lo, v[11:12], v[7:8]
	v_cndmask_b32_e32 v20, v8, v12, vcc_lo
	v_cndmask_b32_e32 v11, v7, v11, vcc_lo
	v_add_co_u32 v12, vcc_lo, v17, v16
	v_add_co_ci_u32_e64 v15, null, v18, v15, vcc_lo
	v_mov_b32_e32 v18, v10
	v_add_co_u32 v19, vcc_lo, v12, v11
	v_mov_b32_e32 v12, 0
	v_add_co_ci_u32_e64 v20, null, v15, v20, vcc_lo
	v_mov_b32_e32 v16, v6
	v_and_b32_e32 v11, 0xc0, v19
	v_mov_b32_e32 v27, v12
	v_mov_b32_e32 v26, v12
	;; [unrolled: 1-line block ×5, first 2 shown]
	v_cmpx_ne_u64_e32 0xc0, v[11:12]
	s_cbranch_execz .LBB44_21
; %bb.18:
	v_lshrrev_b32_e32 v11, 6, v19
	v_mov_b32_e32 v18, v10
	v_mov_b32_e32 v16, v6
	;; [unrolled: 1-line block ×4, first 2 shown]
	v_add_nc_u32_e32 v21, 1, v11
	v_lshlrev_b64 v[11:12], 3, v[5:6]
	v_mov_b32_e32 v15, v5
	v_mov_b32_e32 v26, 0
	;; [unrolled: 1-line block ×3, first 2 shown]
	v_and_b32_e32 v23, 3, v21
	v_add_co_u32 v21, vcc_lo, s12, v11
	v_add_co_ci_u32_e64 v22, null, s13, v12, vcc_lo
	v_sub_co_u32 v23, s8, 0, v23
	v_sub_co_ci_u32_e64 v24, null, 0, 0, s8
	v_mov_b32_e32 v12, 0
	s_mov_b32 s8, 0
.LBB44_19:                              ; =>This Inner Loop Header: Depth=1
	global_load_dwordx2 v[44:45], v[21:22], off
	s_clause 0x3
	global_load_dwordx4 v[28:31], v[17:18], off offset:48
	global_load_dwordx4 v[32:35], v[17:18], off offset:32
	;; [unrolled: 1-line block ×3, first 2 shown]
	global_load_dwordx4 v[40:43], v[17:18], off
	s_waitcnt vmcnt(4)
	v_sub_co_u32 v44, vcc_lo, v44, v1
	v_sub_co_ci_u32_e64 v45, null, v45, v2, vcc_lo
	v_lshlrev_b64 v[44:45], 4, v[44:45]
	v_add_co_u32 v44, vcc_lo, s6, v44
	v_add_co_ci_u32_e64 v45, null, s7, v45, vcc_lo
	v_add_co_u32 v17, vcc_lo, 0x1000, v17
	v_add_co_ci_u32_e64 v18, null, 0, v18, vcc_lo
	global_load_dwordx4 v[44:47], v[44:45], off
	v_add_co_u32 v15, vcc_lo, v15, 64
	v_add_co_ci_u32_e64 v16, null, 0, v16, vcc_lo
	v_add_co_u32 v21, vcc_lo, 0x200, v21
	v_add_co_ci_u32_e64 v22, null, 0, v22, vcc_lo
	v_add_co_u32 v23, vcc_lo, v23, 1
	v_add_co_ci_u32_e64 v24, null, 0, v24, vcc_lo
	v_cmp_eq_u64_e32 vcc_lo, 0, v[23:24]
	s_or_b32 s8, vcc_lo, s8
	s_waitcnt vmcnt(0)
	v_fmac_f32_e32 v12, v40, v44
	v_fmac_f32_e32 v27, v36, v44
	;; [unrolled: 1-line block ×16, first 2 shown]
	s_andn2_b32 exec_lo, exec_lo, s8
	s_cbranch_execnz .LBB44_19
; %bb.20:
	s_or_b32 exec_lo, exec_lo, s8
.LBB44_21:
	s_or_b32 exec_lo, exec_lo, s1
	s_mov_b32 s8, exec_lo
	v_cmpx_lt_u64_e32 0xbf, v[19:20]
	s_cbranch_execz .LBB44_25
; %bb.22:
	v_lshlrev_b64 v[19:20], 3, v[15:16]
	s_mov_b32 s9, 0
	v_add_co_u32 v11, vcc_lo, s12, v19
	v_add_co_ci_u32_e64 v20, null, s13, v20, vcc_lo
	v_add_co_u32 v19, vcc_lo, 0x400, v11
	v_add_co_ci_u32_e64 v20, null, 0, v20, vcc_lo
.LBB44_23:                              ; =>This Inner Loop Header: Depth=1
	global_load_dwordx2 v[52:53], v[19:20], off offset:-1024
	s_clause 0x3
	global_load_dwordx4 v[21:24], v[17:18], off offset:48
	global_load_dwordx4 v[28:31], v[17:18], off offset:32
	;; [unrolled: 1-line block ×3, first 2 shown]
	global_load_dwordx4 v[36:39], v[17:18], off
	s_clause 0x2
	global_load_dwordx2 v[56:57], v[19:20], off offset:-512
	global_load_dwordx2 v[60:61], v[19:20], off
	global_load_dwordx2 v[64:65], v[19:20], off offset:512
	v_add_co_u32 v58, vcc_lo, 0x1000, v17
	v_add_co_ci_u32_e64 v59, null, 0, v18, vcc_lo
	v_add_co_u32 v62, vcc_lo, 0x2000, v17
	v_add_co_ci_u32_e64 v63, null, 0, v18, vcc_lo
	;; [unrolled: 2-line block ×3, first 2 shown]
	s_clause 0x2
	global_load_dwordx4 v[40:43], v[58:59], off
	global_load_dwordx4 v[44:47], v[58:59], off offset:48
	global_load_dwordx4 v[48:51], v[58:59], off offset:32
	s_waitcnt vmcnt(10)
	v_sub_co_u32 v52, vcc_lo, v52, v1
	v_sub_co_ci_u32_e64 v53, null, v53, v2, vcc_lo
	v_lshlrev_b64 v[52:53], 4, v[52:53]
	v_add_co_u32 v52, vcc_lo, s6, v52
	v_add_co_ci_u32_e64 v53, null, s7, v53, vcc_lo
	s_waitcnt vmcnt(5)
	v_sub_co_u32 v56, vcc_lo, v56, v1
	v_sub_co_ci_u32_e64 v57, null, v57, v2, vcc_lo
	global_load_dwordx4 v[52:55], v[52:53], off
	v_lshlrev_b64 v[56:57], 4, v[56:57]
	v_add_co_u32 v56, vcc_lo, s6, v56
	v_add_co_ci_u32_e64 v57, null, s7, v57, vcc_lo
	s_waitcnt vmcnt(5)
	v_sub_co_u32 v68, vcc_lo, v60, v1
	v_sub_co_ci_u32_e64 v69, null, v61, v2, vcc_lo
	s_waitcnt vmcnt(0)
	v_fmac_f32_e32 v12, v36, v52
	v_fmac_f32_e32 v27, v32, v52
	;; [unrolled: 1-line block ×13, first 2 shown]
	global_load_dwordx4 v[36:39], v[58:59], off offset:16
	v_fmac_f32_e32 v27, v35, v55
	global_load_dwordx4 v[32:35], v[62:63], off offset:48
	v_fmac_f32_e32 v26, v31, v55
	global_load_dwordx4 v[28:31], v[62:63], off offset:32
	v_fmac_f32_e32 v25, v24, v55
	s_clause 0x1
	global_load_dwordx4 v[21:24], v[62:63], off
	global_load_dwordx4 v[52:55], v[62:63], off offset:16
	global_load_dwordx4 v[56:59], v[56:57], off
	global_load_dwordx4 v[60:63], v[66:67], off offset:16
	s_waitcnt vmcnt(1)
	v_fmac_f32_e32 v25, v44, v56
	v_fmac_f32_e32 v12, v40, v56
	;; [unrolled: 1-line block ×4, first 2 shown]
	v_sub_co_u32 v56, vcc_lo, v64, v1
	v_fmac_f32_e32 v25, v45, v57
	v_lshlrev_b64 v[44:45], 4, v[68:69]
	v_fmac_f32_e32 v12, v41, v57
	v_fmac_f32_e32 v27, v37, v57
	;; [unrolled: 1-line block ×4, first 2 shown]
	v_sub_co_ci_u32_e64 v57, null, v65, v2, vcc_lo
	v_add_co_u32 v44, s1, s6, v44
	v_add_co_ci_u32_e64 v45, null, s7, v45, s1
	v_fmac_f32_e32 v25, v47, v59
	v_lshlrev_b64 v[56:57], 4, v[56:57]
	v_fmac_f32_e32 v12, v42, v58
	global_load_dwordx4 v[44:47], v[44:45], off
	v_fmac_f32_e32 v27, v38, v58
	v_fmac_f32_e32 v26, v50, v58
	v_add_co_u32 v15, s1, 0x100, v15
	v_add_co_u32 v56, vcc_lo, s6, v56
	v_add_co_ci_u32_e64 v57, null, s7, v57, vcc_lo
	v_fmac_f32_e32 v12, v43, v59
	global_load_dwordx4 v[40:43], v[66:67], off
	v_fmac_f32_e32 v27, v39, v59
	global_load_dwordx4 v[36:39], v[66:67], off offset:48
	v_fmac_f32_e32 v26, v51, v59
	global_load_dwordx4 v[48:51], v[66:67], off offset:32
	global_load_dwordx4 v[56:59], v[56:57], off
	v_add_co_ci_u32_e64 v16, null, 0, v16, s1
	v_add_co_u32 v17, vcc_lo, 0x4000, v17
	v_add_co_ci_u32_e64 v18, null, 0, v18, vcc_lo
	v_cmp_ge_i64_e32 vcc_lo, v[15:16], v[7:8]
	v_add_co_u32 v19, s1, 0x800, v19
	v_add_co_ci_u32_e64 v20, null, 0, v20, s1
	s_or_b32 s9, vcc_lo, s9
	s_waitcnt vmcnt(4)
	v_fmac_f32_e32 v12, v21, v44
	v_fmac_f32_e32 v27, v52, v44
	v_fmac_f32_e32 v26, v28, v44
	v_fmac_f32_e32 v25, v32, v44
	v_fmac_f32_e32 v12, v22, v45
	v_fmac_f32_e32 v27, v53, v45
	v_fmac_f32_e32 v26, v29, v45
	v_fmac_f32_e32 v25, v33, v45
	v_fmac_f32_e32 v12, v23, v46
	v_fmac_f32_e32 v27, v54, v46
	v_fmac_f32_e32 v26, v30, v46
	v_fmac_f32_e32 v25, v34, v46
	v_fmac_f32_e32 v12, v24, v47
	v_fmac_f32_e32 v27, v55, v47
	v_fmac_f32_e32 v26, v31, v47
	v_fmac_f32_e32 v25, v35, v47
	s_waitcnt vmcnt(0)
	v_fmac_f32_e32 v12, v40, v56
	v_fmac_f32_e32 v27, v60, v56
	;; [unrolled: 1-line block ×16, first 2 shown]
	s_andn2_b32 exec_lo, exec_lo, s9
	s_cbranch_execnz .LBB44_23
; %bb.24:
	s_or_b32 exec_lo, exec_lo, s9
.LBB44_25:
	s_or_b32 exec_lo, exec_lo, s8
.LBB44_26:
	s_or_b32 exec_lo, exec_lo, s3
	s_cbranch_execz .LBB44_28
	s_branch .LBB44_39
.LBB44_27:
                                        ; implicit-def: $vgpr25
                                        ; implicit-def: $vgpr26
                                        ; implicit-def: $vgpr27
                                        ; implicit-def: $vgpr12
.LBB44_28:
	v_mov_b32_e32 v25, 0
	v_mov_b32_e32 v26, 0
	;; [unrolled: 1-line block ×4, first 2 shown]
	s_and_saveexec_b32 s1, s0
	s_cbranch_execz .LBB44_38
; %bb.29:
	v_or_b32_e32 v11, 64, v0
	v_sub_co_u32 v15, s0, v1, v0
	v_subrev_co_ci_u32_e64 v16, null, 0, v2, s0
	v_sub_co_u32 v11, vcc_lo, v11, v1
	v_sub_co_ci_u32_e64 v12, null, 0, v2, vcc_lo
	s_mov_b32 s0, exec_lo
	v_add_co_u32 v11, vcc_lo, v11, v13
	v_add_co_ci_u32_e64 v12, null, v12, v14, vcc_lo
	v_not_b32_e32 v13, v13
	v_not_b32_e32 v14, v14
	v_cmp_gt_i64_e32 vcc_lo, v[11:12], v[7:8]
	v_cndmask_b32_e32 v17, v8, v12, vcc_lo
	v_cndmask_b32_e32 v11, v7, v11, vcc_lo
	v_add_co_u32 v12, vcc_lo, v15, v13
	v_add_co_ci_u32_e64 v14, null, v16, v14, vcc_lo
	v_add_co_u32 v13, vcc_lo, v12, v11
	v_mov_b32_e32 v12, 0
	v_add_co_ci_u32_e64 v14, null, v14, v17, vcc_lo
	v_and_b32_e32 v11, 0xc0, v13
	v_mov_b32_e32 v27, v12
	v_mov_b32_e32 v26, v12
	v_mov_b32_e32 v25, v12
	v_cmpx_ne_u64_e32 0xc0, v[11:12]
	s_cbranch_execz .LBB44_33
; %bb.30:
	v_lshrrev_b32_e32 v11, 6, v13
	v_mov_b32_e32 v25, 0
	v_mov_b32_e32 v26, 0
	;; [unrolled: 1-line block ×3, first 2 shown]
	v_add_nc_u32_e32 v15, 1, v11
	v_lshlrev_b64 v[11:12], 3, v[5:6]
	v_and_b32_e32 v17, 3, v15
	v_add_co_u32 v15, vcc_lo, s12, v11
	v_add_co_ci_u32_e64 v16, null, s13, v12, vcc_lo
	v_sub_co_u32 v17, s3, 0, v17
	v_sub_co_ci_u32_e64 v18, null, 0, 0, s3
	v_mov_b32_e32 v12, 0
	s_mov_b32 s3, 0
.LBB44_31:                              ; =>This Inner Loop Header: Depth=1
	global_load_dwordx2 v[23:24], v[15:16], off
	s_clause 0x1
	global_load_dwordx4 v[19:22], v[9:10], off offset:16
	global_load_dwordx4 v[28:31], v[9:10], off
	s_waitcnt vmcnt(2)
	v_sub_co_u32 v23, vcc_lo, v23, v1
	v_sub_co_ci_u32_e64 v24, null, v24, v2, vcc_lo
	v_lshlrev_b64 v[23:24], 4, v[23:24]
	v_add_co_u32 v23, vcc_lo, s6, v23
	v_add_co_ci_u32_e64 v24, null, s7, v24, vcc_lo
	global_load_dwordx4 v[32:35], v[23:24], off
	s_clause 0x1
	global_load_dwordx4 v[36:39], v[9:10], off offset:32
	global_load_dwordx4 v[40:43], v[9:10], off offset:48
	v_add_co_u32 v9, vcc_lo, 0x1000, v9
	v_add_co_ci_u32_e64 v10, null, 0, v10, vcc_lo
	v_add_co_u32 v5, vcc_lo, v5, 64
	v_add_co_ci_u32_e64 v6, null, 0, v6, vcc_lo
	;; [unrolled: 2-line block ×4, first 2 shown]
	v_cmp_eq_u64_e32 vcc_lo, 0, v[17:18]
	s_or_b32 s3, vcc_lo, s3
	s_waitcnt vmcnt(2)
	v_fmac_f32_e32 v12, v28, v32
	v_fmac_f32_e32 v27, v29, v32
	;; [unrolled: 1-line block ×8, first 2 shown]
	s_waitcnt vmcnt(1)
	v_fmac_f32_e32 v12, v36, v34
	v_fmac_f32_e32 v27, v37, v34
	;; [unrolled: 1-line block ×4, first 2 shown]
	s_waitcnt vmcnt(0)
	v_fmac_f32_e32 v12, v40, v35
	v_fmac_f32_e32 v27, v41, v35
	;; [unrolled: 1-line block ×4, first 2 shown]
	s_andn2_b32 exec_lo, exec_lo, s3
	s_cbranch_execnz .LBB44_31
; %bb.32:
	s_or_b32 exec_lo, exec_lo, s3
.LBB44_33:
	s_or_b32 exec_lo, exec_lo, s0
	s_mov_b32 s3, exec_lo
	v_cmpx_lt_u64_e32 0xbf, v[13:14]
	s_cbranch_execz .LBB44_37
; %bb.34:
	v_lshlrev_b64 v[13:14], 3, v[5:6]
	s_mov_b32 s8, 0
	v_add_co_u32 v11, vcc_lo, s12, v13
	v_add_co_ci_u32_e64 v14, null, s13, v14, vcc_lo
	v_add_co_u32 v13, vcc_lo, 0x400, v11
	v_add_co_ci_u32_e64 v14, null, 0, v14, vcc_lo
.LBB44_35:                              ; =>This Inner Loop Header: Depth=1
	global_load_dwordx2 v[23:24], v[13:14], off offset:-1024
	s_clause 0x3
	global_load_dwordx4 v[15:18], v[9:10], off offset:48
	global_load_dwordx4 v[19:22], v[9:10], off offset:32
	;; [unrolled: 1-line block ×3, first 2 shown]
	global_load_dwordx4 v[32:35], v[9:10], off
	v_add_co_u32 v52, vcc_lo, 0x1000, v9
	v_add_co_ci_u32_e64 v53, null, 0, v10, vcc_lo
	v_add_co_u32 v56, vcc_lo, 0x2000, v9
	v_add_co_ci_u32_e64 v57, null, 0, v10, vcc_lo
	;; [unrolled: 2-line block ×3, first 2 shown]
	s_clause 0x2
	global_load_dwordx2 v[54:55], v[13:14], off offset:-512
	global_load_dwordx2 v[58:59], v[13:14], off
	global_load_dwordx2 v[60:61], v[13:14], off offset:512
	s_clause 0x2
	global_load_dwordx4 v[36:39], v[52:53], off
	global_load_dwordx4 v[40:43], v[52:53], off offset:48
	global_load_dwordx4 v[44:47], v[52:53], off offset:32
	s_waitcnt vmcnt(10)
	v_sub_co_u32 v23, vcc_lo, v23, v1
	v_sub_co_ci_u32_e64 v24, null, v24, v2, vcc_lo
	v_lshlrev_b64 v[23:24], 4, v[23:24]
	v_add_co_u32 v23, vcc_lo, s6, v23
	v_add_co_ci_u32_e64 v24, null, s7, v24, vcc_lo
	global_load_dwordx4 v[48:51], v[23:24], off
	s_waitcnt vmcnt(6)
	v_sub_co_u32 v23, vcc_lo, v54, v1
	v_sub_co_ci_u32_e64 v24, null, v55, v2, vcc_lo
	v_lshlrev_b64 v[23:24], 4, v[23:24]
	v_add_co_u32 v23, s0, s6, v23
	v_add_co_ci_u32_e64 v24, null, s7, v24, s0
	s_waitcnt vmcnt(0)
	v_fmac_f32_e32 v12, v32, v48
	v_fmac_f32_e32 v27, v33, v48
	;; [unrolled: 1-line block ×4, first 2 shown]
	global_load_dwordx4 v[32:35], v[52:53], off offset:16
	v_fmac_f32_e32 v12, v28, v49
	v_fmac_f32_e32 v27, v29, v49
	;; [unrolled: 1-line block ×4, first 2 shown]
	global_load_dwordx4 v[28:31], v[56:57], off
	v_fmac_f32_e32 v12, v19, v50
	v_fmac_f32_e32 v27, v20, v50
	;; [unrolled: 1-line block ×4, first 2 shown]
	v_sub_co_u32 v52, vcc_lo, v58, v1
	v_fmac_f32_e32 v12, v15, v51
	v_fmac_f32_e32 v27, v16, v51
	;; [unrolled: 1-line block ×4, first 2 shown]
	global_load_dwordx4 v[48:51], v[23:24], off
	v_sub_co_ci_u32_e64 v53, null, v59, v2, vcc_lo
	v_sub_co_u32 v58, vcc_lo, v60, v1
	v_sub_co_ci_u32_e64 v59, null, v61, v2, vcc_lo
	v_lshlrev_b64 v[23:24], 4, v[52:53]
	s_clause 0x1
	global_load_dwordx4 v[19:22], v[56:57], off offset:48
	global_load_dwordx4 v[15:18], v[56:57], off offset:16
	v_add_co_u32 v23, vcc_lo, s6, v23
	v_add_co_ci_u32_e64 v24, null, s7, v24, vcc_lo
	global_load_dwordx4 v[52:55], v[23:24], off
	v_lshlrev_b64 v[23:24], 4, v[58:59]
	global_load_dwordx4 v[56:59], v[56:57], off offset:32
	v_add_co_u32 v23, vcc_lo, s6, v23
	v_add_co_ci_u32_e64 v24, null, s7, v24, vcc_lo
	v_add_co_u32 v5, vcc_lo, 0x100, v5
	v_add_co_ci_u32_e64 v6, null, 0, v6, vcc_lo
	;; [unrolled: 2-line block ×4, first 2 shown]
	v_cmp_ge_i64_e32 vcc_lo, v[5:6], v[7:8]
	s_or_b32 s8, vcc_lo, s8
	s_waitcnt vmcnt(4)
	v_fmac_f32_e32 v12, v36, v48
	v_fmac_f32_e32 v27, v37, v48
	;; [unrolled: 1-line block ×4, first 2 shown]
	global_load_dwordx4 v[36:39], v[62:63], off
	v_fmac_f32_e32 v12, v32, v49
	v_fmac_f32_e32 v27, v33, v49
	;; [unrolled: 1-line block ×4, first 2 shown]
	global_load_dwordx4 v[32:35], v[23:24], off
	v_fmac_f32_e32 v12, v44, v50
	v_fmac_f32_e32 v27, v45, v50
	;; [unrolled: 1-line block ×4, first 2 shown]
	global_load_dwordx4 v[44:47], v[62:63], off offset:16
	v_fmac_f32_e32 v12, v40, v51
	v_fmac_f32_e32 v27, v41, v51
	;; [unrolled: 1-line block ×4, first 2 shown]
	s_clause 0x1
	global_load_dwordx4 v[40:43], v[62:63], off offset:32
	global_load_dwordx4 v[48:51], v[62:63], off offset:48
	s_waitcnt vmcnt(6)
	v_fmac_f32_e32 v12, v28, v52
	v_fmac_f32_e32 v27, v29, v52
	;; [unrolled: 1-line block ×8, first 2 shown]
	s_waitcnt vmcnt(5)
	v_fmac_f32_e32 v12, v56, v54
	v_fmac_f32_e32 v27, v57, v54
	;; [unrolled: 1-line block ×8, first 2 shown]
	s_waitcnt vmcnt(3)
	v_fmac_f32_e32 v12, v36, v32
	v_fmac_f32_e32 v27, v37, v32
	v_fmac_f32_e32 v26, v38, v32
	v_fmac_f32_e32 v25, v39, v32
	s_waitcnt vmcnt(2)
	v_fmac_f32_e32 v12, v44, v33
	v_fmac_f32_e32 v27, v45, v33
	v_fmac_f32_e32 v26, v46, v33
	v_fmac_f32_e32 v25, v47, v33
	;; [unrolled: 5-line block ×4, first 2 shown]
	s_andn2_b32 exec_lo, exec_lo, s8
	s_cbranch_execnz .LBB44_35
; %bb.36:
	s_or_b32 exec_lo, exec_lo, s8
.LBB44_37:
	s_or_b32 exec_lo, exec_lo, s3
.LBB44_38:
	s_or_b32 exec_lo, exec_lo, s1
.LBB44_39:
	v_mbcnt_lo_u32_b32 v1, -1, 0
	s_mov_b32 s3, -1
	v_or_b32_e32 v2, 32, v1
	v_xor_b32_e32 v8, 16, v1
	v_cmp_gt_i32_e32 vcc_lo, 32, v2
	v_cndmask_b32_e32 v2, v1, v2, vcc_lo
	v_cmp_gt_i32_e32 vcc_lo, 32, v8
	v_lshlrev_b32_e32 v2, 2, v2
	v_cndmask_b32_e32 v8, v1, v8, vcc_lo
	ds_bpermute_b32 v5, v2, v12
	ds_bpermute_b32 v6, v2, v27
	;; [unrolled: 1-line block ×4, first 2 shown]
	v_lshlrev_b32_e32 v8, 2, v8
	s_waitcnt lgkmcnt(3)
	v_add_f32_e32 v5, v12, v5
	s_waitcnt lgkmcnt(2)
	v_add_f32_e32 v6, v27, v6
	;; [unrolled: 2-line block ×4, first 2 shown]
	v_xor_b32_e32 v12, 8, v1
	ds_bpermute_b32 v9, v8, v5
	ds_bpermute_b32 v10, v8, v6
	;; [unrolled: 1-line block ×4, first 2 shown]
	v_cmp_gt_i32_e32 vcc_lo, 32, v12
	v_cndmask_b32_e32 v12, v1, v12, vcc_lo
	v_lshlrev_b32_e32 v12, 2, v12
	s_waitcnt lgkmcnt(3)
	v_add_f32_e32 v5, v5, v9
	s_waitcnt lgkmcnt(2)
	v_add_f32_e32 v6, v6, v10
	s_waitcnt lgkmcnt(1)
	v_add_f32_e32 v7, v7, v11
	s_waitcnt lgkmcnt(0)
	v_add_f32_e32 v2, v2, v8
	ds_bpermute_b32 v8, v12, v5
	ds_bpermute_b32 v9, v12, v6
	ds_bpermute_b32 v10, v12, v7
	ds_bpermute_b32 v11, v12, v2
	v_xor_b32_e32 v12, 4, v1
	v_cmp_gt_i32_e32 vcc_lo, 32, v12
	v_cndmask_b32_e32 v12, v1, v12, vcc_lo
	v_lshlrev_b32_e32 v12, 2, v12
	s_waitcnt lgkmcnt(3)
	v_add_f32_e32 v5, v5, v8
	s_waitcnt lgkmcnt(2)
	v_add_f32_e32 v6, v6, v9
	s_waitcnt lgkmcnt(1)
	v_add_f32_e32 v7, v7, v10
	s_waitcnt lgkmcnt(0)
	v_add_f32_e32 v2, v2, v11
	ds_bpermute_b32 v8, v12, v5
	ds_bpermute_b32 v9, v12, v6
	ds_bpermute_b32 v10, v12, v7
	ds_bpermute_b32 v11, v12, v2
	v_xor_b32_e32 v12, 2, v1
	v_cmp_gt_i32_e32 vcc_lo, 32, v12
	v_cndmask_b32_e32 v12, v1, v12, vcc_lo
	v_lshlrev_b32_e32 v12, 2, v12
	s_waitcnt lgkmcnt(3)
	v_add_f32_e32 v5, v5, v8
	s_waitcnt lgkmcnt(2)
	v_add_f32_e32 v6, v6, v9
	s_waitcnt lgkmcnt(1)
	v_add_f32_e32 v7, v7, v10
	s_waitcnt lgkmcnt(0)
	v_add_f32_e32 v8, v2, v11
	ds_bpermute_b32 v2, v12, v5
	ds_bpermute_b32 v9, v12, v6
	ds_bpermute_b32 v10, v12, v7
	ds_bpermute_b32 v11, v12, v8
	v_xor_b32_e32 v12, 1, v1
	v_cmp_gt_i32_e32 vcc_lo, 32, v12
	v_cndmask_b32_e32 v1, v1, v12, vcc_lo
	v_cmp_eq_u32_e32 vcc_lo, 63, v0
	v_lshlrev_b32_e32 v12, 2, v1
	s_waitcnt lgkmcnt(3)
	v_add_f32_e32 v1, v5, v2
	s_waitcnt lgkmcnt(2)
	v_add_f32_e32 v2, v6, v9
	;; [unrolled: 2-line block ×4, first 2 shown]
	ds_bpermute_b32 v7, v12, v1
	ds_bpermute_b32 v8, v12, v2
	;; [unrolled: 1-line block ×4, first 2 shown]
	s_and_b32 exec_lo, exec_lo, vcc_lo
	s_cbranch_execz .LBB44_10
; %bb.40:
	s_load_dwordx2 s[0:1], s[4:5], 0x58
	s_waitcnt lgkmcnt(0)
	v_add_f32_e32 v0, v1, v7
	v_add_f32_e32 v1, v2, v8
	;; [unrolled: 1-line block ×4, first 2 shown]
	v_cmp_eq_f32_e64 s4, s2, 0
	v_lshlrev_b64 v[4:5], 4, v[3:4]
	v_mul_f32_e32 v0, s16, v0
	v_mul_f32_e32 v1, s16, v1
	;; [unrolled: 1-line block ×4, first 2 shown]
	s_and_b32 vcc_lo, exec_lo, s4
	s_cbranch_vccz .LBB44_42
; %bb.41:
	v_add_co_u32 v6, vcc_lo, s0, v4
	v_add_co_ci_u32_e64 v7, null, s1, v5, vcc_lo
	s_mov_b32 s3, 0
	global_store_dwordx4 v[6:7], v[0:3], off
.LBB44_42:
	s_andn2_b32 vcc_lo, exec_lo, s3
	s_cbranch_vccnz .LBB44_10
; %bb.43:
	v_add_co_u32 v8, vcc_lo, s0, v4
	v_add_co_ci_u32_e64 v9, null, s1, v5, vcc_lo
	global_load_dwordx4 v[4:7], v[8:9], off
	s_waitcnt vmcnt(0)
	v_fmac_f32_e32 v0, s2, v4
	v_fmac_f32_e32 v1, s2, v5
	;; [unrolled: 1-line block ×4, first 2 shown]
	global_store_dwordx4 v[8:9], v[0:3], off
	s_endpgm
	.section	.rodata,"a",@progbits
	.p2align	6, 0x0
	.amdhsa_kernel _ZN9rocsparseL18bsrxmvn_4x4_kernelILj128ELj64EfllfffEEvT3_20rocsparse_direction_NS_24const_host_device_scalarIT1_EES1_PKS1_PKT2_SA_S7_PKT4_PKT5_S5_PT6_21rocsparse_index_base_b
		.amdhsa_group_segment_fixed_size 0
		.amdhsa_private_segment_fixed_size 0
		.amdhsa_kernarg_size 104
		.amdhsa_user_sgpr_count 6
		.amdhsa_user_sgpr_private_segment_buffer 1
		.amdhsa_user_sgpr_dispatch_ptr 0
		.amdhsa_user_sgpr_queue_ptr 0
		.amdhsa_user_sgpr_kernarg_segment_ptr 1
		.amdhsa_user_sgpr_dispatch_id 0
		.amdhsa_user_sgpr_flat_scratch_init 0
		.amdhsa_user_sgpr_private_segment_size 0
		.amdhsa_wavefront_size32 1
		.amdhsa_uses_dynamic_stack 0
		.amdhsa_system_sgpr_private_segment_wavefront_offset 0
		.amdhsa_system_sgpr_workgroup_id_x 1
		.amdhsa_system_sgpr_workgroup_id_y 0
		.amdhsa_system_sgpr_workgroup_id_z 0
		.amdhsa_system_sgpr_workgroup_info 0
		.amdhsa_system_vgpr_workitem_id 0
		.amdhsa_next_free_vgpr 70
		.amdhsa_next_free_sgpr 20
		.amdhsa_reserve_vcc 1
		.amdhsa_reserve_flat_scratch 0
		.amdhsa_float_round_mode_32 0
		.amdhsa_float_round_mode_16_64 0
		.amdhsa_float_denorm_mode_32 3
		.amdhsa_float_denorm_mode_16_64 3
		.amdhsa_dx10_clamp 1
		.amdhsa_ieee_mode 1
		.amdhsa_fp16_overflow 0
		.amdhsa_workgroup_processor_mode 1
		.amdhsa_memory_ordered 1
		.amdhsa_forward_progress 1
		.amdhsa_shared_vgpr_count 0
		.amdhsa_exception_fp_ieee_invalid_op 0
		.amdhsa_exception_fp_denorm_src 0
		.amdhsa_exception_fp_ieee_div_zero 0
		.amdhsa_exception_fp_ieee_overflow 0
		.amdhsa_exception_fp_ieee_underflow 0
		.amdhsa_exception_fp_ieee_inexact 0
		.amdhsa_exception_int_div_zero 0
	.end_amdhsa_kernel
	.section	.text._ZN9rocsparseL18bsrxmvn_4x4_kernelILj128ELj64EfllfffEEvT3_20rocsparse_direction_NS_24const_host_device_scalarIT1_EES1_PKS1_PKT2_SA_S7_PKT4_PKT5_S5_PT6_21rocsparse_index_base_b,"axG",@progbits,_ZN9rocsparseL18bsrxmvn_4x4_kernelILj128ELj64EfllfffEEvT3_20rocsparse_direction_NS_24const_host_device_scalarIT1_EES1_PKS1_PKT2_SA_S7_PKT4_PKT5_S5_PT6_21rocsparse_index_base_b,comdat
.Lfunc_end44:
	.size	_ZN9rocsparseL18bsrxmvn_4x4_kernelILj128ELj64EfllfffEEvT3_20rocsparse_direction_NS_24const_host_device_scalarIT1_EES1_PKS1_PKT2_SA_S7_PKT4_PKT5_S5_PT6_21rocsparse_index_base_b, .Lfunc_end44-_ZN9rocsparseL18bsrxmvn_4x4_kernelILj128ELj64EfllfffEEvT3_20rocsparse_direction_NS_24const_host_device_scalarIT1_EES1_PKS1_PKT2_SA_S7_PKT4_PKT5_S5_PT6_21rocsparse_index_base_b
                                        ; -- End function
	.set _ZN9rocsparseL18bsrxmvn_4x4_kernelILj128ELj64EfllfffEEvT3_20rocsparse_direction_NS_24const_host_device_scalarIT1_EES1_PKS1_PKT2_SA_S7_PKT4_PKT5_S5_PT6_21rocsparse_index_base_b.num_vgpr, 70
	.set _ZN9rocsparseL18bsrxmvn_4x4_kernelILj128ELj64EfllfffEEvT3_20rocsparse_direction_NS_24const_host_device_scalarIT1_EES1_PKS1_PKT2_SA_S7_PKT4_PKT5_S5_PT6_21rocsparse_index_base_b.num_agpr, 0
	.set _ZN9rocsparseL18bsrxmvn_4x4_kernelILj128ELj64EfllfffEEvT3_20rocsparse_direction_NS_24const_host_device_scalarIT1_EES1_PKS1_PKT2_SA_S7_PKT4_PKT5_S5_PT6_21rocsparse_index_base_b.numbered_sgpr, 20
	.set _ZN9rocsparseL18bsrxmvn_4x4_kernelILj128ELj64EfllfffEEvT3_20rocsparse_direction_NS_24const_host_device_scalarIT1_EES1_PKS1_PKT2_SA_S7_PKT4_PKT5_S5_PT6_21rocsparse_index_base_b.num_named_barrier, 0
	.set _ZN9rocsparseL18bsrxmvn_4x4_kernelILj128ELj64EfllfffEEvT3_20rocsparse_direction_NS_24const_host_device_scalarIT1_EES1_PKS1_PKT2_SA_S7_PKT4_PKT5_S5_PT6_21rocsparse_index_base_b.private_seg_size, 0
	.set _ZN9rocsparseL18bsrxmvn_4x4_kernelILj128ELj64EfllfffEEvT3_20rocsparse_direction_NS_24const_host_device_scalarIT1_EES1_PKS1_PKT2_SA_S7_PKT4_PKT5_S5_PT6_21rocsparse_index_base_b.uses_vcc, 1
	.set _ZN9rocsparseL18bsrxmvn_4x4_kernelILj128ELj64EfllfffEEvT3_20rocsparse_direction_NS_24const_host_device_scalarIT1_EES1_PKS1_PKT2_SA_S7_PKT4_PKT5_S5_PT6_21rocsparse_index_base_b.uses_flat_scratch, 0
	.set _ZN9rocsparseL18bsrxmvn_4x4_kernelILj128ELj64EfllfffEEvT3_20rocsparse_direction_NS_24const_host_device_scalarIT1_EES1_PKS1_PKT2_SA_S7_PKT4_PKT5_S5_PT6_21rocsparse_index_base_b.has_dyn_sized_stack, 0
	.set _ZN9rocsparseL18bsrxmvn_4x4_kernelILj128ELj64EfllfffEEvT3_20rocsparse_direction_NS_24const_host_device_scalarIT1_EES1_PKS1_PKT2_SA_S7_PKT4_PKT5_S5_PT6_21rocsparse_index_base_b.has_recursion, 0
	.set _ZN9rocsparseL18bsrxmvn_4x4_kernelILj128ELj64EfllfffEEvT3_20rocsparse_direction_NS_24const_host_device_scalarIT1_EES1_PKS1_PKT2_SA_S7_PKT4_PKT5_S5_PT6_21rocsparse_index_base_b.has_indirect_call, 0
	.section	.AMDGPU.csdata,"",@progbits
; Kernel info:
; codeLenInByte = 3972
; TotalNumSgprs: 22
; NumVgprs: 70
; ScratchSize: 0
; MemoryBound: 0
; FloatMode: 240
; IeeeMode: 1
; LDSByteSize: 0 bytes/workgroup (compile time only)
; SGPRBlocks: 0
; VGPRBlocks: 8
; NumSGPRsForWavesPerEU: 22
; NumVGPRsForWavesPerEU: 70
; Occupancy: 12
; WaveLimiterHint : 1
; COMPUTE_PGM_RSRC2:SCRATCH_EN: 0
; COMPUTE_PGM_RSRC2:USER_SGPR: 6
; COMPUTE_PGM_RSRC2:TRAP_HANDLER: 0
; COMPUTE_PGM_RSRC2:TGID_X_EN: 1
; COMPUTE_PGM_RSRC2:TGID_Y_EN: 0
; COMPUTE_PGM_RSRC2:TGID_Z_EN: 0
; COMPUTE_PGM_RSRC2:TIDIG_COMP_CNT: 0
	.section	.text._ZN9rocsparseL18bsrxmvn_4x4_kernelILj128ELj4EdlldddEEvT3_20rocsparse_direction_NS_24const_host_device_scalarIT1_EES1_PKS1_PKT2_SA_S7_PKT4_PKT5_S5_PT6_21rocsparse_index_base_b,"axG",@progbits,_ZN9rocsparseL18bsrxmvn_4x4_kernelILj128ELj4EdlldddEEvT3_20rocsparse_direction_NS_24const_host_device_scalarIT1_EES1_PKS1_PKT2_SA_S7_PKT4_PKT5_S5_PT6_21rocsparse_index_base_b,comdat
	.globl	_ZN9rocsparseL18bsrxmvn_4x4_kernelILj128ELj4EdlldddEEvT3_20rocsparse_direction_NS_24const_host_device_scalarIT1_EES1_PKS1_PKT2_SA_S7_PKT4_PKT5_S5_PT6_21rocsparse_index_base_b ; -- Begin function _ZN9rocsparseL18bsrxmvn_4x4_kernelILj128ELj4EdlldddEEvT3_20rocsparse_direction_NS_24const_host_device_scalarIT1_EES1_PKS1_PKT2_SA_S7_PKT4_PKT5_S5_PT6_21rocsparse_index_base_b
	.p2align	8
	.type	_ZN9rocsparseL18bsrxmvn_4x4_kernelILj128ELj4EdlldddEEvT3_20rocsparse_direction_NS_24const_host_device_scalarIT1_EES1_PKS1_PKT2_SA_S7_PKT4_PKT5_S5_PT6_21rocsparse_index_base_b,@function
_ZN9rocsparseL18bsrxmvn_4x4_kernelILj128ELj4EdlldddEEvT3_20rocsparse_direction_NS_24const_host_device_scalarIT1_EES1_PKS1_PKT2_SA_S7_PKT4_PKT5_S5_PT6_21rocsparse_index_base_b: ; @_ZN9rocsparseL18bsrxmvn_4x4_kernelILj128ELj4EdlldddEEvT3_20rocsparse_direction_NS_24const_host_device_scalarIT1_EES1_PKS1_PKT2_SA_S7_PKT4_PKT5_S5_PT6_21rocsparse_index_base_b
; %bb.0:
	s_clause 0x2
	s_load_dwordx2 s[8:9], s[4:5], 0x60
	s_load_dwordx4 s[0:3], s[4:5], 0x10
	s_load_dwordx2 s[10:11], s[4:5], 0x50
	s_waitcnt lgkmcnt(0)
	s_bitcmp1_b32 s9, 0
	v_mov_b32_e32 v3, s1
	v_mov_b32_e32 v2, s0
	s_cselect_b32 s7, -1, 0
	s_and_b32 vcc_lo, exec_lo, s7
	s_xor_b32 s7, s7, -1
	s_cbranch_vccnz .LBB45_2
; %bb.1:
	v_mov_b32_e32 v2, s1
	v_mov_b32_e32 v1, s0
	flat_load_dwordx2 v[2:3], v[1:2]
.LBB45_2:
	v_mov_b32_e32 v8, s10
	v_mov_b32_e32 v9, s11
	s_andn2_b32 vcc_lo, exec_lo, s7
	s_cbranch_vccnz .LBB45_4
; %bb.3:
	v_mov_b32_e32 v4, s10
	v_mov_b32_e32 v5, s11
	flat_load_dwordx2 v[8:9], v[4:5]
.LBB45_4:
	s_waitcnt vmcnt(0) lgkmcnt(0)
	v_cmp_neq_f64_e32 vcc_lo, 0, v[2:3]
	v_cmp_neq_f64_e64 s0, 1.0, v[8:9]
	s_or_b32 s0, vcc_lo, s0
	s_and_saveexec_b32 s1, s0
	s_cbranch_execz .LBB45_10
; %bb.5:
	s_load_dwordx2 s[0:1], s[4:5], 0x20
	v_lshrrev_b32_e32 v1, 2, v0
	v_mov_b32_e32 v7, 0
	v_lshl_or_b32 v6, s6, 5, v1
	s_waitcnt lgkmcnt(0)
	s_cmp_lg_u64 s[0:1], 0
	s_cbranch_scc0 .LBB45_11
; %bb.6:
	v_cmp_gt_i64_e32 vcc_lo, s[2:3], v[6:7]
	s_mov_b32 s3, 0
	s_mov_b32 s2, 0
                                        ; implicit-def: $vgpr10_vgpr11
                                        ; implicit-def: $vgpr4_vgpr5
	s_and_saveexec_b32 s6, vcc_lo
	s_xor_b32 s6, exec_lo, s6
	s_cbranch_execz .LBB45_8
; %bb.7:
	v_lshlrev_b64 v[4:5], 3, v[6:7]
	s_mov_b32 s9, 0
	s_mov_b32 s2, exec_lo
	v_add_co_u32 v4, vcc_lo, s0, v4
	v_add_co_ci_u32_e64 v5, null, s1, v5, vcc_lo
	global_load_dwordx2 v[4:5], v[4:5], off
	s_waitcnt vmcnt(0)
	v_sub_co_u32 v10, vcc_lo, v4, s8
	v_subrev_co_ci_u32_e64 v11, null, 0, v5, vcc_lo
	v_mov_b32_e32 v4, s8
	v_mov_b32_e32 v5, s9
.LBB45_8:
	s_or_b32 exec_lo, exec_lo, s6
	s_and_b32 vcc_lo, exec_lo, s3
	s_cbranch_vccnz .LBB45_12
.LBB45_9:
	s_and_b32 exec_lo, exec_lo, s2
	s_cbranch_execnz .LBB45_15
.LBB45_10:
	s_endpgm
.LBB45_11:
	s_mov_b32 s2, 0
                                        ; implicit-def: $vgpr10_vgpr11
                                        ; implicit-def: $vgpr4_vgpr5
	s_cbranch_execz .LBB45_9
.LBB45_12:
	s_load_dwordx2 s[0:1], s[4:5], 0x0
	s_waitcnt lgkmcnt(0)
	v_cmp_gt_i64_e32 vcc_lo, s[0:1], v[6:7]
	s_and_saveexec_b32 s0, vcc_lo
; %bb.13:
	s_mov_b32 s9, 0
	s_or_b32 s2, s2, exec_lo
; %bb.14:
	s_or_b32 exec_lo, exec_lo, s0
	v_mov_b32_e32 v4, s8
	v_mov_b32_e32 v11, v7
	;; [unrolled: 1-line block ×4, first 2 shown]
	s_and_b32 exec_lo, exec_lo, s2
	s_cbranch_execz .LBB45_10
.LBB45_15:
	s_load_dwordx8 s[8:15], s[4:5], 0x28
	v_lshlrev_b64 v[6:7], 3, v[10:11]
	v_and_b32_e32 v34, 3, v0
	s_clause 0x1
	s_load_dword s1, s[4:5], 0x8
	s_load_dwordx2 s[2:3], s[4:5], 0x48
	s_waitcnt lgkmcnt(0)
	v_add_co_u32 v12, vcc_lo, s8, v6
	v_add_co_ci_u32_e64 v13, null, s9, v7, vcc_lo
	v_add_co_u32 v1, vcc_lo, s10, v6
	v_add_co_ci_u32_e64 v6, null, s11, v7, vcc_lo
	v_add_co_u32 v14, vcc_lo, v12, 8
	global_load_dwordx2 v[22:23], v[12:13], off
	v_add_co_ci_u32_e64 v7, null, 0, v13, vcc_lo
	s_cmp_eq_u64 s[10:11], 0
	s_cselect_b32 vcc_lo, -1, 0
	s_cmp_eq_u32 s1, 1
	v_cndmask_b32_e32 v7, v6, v7, vcc_lo
	v_cndmask_b32_e32 v6, v1, v14, vcc_lo
	global_load_dwordx2 v[6:7], v[6:7], off
	s_waitcnt vmcnt(1)
	v_sub_co_u32 v0, vcc_lo, v22, v4
	v_sub_co_ci_u32_e64 v1, null, v23, v5, vcc_lo
	v_add_co_u32 v0, vcc_lo, v0, v34
	v_add_co_ci_u32_e64 v1, null, 0, v1, vcc_lo
	v_lshlrev_b64 v[12:13], 7, v[0:1]
	s_waitcnt vmcnt(0)
	v_sub_co_u32 v6, vcc_lo, v6, v4
	v_sub_co_ci_u32_e64 v7, null, v7, v5, vcc_lo
	v_add_co_u32 v12, vcc_lo, s14, v12
	v_cmp_lt_i64_e64 s0, v[0:1], v[6:7]
	v_add_co_ci_u32_e64 v13, null, s15, v13, vcc_lo
	s_cbranch_scc1 .LBB45_27
; %bb.16:
	v_mov_b32_e32 v14, 0
	v_mov_b32_e32 v16, 0
	;; [unrolled: 1-line block ×8, first 2 shown]
	s_and_saveexec_b32 s6, s0
	s_cbranch_execz .LBB45_26
; %bb.17:
	v_or_b32_e32 v14, 4, v34
	v_not_b32_e32 v17, v22
	v_sub_co_u32 v18, s1, v4, v34
	v_not_b32_e32 v16, v23
	v_sub_co_u32 v14, vcc_lo, v14, v4
	v_sub_co_ci_u32_e64 v15, null, 0, v5, vcc_lo
	v_subrev_co_ci_u32_e64 v19, null, 0, v5, s1
	v_add_co_u32 v14, vcc_lo, v14, v22
	v_add_co_ci_u32_e64 v15, null, v15, v23, vcc_lo
	v_mov_b32_e32 v25, 0
	v_mov_b32_e32 v20, 0
	;; [unrolled: 1-line block ×3, first 2 shown]
	v_cmp_gt_i64_e32 vcc_lo, v[14:15], v[6:7]
	v_mov_b32_e32 v21, 0
	v_mov_b32_e32 v26, v0
	v_cndmask_b32_e32 v15, v7, v15, vcc_lo
	v_cndmask_b32_e32 v14, v6, v14, vcc_lo
	v_add_co_u32 v17, vcc_lo, v18, v17
	v_add_co_ci_u32_e64 v16, null, v19, v16, vcc_lo
	v_mov_b32_e32 v18, 0
	v_add_co_u32 v28, vcc_lo, v17, v14
	v_add_co_ci_u32_e64 v29, null, v16, v15, vcc_lo
	v_mov_b32_e32 v16, 0
	v_and_b32_e32 v24, 12, v28
	v_mov_b32_e32 v14, 0
	v_mov_b32_e32 v19, 0
	;; [unrolled: 1-line block ×4, first 2 shown]
	v_cmp_ne_u64_e32 vcc_lo, 12, v[24:25]
	v_mov_b32_e32 v25, v13
	v_mov_b32_e32 v24, v12
	s_and_saveexec_b32 s7, vcc_lo
	s_cbranch_execz .LBB45_21
; %bb.18:
	v_lshrrev_b32_e32 v14, 2, v28
	v_lshlrev_b64 v[20:21], 3, v[0:1]
	v_mov_b32_e32 v25, v13
	v_mov_b32_e32 v16, 0
	v_mov_b32_e32 v18, 0
	v_add_nc_u32_e32 v26, 1, v14
	v_mov_b32_e32 v14, 0
	v_add_co_u32 v30, vcc_lo, s12, v20
	v_add_co_ci_u32_e64 v31, null, s13, v21, vcc_lo
	v_and_b32_e32 v26, 3, v26
	v_mov_b32_e32 v20, 0
	v_mov_b32_e32 v15, 0
	;; [unrolled: 1-line block ×4, first 2 shown]
	v_sub_co_u32 v32, s1, 0, v26
	v_mov_b32_e32 v27, v1
	v_mov_b32_e32 v19, 0
	v_sub_co_ci_u32_e64 v33, null, 0, 0, s1
	v_mov_b32_e32 v21, 0
	v_mov_b32_e32 v26, v0
	s_mov_b32 s8, 0
.LBB45_19:                              ; =>This Inner Loop Header: Depth=1
	global_load_dwordx2 v[63:64], v[30:31], off
	s_clause 0x6
	global_load_dwordx4 v[35:38], v[24:25], off offset:48
	global_load_dwordx4 v[39:42], v[24:25], off offset:32
	;; [unrolled: 1-line block ×3, first 2 shown]
	global_load_dwordx4 v[47:50], v[24:25], off
	global_load_dwordx4 v[51:54], v[24:25], off offset:112
	global_load_dwordx4 v[55:58], v[24:25], off offset:96
	;; [unrolled: 1-line block ×3, first 2 shown]
	v_add_co_u32 v30, s1, v30, 32
	v_add_co_ci_u32_e64 v31, null, 0, v31, s1
	s_waitcnt vmcnt(7)
	v_sub_co_u32 v63, vcc_lo, v63, v4
	v_sub_co_ci_u32_e64 v64, null, v64, v5, vcc_lo
	v_lshlrev_b64 v[63:64], 5, v[63:64]
	v_add_co_u32 v71, vcc_lo, s2, v63
	v_add_co_ci_u32_e64 v72, null, s3, v64, vcc_lo
	global_load_dwordx4 v[63:66], v[24:25], off offset:64
	s_clause 0x1
	global_load_dwordx4 v[67:70], v[71:72], off
	global_load_dwordx4 v[71:74], v[71:72], off offset:16
	v_add_co_u32 v24, vcc_lo, 0x200, v24
	v_add_co_ci_u32_e64 v25, null, 0, v25, vcc_lo
	v_add_co_u32 v32, vcc_lo, v32, 1
	v_add_co_ci_u32_e64 v33, null, 0, v33, vcc_lo
	;; [unrolled: 2-line block ×3, first 2 shown]
	v_cmp_eq_u64_e32 vcc_lo, 0, v[32:33]
	s_or_b32 s8, vcc_lo, s8
	s_waitcnt vmcnt(1)
	v_fma_f64 v[20:21], v[47:48], v[67:68], v[20:21]
	v_fma_f64 v[18:19], v[39:40], v[67:68], v[18:19]
	;; [unrolled: 1-line block ×8, first 2 shown]
	s_waitcnt vmcnt(0)
	v_fma_f64 v[20:21], v[43:44], v[71:72], v[20:21]
	v_fma_f64 v[18:19], v[35:36], v[71:72], v[18:19]
	;; [unrolled: 1-line block ×8, first 2 shown]
	s_andn2_b32 exec_lo, exec_lo, s8
	s_cbranch_execnz .LBB45_19
; %bb.20:
	s_or_b32 exec_lo, exec_lo, s8
.LBB45_21:
	s_or_b32 exec_lo, exec_lo, s7
	s_mov_b32 s7, exec_lo
	v_cmpx_lt_u64_e32 11, v[28:29]
	s_cbranch_execz .LBB45_25
; %bb.22:
	v_lshlrev_b64 v[28:29], 3, v[26:27]
	s_mov_b32 s8, 0
	v_add_co_u32 v28, vcc_lo, s12, v28
	v_add_co_ci_u32_e64 v29, null, s13, v29, vcc_lo
	v_add_co_u32 v28, vcc_lo, v28, 64
	v_add_co_ci_u32_e64 v29, null, 0, v29, vcc_lo
.LBB45_23:                              ; =>This Inner Loop Header: Depth=1
	global_load_dwordx2 v[123:124], v[28:29], off offset:-64
	s_clause 0xd
	global_load_dwordx4 v[30:33], v[24:25], off offset:48
	global_load_dwordx4 v[35:38], v[24:25], off offset:32
	;; [unrolled: 1-line block ×3, first 2 shown]
	global_load_dwordx4 v[43:46], v[24:25], off
	global_load_dwordx4 v[47:50], v[24:25], off offset:112
	global_load_dwordx4 v[51:54], v[24:25], off offset:96
	;; [unrolled: 1-line block ×10, first 2 shown]
	s_clause 0x2
	global_load_dwordx2 v[131:132], v[28:29], off offset:-32
	global_load_dwordx2 v[133:134], v[28:29], off
	global_load_dwordx2 v[135:136], v[28:29], off offset:32
	s_clause 0x8
	global_load_dwordx4 v[87:90], v[24:25], off offset:592
	global_load_dwordx4 v[91:94], v[24:25], off offset:576
	;; [unrolled: 1-line block ×9, first 2 shown]
	v_add_co_u32 v28, s1, 0x80, v28
	v_add_co_ci_u32_e64 v29, null, 0, v29, s1
	s_waitcnt vmcnt(26)
	v_sub_co_u32 v123, vcc_lo, v123, v4
	v_sub_co_ci_u32_e64 v124, null, v124, v5, vcc_lo
	v_lshlrev_b64 v[123:124], 5, v[123:124]
	v_add_co_u32 v127, vcc_lo, s2, v123
	v_add_co_ci_u32_e64 v128, null, s3, v124, vcc_lo
	s_clause 0x1
	global_load_dwordx4 v[123:126], v[127:128], off
	global_load_dwordx4 v[127:130], v[127:128], off offset:16
	s_waitcnt vmcnt(1)
	v_fma_f64 v[16:17], v[59:60], v[123:124], v[16:17]
	v_sub_co_u32 v59, vcc_lo, v131, v4
	v_sub_co_ci_u32_e64 v60, null, v132, v5, vcc_lo
	v_fma_f64 v[20:21], v[43:44], v[123:124], v[20:21]
	v_fma_f64 v[18:19], v[35:36], v[123:124], v[18:19]
	;; [unrolled: 1-line block ×3, first 2 shown]
	v_lshlrev_b64 v[59:60], 5, v[59:60]
	v_add_co_u32 v123, vcc_lo, s2, v59
	v_add_co_ci_u32_e64 v124, null, s3, v60, vcc_lo
	v_fma_f64 v[139:140], v[61:62], v[125:126], v[16:17]
	global_load_dwordx4 v[59:62], v[123:124], off
	v_fma_f64 v[20:21], v[45:46], v[125:126], v[20:21]
	v_fma_f64 v[137:138], v[37:38], v[125:126], v[18:19]
	;; [unrolled: 1-line block ×3, first 2 shown]
	v_sub_co_u32 v125, vcc_lo, v133, v4
	v_sub_co_ci_u32_e64 v126, null, v134, v5, vcc_lo
	s_clause 0x3
	global_load_dwordx4 v[43:46], v[24:25], off offset:1088
	global_load_dwordx4 v[35:38], v[24:25], off offset:1584
	;; [unrolled: 1-line block ×4, first 2 shown]
	s_waitcnt vmcnt(5)
	v_fma_f64 v[55:56], v[55:56], v[127:128], v[139:140]
	v_fma_f64 v[20:21], v[39:40], v[127:128], v[20:21]
	;; [unrolled: 1-line block ×7, first 2 shown]
	global_load_dwordx4 v[30:33], v[123:124], off offset:16
	v_lshlrev_b64 v[123:124], 5, v[125:126]
	global_load_dwordx4 v[39:42], v[24:25], off offset:1536
	v_fma_f64 v[14:15], v[49:50], v[129:130], v[14:15]
	v_add_co_u32 v133, vcc_lo, s2, v123
	v_add_co_ci_u32_e64 v134, null, s3, v124, vcc_lo
	v_sub_co_u32 v127, vcc_lo, v135, v4
	v_sub_co_ci_u32_e64 v128, null, v136, v5, vcc_lo
	global_load_dwordx4 v[55:58], v[133:134], off
	s_clause 0x1
	global_load_dwordx4 v[47:50], v[24:25], off offset:1648
	global_load_dwordx4 v[123:126], v[24:25], off offset:1632
	v_lshlrev_b64 v[127:128], 5, v[127:128]
	v_add_co_u32 v135, vcc_lo, s2, v127
	v_add_co_ci_u32_e64 v136, null, s3, v128, vcc_lo
	global_load_dwordx4 v[127:130], v[133:134], off offset:16
	v_add_co_u32 v26, vcc_lo, v26, 16
	v_add_co_ci_u32_e64 v27, null, 0, v27, vcc_lo
	s_waitcnt vmcnt(10)
	v_fma_f64 v[20:21], v[75:76], v[59:60], v[20:21]
	v_fma_f64 v[67:68], v[67:68], v[59:60], v[131:132]
	;; [unrolled: 1-line block ×5, first 2 shown]
	global_load_dwordx4 v[75:78], v[24:25], off offset:1600
	v_fma_f64 v[131:132], v[69:70], v[61:62], v[67:68]
	global_load_dwordx4 v[67:70], v[135:136], off
	v_fma_f64 v[133:134], v[93:94], v[61:62], v[91:92]
	global_load_dwordx4 v[91:94], v[24:25], off offset:1616
	v_fma_f64 v[14:15], v[85:86], v[61:62], v[14:15]
	global_load_dwordx4 v[59:62], v[135:136], off offset:16
	v_add_co_u32 v24, vcc_lo, 0x800, v24
	v_add_co_ci_u32_e64 v25, null, 0, v25, vcc_lo
	v_cmp_ge_i64_e32 vcc_lo, v[26:27], v[6:7]
	s_or_b32 s8, vcc_lo, s8
	s_waitcnt vmcnt(9)
	v_fma_f64 v[20:21], v[71:72], v[30:31], v[20:21]
	v_fma_f64 v[63:64], v[63:64], v[30:31], v[131:132]
	v_fma_f64 v[71:72], v[87:88], v[30:31], v[133:134]
	v_fma_f64 v[14:15], v[79:80], v[30:31], v[14:15]
	v_fma_f64 v[20:21], v[73:74], v[32:33], v[20:21]
	v_fma_f64 v[30:31], v[65:66], v[32:33], v[63:64]
	v_fma_f64 v[63:64], v[89:90], v[32:33], v[71:72]
	v_fma_f64 v[14:15], v[81:82], v[32:33], v[14:15]
	s_waitcnt vmcnt(7)
	v_fma_f64 v[20:21], v[107:108], v[55:56], v[20:21]
	v_fma_f64 v[30:31], v[99:100], v[55:56], v[30:31]
	v_fma_f64 v[32:33], v[43:44], v[55:56], v[63:64]
	v_fma_f64 v[14:15], v[115:116], v[55:56], v[14:15]
	v_fma_f64 v[20:21], v[109:110], v[57:58], v[20:21]
	v_fma_f64 v[30:31], v[101:102], v[57:58], v[30:31]
	v_fma_f64 v[32:33], v[45:46], v[57:58], v[32:33]
	v_fma_f64 v[14:15], v[117:118], v[57:58], v[14:15]
	;; [unrolled: 9-line block ×5, first 2 shown]
	s_andn2_b32 exec_lo, exec_lo, s8
	s_cbranch_execnz .LBB45_23
; %bb.24:
	s_or_b32 exec_lo, exec_lo, s8
.LBB45_25:
	s_or_b32 exec_lo, exec_lo, s7
.LBB45_26:
	s_or_b32 exec_lo, exec_lo, s6
	s_cbranch_execz .LBB45_28
	s_branch .LBB45_39
.LBB45_27:
                                        ; implicit-def: $vgpr14_vgpr15
                                        ; implicit-def: $vgpr16_vgpr17
                                        ; implicit-def: $vgpr18_vgpr19
                                        ; implicit-def: $vgpr20_vgpr21
.LBB45_28:
	v_mov_b32_e32 v14, 0
	v_mov_b32_e32 v16, 0
	v_mov_b32_e32 v18, 0
	v_mov_b32_e32 v20, 0
	v_mov_b32_e32 v15, 0
	v_mov_b32_e32 v17, 0
	v_mov_b32_e32 v19, 0
	v_mov_b32_e32 v21, 0
	s_and_saveexec_b32 s1, s0
	s_cbranch_execz .LBB45_38
; %bb.29:
	v_or_b32_e32 v14, 4, v34
	v_not_b32_e32 v17, v22
	v_sub_co_u32 v18, s0, v4, v34
	v_not_b32_e32 v16, v23
	v_sub_co_u32 v14, vcc_lo, v14, v4
	v_sub_co_ci_u32_e64 v15, null, 0, v5, vcc_lo
	v_subrev_co_ci_u32_e64 v19, null, 0, v5, s0
	v_add_co_u32 v14, vcc_lo, v14, v22
	v_add_co_ci_u32_e64 v15, null, v15, v23, vcc_lo
	v_cmp_gt_i64_e32 vcc_lo, v[14:15], v[6:7]
	v_cndmask_b32_e32 v20, v7, v15, vcc_lo
	v_cndmask_b32_e32 v14, v6, v14, vcc_lo
	v_add_co_u32 v15, vcc_lo, v18, v17
	v_add_co_ci_u32_e64 v16, null, v19, v16, vcc_lo
	v_mov_b32_e32 v18, 0
	v_add_co_u32 v22, vcc_lo, v15, v14
	v_mov_b32_e32 v15, 0
	v_add_co_ci_u32_e64 v23, null, v16, v20, vcc_lo
	v_and_b32_e32 v14, 12, v22
	v_mov_b32_e32 v20, 0
	v_mov_b32_e32 v16, 0
	;; [unrolled: 1-line block ×4, first 2 shown]
	v_cmp_ne_u64_e32 vcc_lo, 12, v[14:15]
	v_mov_b32_e32 v14, 0
	v_mov_b32_e32 v17, 0
	;; [unrolled: 1-line block ×3, first 2 shown]
	s_and_saveexec_b32 s6, vcc_lo
	s_cbranch_execz .LBB45_33
; %bb.30:
	v_lshrrev_b32_e32 v14, 2, v22
	v_lshlrev_b64 v[24:25], 3, v[0:1]
	v_mov_b32_e32 v16, 0
	v_mov_b32_e32 v18, 0
	;; [unrolled: 1-line block ×3, first 2 shown]
	v_add_nc_u32_e32 v26, 1, v14
	v_mov_b32_e32 v14, 0
	v_add_co_u32 v24, vcc_lo, s12, v24
	v_mov_b32_e32 v15, 0
	v_and_b32_e32 v26, 3, v26
	v_mov_b32_e32 v17, 0
	v_mov_b32_e32 v19, 0
	v_mov_b32_e32 v21, 0
	v_add_co_ci_u32_e64 v25, null, s13, v25, vcc_lo
	v_sub_co_u32 v26, s0, 0, v26
	v_sub_co_ci_u32_e64 v27, null, 0, 0, s0
	s_mov_b32 s7, 0
.LBB45_31:                              ; =>This Inner Loop Header: Depth=1
	global_load_dwordx2 v[32:33], v[24:25], off
	global_load_dwordx4 v[28:31], v[12:13], off offset:16
	v_add_co_u32 v24, s0, v24, 32
	v_add_co_ci_u32_e64 v25, null, 0, v25, s0
	s_waitcnt vmcnt(1)
	v_sub_co_u32 v32, vcc_lo, v32, v4
	v_sub_co_ci_u32_e64 v33, null, v33, v5, vcc_lo
	v_lshlrev_b64 v[32:33], 5, v[32:33]
	v_add_co_u32 v32, vcc_lo, s2, v32
	v_add_co_ci_u32_e64 v33, null, s3, v33, vcc_lo
	global_load_dwordx4 v[35:38], v[12:13], off
	s_clause 0x1
	global_load_dwordx4 v[39:42], v[32:33], off
	global_load_dwordx4 v[43:46], v[32:33], off offset:16
	s_clause 0x5
	global_load_dwordx4 v[47:50], v[12:13], off offset:32
	global_load_dwordx4 v[51:54], v[12:13], off offset:48
	;; [unrolled: 1-line block ×6, first 2 shown]
	v_add_co_u32 v12, vcc_lo, 0x200, v12
	v_add_co_ci_u32_e64 v13, null, 0, v13, vcc_lo
	v_add_co_u32 v26, vcc_lo, v26, 1
	v_add_co_ci_u32_e64 v27, null, 0, v27, vcc_lo
	;; [unrolled: 2-line block ×3, first 2 shown]
	v_cmp_eq_u64_e32 vcc_lo, 0, v[26:27]
	s_or_b32 s7, vcc_lo, s7
	s_waitcnt vmcnt(7)
	v_fma_f64 v[20:21], v[35:36], v[39:40], v[20:21]
	v_fma_f64 v[18:19], v[37:38], v[39:40], v[18:19]
	;; [unrolled: 1-line block ×4, first 2 shown]
	s_waitcnt vmcnt(5)
	v_fma_f64 v[20:21], v[47:48], v[41:42], v[20:21]
	v_fma_f64 v[18:19], v[49:50], v[41:42], v[18:19]
	s_waitcnt vmcnt(4)
	v_fma_f64 v[16:17], v[51:52], v[41:42], v[16:17]
	v_fma_f64 v[14:15], v[53:54], v[41:42], v[14:15]
	;; [unrolled: 3-line block ×6, first 2 shown]
	s_andn2_b32 exec_lo, exec_lo, s7
	s_cbranch_execnz .LBB45_31
; %bb.32:
	s_or_b32 exec_lo, exec_lo, s7
.LBB45_33:
	s_or_b32 exec_lo, exec_lo, s6
	s_mov_b32 s6, exec_lo
	v_cmpx_lt_u64_e32 11, v[22:23]
	s_cbranch_execz .LBB45_37
; %bb.34:
	v_lshlrev_b64 v[22:23], 3, v[0:1]
	s_mov_b32 s7, 0
	v_add_co_u32 v22, vcc_lo, s12, v22
	v_add_co_ci_u32_e64 v23, null, s13, v23, vcc_lo
	v_add_co_u32 v22, vcc_lo, v22, 64
	v_add_co_ci_u32_e64 v23, null, 0, v23, vcc_lo
.LBB45_35:                              ; =>This Inner Loop Header: Depth=1
	s_clause 0x1
	global_load_dwordx2 v[32:33], v[22:23], off offset:-64
	global_load_dwordx2 v[83:84], v[22:23], off offset:-32
	s_clause 0x9
	global_load_dwordx4 v[24:27], v[12:13], off offset:48
	global_load_dwordx4 v[28:31], v[12:13], off offset:32
	;; [unrolled: 1-line block ×3, first 2 shown]
	global_load_dwordx4 v[39:42], v[12:13], off
	global_load_dwordx4 v[43:46], v[12:13], off offset:112
	global_load_dwordx4 v[47:50], v[12:13], off offset:96
	;; [unrolled: 1-line block ×6, first 2 shown]
	s_clause 0x1
	global_load_dwordx2 v[111:112], v[22:23], off
	global_load_dwordx2 v[113:114], v[22:23], off offset:32
	s_clause 0x3
	global_load_dwordx4 v[67:70], v[12:13], off offset:528
	global_load_dwordx4 v[71:74], v[12:13], off offset:512
	;; [unrolled: 1-line block ×4, first 2 shown]
	v_add_co_u32 v22, s0, 0x80, v22
	v_add_co_ci_u32_e64 v23, null, 0, v23, s0
	s_waitcnt vmcnt(17)
	v_sub_co_u32 v32, vcc_lo, v32, v4
	v_sub_co_ci_u32_e64 v33, null, v33, v5, vcc_lo
	s_waitcnt vmcnt(16)
	v_sub_co_u32 v83, vcc_lo, v83, v4
	v_sub_co_ci_u32_e64 v84, null, v84, v5, vcc_lo
	v_lshlrev_b64 v[32:33], 5, v[32:33]
	v_lshlrev_b64 v[83:84], 5, v[83:84]
	v_add_co_u32 v32, vcc_lo, s2, v32
	v_add_co_ci_u32_e64 v33, null, s3, v33, vcc_lo
	v_add_co_u32 v95, vcc_lo, s2, v83
	v_add_co_ci_u32_e64 v96, null, s3, v84, vcc_lo
	s_clause 0x3
	global_load_dwordx4 v[83:86], v[32:33], off
	global_load_dwordx4 v[87:90], v[32:33], off offset:16
	global_load_dwordx4 v[91:94], v[95:96], off
	global_load_dwordx4 v[95:98], v[95:96], off offset:16
	s_clause 0x2
	global_load_dwordx4 v[99:102], v[12:13], off offset:608
	global_load_dwordx4 v[103:106], v[12:13], off offset:624
	;; [unrolled: 1-line block ×3, first 2 shown]
	s_waitcnt vmcnt(6)
	v_fma_f64 v[32:33], v[39:40], v[83:84], v[20:21]
	v_fma_f64 v[39:40], v[41:42], v[83:84], v[18:19]
	v_sub_co_u32 v41, vcc_lo, v111, v4
	v_sub_co_ci_u32_e64 v42, null, v112, v5, vcc_lo
	global_load_dwordx4 v[18:21], v[12:13], off offset:1024
	v_fma_f64 v[35:36], v[35:36], v[83:84], v[16:17]
	v_fma_f64 v[37:38], v[37:38], v[83:84], v[14:15]
	v_lshlrev_b64 v[41:42], 5, v[41:42]
	v_add_co_u32 v111, vcc_lo, s2, v41
	v_add_co_ci_u32_e64 v112, null, s3, v42, vcc_lo
	global_load_dwordx4 v[14:17], v[111:112], off
	v_fma_f64 v[32:33], v[28:29], v[85:86], v[32:33]
	v_fma_f64 v[39:40], v[30:31], v[85:86], v[39:40]
	global_load_dwordx4 v[28:31], v[12:13], off offset:1056
	v_fma_f64 v[83:84], v[24:25], v[85:86], v[35:36]
	v_fma_f64 v[85:86], v[26:27], v[85:86], v[37:38]
	s_clause 0x1
	global_load_dwordx4 v[24:27], v[12:13], off offset:1072
	global_load_dwordx4 v[35:38], v[12:13], off offset:1088
	s_waitcnt vmcnt(10)
	v_fma_f64 v[32:33], v[55:56], v[87:88], v[32:33]
	v_fma_f64 v[115:116], v[57:58], v[87:88], v[39:40]
	global_load_dwordx4 v[39:42], v[12:13], off offset:1104
	global_load_dwordx4 v[55:58], v[111:112], off offset:16
	v_fma_f64 v[83:84], v[51:52], v[87:88], v[83:84]
	v_fma_f64 v[85:86], v[53:54], v[87:88], v[85:86]
	global_load_dwordx4 v[51:54], v[12:13], off offset:1136
	v_fma_f64 v[32:33], v[47:48], v[89:90], v[32:33]
	v_fma_f64 v[87:88], v[49:50], v[89:90], v[115:116]
	global_load_dwordx4 v[47:50], v[12:13], off offset:1120
	v_fma_f64 v[111:112], v[43:44], v[89:90], v[83:84]
	v_sub_co_u32 v83, vcc_lo, v113, v4
	v_sub_co_ci_u32_e64 v84, null, v114, v5, vcc_lo
	v_fma_f64 v[89:90], v[45:46], v[89:90], v[85:86]
	global_load_dwordx4 v[43:46], v[12:13], off offset:1552
	v_lshlrev_b64 v[83:84], 5, v[83:84]
	v_add_co_u32 v113, vcc_lo, s2, v83
	v_add_co_ci_u32_e64 v114, null, s3, v84, vcc_lo
	global_load_dwordx4 v[83:86], v[12:13], off offset:1536
	s_waitcnt vmcnt(15)
	v_fma_f64 v[32:33], v[71:72], v[91:92], v[32:33]
	v_fma_f64 v[87:88], v[73:74], v[91:92], v[87:88]
	global_load_dwordx4 v[71:74], v[113:114], off
	v_fma_f64 v[111:112], v[67:68], v[91:92], v[111:112]
	v_add_co_u32 v0, vcc_lo, v0, 16
	v_add_co_ci_u32_e64 v1, null, 0, v1, vcc_lo
	v_fma_f64 v[89:90], v[69:70], v[91:92], v[89:90]
	global_load_dwordx4 v[67:70], v[12:13], off offset:1568
	v_fma_f64 v[32:33], v[63:64], v[93:94], v[32:33]
	v_fma_f64 v[91:92], v[65:66], v[93:94], v[87:88]
	global_load_dwordx4 v[63:66], v[12:13], off offset:1584
	v_fma_f64 v[111:112], v[59:60], v[93:94], v[111:112]
	v_fma_f64 v[93:94], v[61:62], v[93:94], v[89:90]
	s_clause 0x1
	global_load_dwordx4 v[59:62], v[12:13], off offset:1600
	global_load_dwordx4 v[87:90], v[12:13], off offset:1616
	s_waitcnt vmcnt(19)
	v_fma_f64 v[32:33], v[79:80], v[95:96], v[32:33]
	v_fma_f64 v[91:92], v[81:82], v[95:96], v[91:92]
	global_load_dwordx4 v[79:82], v[113:114], off offset:16
	v_fma_f64 v[111:112], v[75:76], v[95:96], v[111:112]
	v_fma_f64 v[95:96], v[77:78], v[95:96], v[93:94]
	global_load_dwordx4 v[75:78], v[12:13], off offset:1632
	s_waitcnt vmcnt(20)
	v_fma_f64 v[32:33], v[99:100], v[97:98], v[32:33]
	v_fma_f64 v[99:100], v[101:102], v[97:98], v[91:92]
	global_load_dwordx4 v[91:94], v[12:13], off offset:1648
	s_waitcnt vmcnt(20)
	v_fma_f64 v[101:102], v[103:104], v[97:98], v[111:112]
	v_add_co_u32 v12, vcc_lo, 0x800, v12
	v_add_co_ci_u32_e64 v13, null, 0, v13, vcc_lo
	v_fma_f64 v[95:96], v[105:106], v[97:98], v[95:96]
	v_cmp_ge_i64_e32 vcc_lo, v[0:1], v[6:7]
	s_or_b32 s7, vcc_lo, s7
	s_waitcnt vmcnt(17)
	v_fma_f64 v[18:19], v[18:19], v[14:15], v[32:33]
	v_fma_f64 v[20:21], v[20:21], v[14:15], v[99:100]
	v_fma_f64 v[32:33], v[107:108], v[14:15], v[101:102]
	v_fma_f64 v[14:15], v[109:110], v[14:15], v[95:96]
	s_waitcnt vmcnt(16)
	v_fma_f64 v[18:19], v[28:29], v[16:17], v[18:19]
	v_fma_f64 v[20:21], v[30:31], v[16:17], v[20:21]
	s_waitcnt vmcnt(15)
	v_fma_f64 v[24:25], v[24:25], v[16:17], v[32:33]
	v_fma_f64 v[14:15], v[26:27], v[16:17], v[14:15]
	;; [unrolled: 3-line block ×3, first 2 shown]
	v_fma_f64 v[20:21], v[39:40], v[55:56], v[24:25]
	v_fma_f64 v[14:15], v[41:42], v[55:56], v[14:15]
	s_waitcnt vmcnt(10)
	v_fma_f64 v[16:17], v[47:48], v[57:58], v[16:17]
	v_fma_f64 v[18:19], v[49:50], v[57:58], v[18:19]
	v_fma_f64 v[20:21], v[51:52], v[57:58], v[20:21]
	v_fma_f64 v[14:15], v[53:54], v[57:58], v[14:15]
	s_waitcnt vmcnt(7)
	v_fma_f64 v[16:17], v[83:84], v[71:72], v[16:17]
	v_fma_f64 v[18:19], v[85:86], v[71:72], v[18:19]
	;; [unrolled: 5-line block ×3, first 2 shown]
	s_waitcnt vmcnt(5)
	v_fma_f64 v[20:21], v[63:64], v[73:74], v[20:21]
	v_fma_f64 v[14:15], v[65:66], v[73:74], v[14:15]
	s_waitcnt vmcnt(2)
	v_fma_f64 v[16:17], v[59:60], v[79:80], v[16:17]
	v_fma_f64 v[18:19], v[61:62], v[79:80], v[18:19]
	;; [unrolled: 1-line block ×4, first 2 shown]
	s_waitcnt vmcnt(1)
	v_fma_f64 v[20:21], v[75:76], v[81:82], v[16:17]
	v_fma_f64 v[18:19], v[77:78], v[81:82], v[18:19]
	s_waitcnt vmcnt(0)
	v_fma_f64 v[16:17], v[91:92], v[81:82], v[24:25]
	v_fma_f64 v[14:15], v[93:94], v[81:82], v[14:15]
	s_andn2_b32 exec_lo, exec_lo, s7
	s_cbranch_execnz .LBB45_35
; %bb.36:
	s_or_b32 exec_lo, exec_lo, s7
.LBB45_37:
	s_or_b32 exec_lo, exec_lo, s6
.LBB45_38:
	s_or_b32 exec_lo, exec_lo, s1
.LBB45_39:
	v_mbcnt_lo_u32_b32 v26, -1, 0
	v_xor_b32_e32 v0, 2, v26
	v_cmp_gt_i32_e32 vcc_lo, 32, v0
	v_cndmask_b32_e32 v0, v26, v0, vcc_lo
	v_lshlrev_b32_e32 v6, 2, v0
	ds_bpermute_b32 v0, v6, v20
	ds_bpermute_b32 v1, v6, v21
	;; [unrolled: 1-line block ×8, first 2 shown]
	s_waitcnt lgkmcnt(6)
	v_add_f64 v[12:13], v[20:21], v[0:1]
	s_waitcnt lgkmcnt(4)
	v_add_f64 v[6:7], v[18:19], v[4:5]
	;; [unrolled: 2-line block ×4, first 2 shown]
	v_xor_b32_e32 v14, 1, v26
	v_cmp_gt_i32_e32 vcc_lo, 32, v14
	v_cndmask_b32_e32 v14, v26, v14, vcc_lo
	v_cmp_eq_u32_e32 vcc_lo, 3, v34
	v_lshlrev_b32_e32 v15, 2, v14
	ds_bpermute_b32 v20, v15, v12
	ds_bpermute_b32 v21, v15, v13
	;; [unrolled: 1-line block ×8, first 2 shown]
	s_and_b32 exec_lo, exec_lo, vcc_lo
	s_cbranch_execz .LBB45_10
; %bb.40:
	s_waitcnt lgkmcnt(6)
	v_add_f64 v[12:13], v[12:13], v[20:21]
	s_waitcnt lgkmcnt(4)
	v_add_f64 v[6:7], v[6:7], v[18:19]
	;; [unrolled: 2-line block ×4, first 2 shown]
	s_load_dwordx2 s[0:1], s[4:5], 0x58
	v_lshlrev_b64 v[10:11], 5, v[10:11]
	s_mov_b32 s2, exec_lo
	v_mul_f64 v[4:5], v[2:3], v[12:13]
	v_mul_f64 v[6:7], v[2:3], v[6:7]
	;; [unrolled: 1-line block ×4, first 2 shown]
	v_cmpx_eq_f64_e32 0, v[8:9]
	s_xor_b32 s2, exec_lo, s2
	s_cbranch_execz .LBB45_42
; %bb.41:
	s_waitcnt lgkmcnt(0)
	v_add_co_u32 v8, vcc_lo, s0, v10
	v_add_co_ci_u32_e64 v9, null, s1, v11, vcc_lo
                                        ; implicit-def: $vgpr10_vgpr11
	global_store_dwordx4 v[8:9], v[4:7], off
	global_store_dwordx4 v[8:9], v[0:3], off offset:16
                                        ; implicit-def: $vgpr8_vgpr9
                                        ; implicit-def: $vgpr4_vgpr5
                                        ; implicit-def: $vgpr0_vgpr1
.LBB45_42:
	s_andn2_saveexec_b32 s2, s2
	s_cbranch_execz .LBB45_10
; %bb.43:
	s_waitcnt lgkmcnt(0)
	v_add_co_u32 v18, vcc_lo, s0, v10
	v_add_co_ci_u32_e64 v19, null, s1, v11, vcc_lo
	s_clause 0x1
	global_load_dwordx4 v[10:13], v[18:19], off
	global_load_dwordx4 v[14:17], v[18:19], off offset:16
	s_waitcnt vmcnt(1)
	v_fma_f64 v[4:5], v[8:9], v[10:11], v[4:5]
	v_fma_f64 v[6:7], v[8:9], v[12:13], v[6:7]
	s_waitcnt vmcnt(0)
	v_fma_f64 v[0:1], v[8:9], v[14:15], v[0:1]
	v_fma_f64 v[2:3], v[8:9], v[16:17], v[2:3]
	global_store_dwordx4 v[18:19], v[4:7], off
	global_store_dwordx4 v[18:19], v[0:3], off offset:16
	s_endpgm
	.section	.rodata,"a",@progbits
	.p2align	6, 0x0
	.amdhsa_kernel _ZN9rocsparseL18bsrxmvn_4x4_kernelILj128ELj4EdlldddEEvT3_20rocsparse_direction_NS_24const_host_device_scalarIT1_EES1_PKS1_PKT2_SA_S7_PKT4_PKT5_S5_PT6_21rocsparse_index_base_b
		.amdhsa_group_segment_fixed_size 0
		.amdhsa_private_segment_fixed_size 0
		.amdhsa_kernarg_size 104
		.amdhsa_user_sgpr_count 6
		.amdhsa_user_sgpr_private_segment_buffer 1
		.amdhsa_user_sgpr_dispatch_ptr 0
		.amdhsa_user_sgpr_queue_ptr 0
		.amdhsa_user_sgpr_kernarg_segment_ptr 1
		.amdhsa_user_sgpr_dispatch_id 0
		.amdhsa_user_sgpr_flat_scratch_init 0
		.amdhsa_user_sgpr_private_segment_size 0
		.amdhsa_wavefront_size32 1
		.amdhsa_uses_dynamic_stack 0
		.amdhsa_system_sgpr_private_segment_wavefront_offset 0
		.amdhsa_system_sgpr_workgroup_id_x 1
		.amdhsa_system_sgpr_workgroup_id_y 0
		.amdhsa_system_sgpr_workgroup_id_z 0
		.amdhsa_system_sgpr_workgroup_info 0
		.amdhsa_system_vgpr_workitem_id 0
		.amdhsa_next_free_vgpr 141
		.amdhsa_next_free_sgpr 16
		.amdhsa_reserve_vcc 1
		.amdhsa_reserve_flat_scratch 0
		.amdhsa_float_round_mode_32 0
		.amdhsa_float_round_mode_16_64 0
		.amdhsa_float_denorm_mode_32 3
		.amdhsa_float_denorm_mode_16_64 3
		.amdhsa_dx10_clamp 1
		.amdhsa_ieee_mode 1
		.amdhsa_fp16_overflow 0
		.amdhsa_workgroup_processor_mode 1
		.amdhsa_memory_ordered 1
		.amdhsa_forward_progress 1
		.amdhsa_shared_vgpr_count 0
		.amdhsa_exception_fp_ieee_invalid_op 0
		.amdhsa_exception_fp_denorm_src 0
		.amdhsa_exception_fp_ieee_div_zero 0
		.amdhsa_exception_fp_ieee_overflow 0
		.amdhsa_exception_fp_ieee_underflow 0
		.amdhsa_exception_fp_ieee_inexact 0
		.amdhsa_exception_int_div_zero 0
	.end_amdhsa_kernel
	.section	.text._ZN9rocsparseL18bsrxmvn_4x4_kernelILj128ELj4EdlldddEEvT3_20rocsparse_direction_NS_24const_host_device_scalarIT1_EES1_PKS1_PKT2_SA_S7_PKT4_PKT5_S5_PT6_21rocsparse_index_base_b,"axG",@progbits,_ZN9rocsparseL18bsrxmvn_4x4_kernelILj128ELj4EdlldddEEvT3_20rocsparse_direction_NS_24const_host_device_scalarIT1_EES1_PKS1_PKT2_SA_S7_PKT4_PKT5_S5_PT6_21rocsparse_index_base_b,comdat
.Lfunc_end45:
	.size	_ZN9rocsparseL18bsrxmvn_4x4_kernelILj128ELj4EdlldddEEvT3_20rocsparse_direction_NS_24const_host_device_scalarIT1_EES1_PKS1_PKT2_SA_S7_PKT4_PKT5_S5_PT6_21rocsparse_index_base_b, .Lfunc_end45-_ZN9rocsparseL18bsrxmvn_4x4_kernelILj128ELj4EdlldddEEvT3_20rocsparse_direction_NS_24const_host_device_scalarIT1_EES1_PKS1_PKT2_SA_S7_PKT4_PKT5_S5_PT6_21rocsparse_index_base_b
                                        ; -- End function
	.set _ZN9rocsparseL18bsrxmvn_4x4_kernelILj128ELj4EdlldddEEvT3_20rocsparse_direction_NS_24const_host_device_scalarIT1_EES1_PKS1_PKT2_SA_S7_PKT4_PKT5_S5_PT6_21rocsparse_index_base_b.num_vgpr, 141
	.set _ZN9rocsparseL18bsrxmvn_4x4_kernelILj128ELj4EdlldddEEvT3_20rocsparse_direction_NS_24const_host_device_scalarIT1_EES1_PKS1_PKT2_SA_S7_PKT4_PKT5_S5_PT6_21rocsparse_index_base_b.num_agpr, 0
	.set _ZN9rocsparseL18bsrxmvn_4x4_kernelILj128ELj4EdlldddEEvT3_20rocsparse_direction_NS_24const_host_device_scalarIT1_EES1_PKS1_PKT2_SA_S7_PKT4_PKT5_S5_PT6_21rocsparse_index_base_b.numbered_sgpr, 16
	.set _ZN9rocsparseL18bsrxmvn_4x4_kernelILj128ELj4EdlldddEEvT3_20rocsparse_direction_NS_24const_host_device_scalarIT1_EES1_PKS1_PKT2_SA_S7_PKT4_PKT5_S5_PT6_21rocsparse_index_base_b.num_named_barrier, 0
	.set _ZN9rocsparseL18bsrxmvn_4x4_kernelILj128ELj4EdlldddEEvT3_20rocsparse_direction_NS_24const_host_device_scalarIT1_EES1_PKS1_PKT2_SA_S7_PKT4_PKT5_S5_PT6_21rocsparse_index_base_b.private_seg_size, 0
	.set _ZN9rocsparseL18bsrxmvn_4x4_kernelILj128ELj4EdlldddEEvT3_20rocsparse_direction_NS_24const_host_device_scalarIT1_EES1_PKS1_PKT2_SA_S7_PKT4_PKT5_S5_PT6_21rocsparse_index_base_b.uses_vcc, 1
	.set _ZN9rocsparseL18bsrxmvn_4x4_kernelILj128ELj4EdlldddEEvT3_20rocsparse_direction_NS_24const_host_device_scalarIT1_EES1_PKS1_PKT2_SA_S7_PKT4_PKT5_S5_PT6_21rocsparse_index_base_b.uses_flat_scratch, 0
	.set _ZN9rocsparseL18bsrxmvn_4x4_kernelILj128ELj4EdlldddEEvT3_20rocsparse_direction_NS_24const_host_device_scalarIT1_EES1_PKS1_PKT2_SA_S7_PKT4_PKT5_S5_PT6_21rocsparse_index_base_b.has_dyn_sized_stack, 0
	.set _ZN9rocsparseL18bsrxmvn_4x4_kernelILj128ELj4EdlldddEEvT3_20rocsparse_direction_NS_24const_host_device_scalarIT1_EES1_PKS1_PKT2_SA_S7_PKT4_PKT5_S5_PT6_21rocsparse_index_base_b.has_recursion, 0
	.set _ZN9rocsparseL18bsrxmvn_4x4_kernelILj128ELj4EdlldddEEvT3_20rocsparse_direction_NS_24const_host_device_scalarIT1_EES1_PKS1_PKT2_SA_S7_PKT4_PKT5_S5_PT6_21rocsparse_index_base_b.has_indirect_call, 0
	.section	.AMDGPU.csdata,"",@progbits
; Kernel info:
; codeLenInByte = 4916
; TotalNumSgprs: 18
; NumVgprs: 141
; ScratchSize: 0
; MemoryBound: 1
; FloatMode: 240
; IeeeMode: 1
; LDSByteSize: 0 bytes/workgroup (compile time only)
; SGPRBlocks: 0
; VGPRBlocks: 17
; NumSGPRsForWavesPerEU: 18
; NumVGPRsForWavesPerEU: 141
; Occupancy: 7
; WaveLimiterHint : 1
; COMPUTE_PGM_RSRC2:SCRATCH_EN: 0
; COMPUTE_PGM_RSRC2:USER_SGPR: 6
; COMPUTE_PGM_RSRC2:TRAP_HANDLER: 0
; COMPUTE_PGM_RSRC2:TGID_X_EN: 1
; COMPUTE_PGM_RSRC2:TGID_Y_EN: 0
; COMPUTE_PGM_RSRC2:TGID_Z_EN: 0
; COMPUTE_PGM_RSRC2:TIDIG_COMP_CNT: 0
	.section	.text._ZN9rocsparseL18bsrxmvn_4x4_kernelILj128ELj8EdlldddEEvT3_20rocsparse_direction_NS_24const_host_device_scalarIT1_EES1_PKS1_PKT2_SA_S7_PKT4_PKT5_S5_PT6_21rocsparse_index_base_b,"axG",@progbits,_ZN9rocsparseL18bsrxmvn_4x4_kernelILj128ELj8EdlldddEEvT3_20rocsparse_direction_NS_24const_host_device_scalarIT1_EES1_PKS1_PKT2_SA_S7_PKT4_PKT5_S5_PT6_21rocsparse_index_base_b,comdat
	.globl	_ZN9rocsparseL18bsrxmvn_4x4_kernelILj128ELj8EdlldddEEvT3_20rocsparse_direction_NS_24const_host_device_scalarIT1_EES1_PKS1_PKT2_SA_S7_PKT4_PKT5_S5_PT6_21rocsparse_index_base_b ; -- Begin function _ZN9rocsparseL18bsrxmvn_4x4_kernelILj128ELj8EdlldddEEvT3_20rocsparse_direction_NS_24const_host_device_scalarIT1_EES1_PKS1_PKT2_SA_S7_PKT4_PKT5_S5_PT6_21rocsparse_index_base_b
	.p2align	8
	.type	_ZN9rocsparseL18bsrxmvn_4x4_kernelILj128ELj8EdlldddEEvT3_20rocsparse_direction_NS_24const_host_device_scalarIT1_EES1_PKS1_PKT2_SA_S7_PKT4_PKT5_S5_PT6_21rocsparse_index_base_b,@function
_ZN9rocsparseL18bsrxmvn_4x4_kernelILj128ELj8EdlldddEEvT3_20rocsparse_direction_NS_24const_host_device_scalarIT1_EES1_PKS1_PKT2_SA_S7_PKT4_PKT5_S5_PT6_21rocsparse_index_base_b: ; @_ZN9rocsparseL18bsrxmvn_4x4_kernelILj128ELj8EdlldddEEvT3_20rocsparse_direction_NS_24const_host_device_scalarIT1_EES1_PKS1_PKT2_SA_S7_PKT4_PKT5_S5_PT6_21rocsparse_index_base_b
; %bb.0:
	s_clause 0x2
	s_load_dwordx2 s[8:9], s[4:5], 0x60
	s_load_dwordx4 s[0:3], s[4:5], 0x10
	s_load_dwordx2 s[10:11], s[4:5], 0x50
	s_waitcnt lgkmcnt(0)
	s_bitcmp1_b32 s9, 0
	v_mov_b32_e32 v3, s1
	v_mov_b32_e32 v2, s0
	s_cselect_b32 s7, -1, 0
	s_and_b32 vcc_lo, exec_lo, s7
	s_xor_b32 s7, s7, -1
	s_cbranch_vccnz .LBB46_2
; %bb.1:
	v_mov_b32_e32 v2, s1
	v_mov_b32_e32 v1, s0
	flat_load_dwordx2 v[2:3], v[1:2]
.LBB46_2:
	v_mov_b32_e32 v8, s10
	v_mov_b32_e32 v9, s11
	s_andn2_b32 vcc_lo, exec_lo, s7
	s_cbranch_vccnz .LBB46_4
; %bb.3:
	v_mov_b32_e32 v4, s10
	v_mov_b32_e32 v5, s11
	flat_load_dwordx2 v[8:9], v[4:5]
.LBB46_4:
	s_waitcnt vmcnt(0) lgkmcnt(0)
	v_cmp_neq_f64_e32 vcc_lo, 0, v[2:3]
	v_cmp_neq_f64_e64 s0, 1.0, v[8:9]
	s_or_b32 s0, vcc_lo, s0
	s_and_saveexec_b32 s1, s0
	s_cbranch_execz .LBB46_10
; %bb.5:
	s_load_dwordx2 s[0:1], s[4:5], 0x20
	v_lshrrev_b32_e32 v1, 3, v0
	v_mov_b32_e32 v7, 0
	v_lshl_or_b32 v6, s6, 4, v1
	s_waitcnt lgkmcnt(0)
	s_cmp_lg_u64 s[0:1], 0
	s_cbranch_scc0 .LBB46_11
; %bb.6:
	v_cmp_gt_i64_e32 vcc_lo, s[2:3], v[6:7]
	s_mov_b32 s3, 0
	s_mov_b32 s2, 0
                                        ; implicit-def: $vgpr10_vgpr11
                                        ; implicit-def: $vgpr4_vgpr5
	s_and_saveexec_b32 s6, vcc_lo
	s_xor_b32 s6, exec_lo, s6
	s_cbranch_execz .LBB46_8
; %bb.7:
	v_lshlrev_b64 v[4:5], 3, v[6:7]
	s_mov_b32 s9, 0
	s_mov_b32 s2, exec_lo
	v_add_co_u32 v4, vcc_lo, s0, v4
	v_add_co_ci_u32_e64 v5, null, s1, v5, vcc_lo
	global_load_dwordx2 v[4:5], v[4:5], off
	s_waitcnt vmcnt(0)
	v_sub_co_u32 v10, vcc_lo, v4, s8
	v_subrev_co_ci_u32_e64 v11, null, 0, v5, vcc_lo
	v_mov_b32_e32 v4, s8
	v_mov_b32_e32 v5, s9
.LBB46_8:
	s_or_b32 exec_lo, exec_lo, s6
	s_and_b32 vcc_lo, exec_lo, s3
	s_cbranch_vccnz .LBB46_12
.LBB46_9:
	s_and_b32 exec_lo, exec_lo, s2
	s_cbranch_execnz .LBB46_15
.LBB46_10:
	s_endpgm
.LBB46_11:
	s_mov_b32 s2, 0
                                        ; implicit-def: $vgpr10_vgpr11
                                        ; implicit-def: $vgpr4_vgpr5
	s_cbranch_execz .LBB46_9
.LBB46_12:
	s_load_dwordx2 s[0:1], s[4:5], 0x0
	s_waitcnt lgkmcnt(0)
	v_cmp_gt_i64_e32 vcc_lo, s[0:1], v[6:7]
	s_and_saveexec_b32 s0, vcc_lo
; %bb.13:
	s_mov_b32 s9, 0
	s_or_b32 s2, s2, exec_lo
; %bb.14:
	s_or_b32 exec_lo, exec_lo, s0
	v_mov_b32_e32 v4, s8
	v_mov_b32_e32 v11, v7
	;; [unrolled: 1-line block ×4, first 2 shown]
	s_and_b32 exec_lo, exec_lo, s2
	s_cbranch_execz .LBB46_10
.LBB46_15:
	s_load_dwordx8 s[8:15], s[4:5], 0x28
	v_lshlrev_b64 v[6:7], 3, v[10:11]
	v_and_b32_e32 v34, 7, v0
	s_clause 0x1
	s_load_dword s1, s[4:5], 0x8
	s_load_dwordx2 s[2:3], s[4:5], 0x48
	s_waitcnt lgkmcnt(0)
	v_add_co_u32 v12, vcc_lo, s8, v6
	v_add_co_ci_u32_e64 v13, null, s9, v7, vcc_lo
	v_add_co_u32 v1, vcc_lo, s10, v6
	v_add_co_ci_u32_e64 v6, null, s11, v7, vcc_lo
	v_add_co_u32 v14, vcc_lo, v12, 8
	global_load_dwordx2 v[22:23], v[12:13], off
	v_add_co_ci_u32_e64 v7, null, 0, v13, vcc_lo
	s_cmp_eq_u64 s[10:11], 0
	s_cselect_b32 vcc_lo, -1, 0
	s_cmp_eq_u32 s1, 1
	v_cndmask_b32_e32 v7, v6, v7, vcc_lo
	v_cndmask_b32_e32 v6, v1, v14, vcc_lo
	global_load_dwordx2 v[6:7], v[6:7], off
	s_waitcnt vmcnt(1)
	v_sub_co_u32 v0, vcc_lo, v22, v4
	v_sub_co_ci_u32_e64 v1, null, v23, v5, vcc_lo
	v_add_co_u32 v0, vcc_lo, v0, v34
	v_add_co_ci_u32_e64 v1, null, 0, v1, vcc_lo
	v_lshlrev_b64 v[12:13], 7, v[0:1]
	s_waitcnt vmcnt(0)
	v_sub_co_u32 v6, vcc_lo, v6, v4
	v_sub_co_ci_u32_e64 v7, null, v7, v5, vcc_lo
	v_add_co_u32 v12, vcc_lo, s14, v12
	v_cmp_lt_i64_e64 s0, v[0:1], v[6:7]
	v_add_co_ci_u32_e64 v13, null, s15, v13, vcc_lo
	s_cbranch_scc1 .LBB46_27
; %bb.16:
	v_mov_b32_e32 v14, 0
	v_mov_b32_e32 v16, 0
	;; [unrolled: 1-line block ×8, first 2 shown]
	s_and_saveexec_b32 s6, s0
	s_cbranch_execz .LBB46_26
; %bb.17:
	v_or_b32_e32 v14, 8, v34
	v_not_b32_e32 v17, v22
	v_sub_co_u32 v18, s1, v4, v34
	v_not_b32_e32 v16, v23
	v_sub_co_u32 v14, vcc_lo, v14, v4
	v_sub_co_ci_u32_e64 v15, null, 0, v5, vcc_lo
	v_subrev_co_ci_u32_e64 v19, null, 0, v5, s1
	v_add_co_u32 v14, vcc_lo, v14, v22
	v_add_co_ci_u32_e64 v15, null, v15, v23, vcc_lo
	v_mov_b32_e32 v25, 0
	v_mov_b32_e32 v20, 0
	;; [unrolled: 1-line block ×3, first 2 shown]
	v_cmp_gt_i64_e32 vcc_lo, v[14:15], v[6:7]
	v_mov_b32_e32 v21, 0
	v_mov_b32_e32 v26, v0
	v_cndmask_b32_e32 v15, v7, v15, vcc_lo
	v_cndmask_b32_e32 v14, v6, v14, vcc_lo
	v_add_co_u32 v17, vcc_lo, v18, v17
	v_add_co_ci_u32_e64 v16, null, v19, v16, vcc_lo
	v_mov_b32_e32 v18, 0
	v_add_co_u32 v28, vcc_lo, v17, v14
	v_add_co_ci_u32_e64 v29, null, v16, v15, vcc_lo
	v_mov_b32_e32 v16, 0
	v_and_b32_e32 v24, 24, v28
	v_mov_b32_e32 v14, 0
	v_mov_b32_e32 v19, 0
	;; [unrolled: 1-line block ×4, first 2 shown]
	v_cmp_ne_u64_e32 vcc_lo, 24, v[24:25]
	v_mov_b32_e32 v25, v13
	v_mov_b32_e32 v24, v12
	s_and_saveexec_b32 s7, vcc_lo
	s_cbranch_execz .LBB46_21
; %bb.18:
	v_lshrrev_b32_e32 v14, 3, v28
	v_lshlrev_b64 v[20:21], 3, v[0:1]
	v_mov_b32_e32 v25, v13
	v_mov_b32_e32 v16, 0
	;; [unrolled: 1-line block ×3, first 2 shown]
	v_add_nc_u32_e32 v26, 1, v14
	v_mov_b32_e32 v14, 0
	v_add_co_u32 v30, vcc_lo, s12, v20
	v_add_co_ci_u32_e64 v31, null, s13, v21, vcc_lo
	v_and_b32_e32 v26, 3, v26
	v_mov_b32_e32 v20, 0
	v_mov_b32_e32 v15, 0
	;; [unrolled: 1-line block ×4, first 2 shown]
	v_sub_co_u32 v32, s1, 0, v26
	v_mov_b32_e32 v27, v1
	v_mov_b32_e32 v19, 0
	v_sub_co_ci_u32_e64 v33, null, 0, 0, s1
	v_mov_b32_e32 v21, 0
	v_mov_b32_e32 v26, v0
	s_mov_b32 s8, 0
.LBB46_19:                              ; =>This Inner Loop Header: Depth=1
	global_load_dwordx2 v[63:64], v[30:31], off
	s_clause 0x6
	global_load_dwordx4 v[35:38], v[24:25], off offset:48
	global_load_dwordx4 v[39:42], v[24:25], off offset:32
	;; [unrolled: 1-line block ×3, first 2 shown]
	global_load_dwordx4 v[47:50], v[24:25], off
	global_load_dwordx4 v[51:54], v[24:25], off offset:112
	global_load_dwordx4 v[55:58], v[24:25], off offset:96
	;; [unrolled: 1-line block ×3, first 2 shown]
	v_add_co_u32 v30, s1, v30, 64
	v_add_co_ci_u32_e64 v31, null, 0, v31, s1
	s_waitcnt vmcnt(7)
	v_sub_co_u32 v63, vcc_lo, v63, v4
	v_sub_co_ci_u32_e64 v64, null, v64, v5, vcc_lo
	v_lshlrev_b64 v[63:64], 5, v[63:64]
	v_add_co_u32 v71, vcc_lo, s2, v63
	v_add_co_ci_u32_e64 v72, null, s3, v64, vcc_lo
	global_load_dwordx4 v[63:66], v[24:25], off offset:64
	s_clause 0x1
	global_load_dwordx4 v[67:70], v[71:72], off
	global_load_dwordx4 v[71:74], v[71:72], off offset:16
	v_add_co_u32 v24, vcc_lo, 0x400, v24
	v_add_co_ci_u32_e64 v25, null, 0, v25, vcc_lo
	v_add_co_u32 v32, vcc_lo, v32, 1
	v_add_co_ci_u32_e64 v33, null, 0, v33, vcc_lo
	v_add_co_u32 v26, vcc_lo, v26, 8
	v_add_co_ci_u32_e64 v27, null, 0, v27, vcc_lo
	v_cmp_eq_u64_e32 vcc_lo, 0, v[32:33]
	s_or_b32 s8, vcc_lo, s8
	s_waitcnt vmcnt(1)
	v_fma_f64 v[20:21], v[47:48], v[67:68], v[20:21]
	v_fma_f64 v[18:19], v[39:40], v[67:68], v[18:19]
	;; [unrolled: 1-line block ×8, first 2 shown]
	s_waitcnt vmcnt(0)
	v_fma_f64 v[20:21], v[43:44], v[71:72], v[20:21]
	v_fma_f64 v[18:19], v[35:36], v[71:72], v[18:19]
	;; [unrolled: 1-line block ×8, first 2 shown]
	s_andn2_b32 exec_lo, exec_lo, s8
	s_cbranch_execnz .LBB46_19
; %bb.20:
	s_or_b32 exec_lo, exec_lo, s8
.LBB46_21:
	s_or_b32 exec_lo, exec_lo, s7
	s_mov_b32 s7, exec_lo
	v_cmpx_lt_u64_e32 23, v[28:29]
	s_cbranch_execz .LBB46_25
; %bb.22:
	v_lshlrev_b64 v[28:29], 3, v[26:27]
	s_mov_b32 s8, 0
	v_add_co_u32 v28, vcc_lo, s12, v28
	v_add_co_ci_u32_e64 v29, null, s13, v29, vcc_lo
	v_add_co_u32 v28, vcc_lo, 0x80, v28
	v_add_co_ci_u32_e64 v29, null, 0, v29, vcc_lo
.LBB46_23:                              ; =>This Inner Loop Header: Depth=1
	global_load_dwordx2 v[119:120], v[28:29], off offset:-128
	s_clause 0xd
	global_load_dwordx4 v[30:33], v[24:25], off offset:48
	global_load_dwordx4 v[35:38], v[24:25], off offset:32
	;; [unrolled: 1-line block ×3, first 2 shown]
	global_load_dwordx4 v[43:46], v[24:25], off
	global_load_dwordx4 v[47:50], v[24:25], off offset:112
	global_load_dwordx4 v[51:54], v[24:25], off offset:96
	;; [unrolled: 1-line block ×10, first 2 shown]
	v_add_co_u32 v127, vcc_lo, 0x800, v24
	v_add_co_ci_u32_e64 v128, null, 0, v25, vcc_lo
	s_clause 0x2
	global_load_dwordx2 v[129:130], v[28:29], off offset:-64
	global_load_dwordx2 v[131:132], v[28:29], off
	global_load_dwordx2 v[133:134], v[28:29], off offset:64
	s_clause 0x7
	global_load_dwordx4 v[87:90], v[24:25], off offset:1104
	global_load_dwordx4 v[91:94], v[24:25], off offset:1088
	;; [unrolled: 1-line block ×4, first 2 shown]
	global_load_dwordx4 v[103:106], v[127:128], off
	global_load_dwordx4 v[107:110], v[127:128], off offset:16
	global_load_dwordx4 v[111:114], v[127:128], off offset:112
	global_load_dwordx4 v[115:118], v[127:128], off offset:96
	v_add_co_u32 v24, s1, 0x1000, v24
	v_add_co_ci_u32_e64 v25, null, 0, v25, s1
	s_waitcnt vmcnt(25)
	v_sub_co_u32 v119, vcc_lo, v119, v4
	v_sub_co_ci_u32_e64 v120, null, v120, v5, vcc_lo
	v_lshlrev_b64 v[119:120], 5, v[119:120]
	v_add_co_u32 v123, vcc_lo, s2, v119
	v_add_co_ci_u32_e64 v124, null, s3, v120, vcc_lo
	s_clause 0x1
	global_load_dwordx4 v[119:122], v[123:124], off
	global_load_dwordx4 v[123:126], v[123:124], off offset:16
	s_waitcnt vmcnt(1)
	v_fma_f64 v[14:15], v[51:52], v[119:120], v[14:15]
	v_sub_co_u32 v51, vcc_lo, v129, v4
	v_sub_co_ci_u32_e64 v52, null, v130, v5, vcc_lo
	v_fma_f64 v[16:17], v[59:60], v[119:120], v[16:17]
	v_fma_f64 v[20:21], v[43:44], v[119:120], v[20:21]
	;; [unrolled: 1-line block ×3, first 2 shown]
	v_lshlrev_b64 v[51:52], 5, v[51:52]
	v_add_co_u32 v59, vcc_lo, s2, v51
	v_add_co_ci_u32_e64 v60, null, s3, v52, vcc_lo
	v_fma_f64 v[119:120], v[53:54], v[121:122], v[14:15]
	global_load_dwordx4 v[51:54], v[59:60], off
	v_fma_f64 v[139:140], v[61:62], v[121:122], v[16:17]
	v_sub_co_u32 v61, vcc_lo, v131, v4
	v_sub_co_ci_u32_e64 v62, null, v132, v5, vcc_lo
	v_fma_f64 v[135:136], v[45:46], v[121:122], v[20:21]
	v_fma_f64 v[137:138], v[37:38], v[121:122], v[18:19]
	s_clause 0x1
	global_load_dwordx4 v[43:46], v[127:128], off offset:80
	global_load_dwordx4 v[18:21], v[127:128], off offset:64
	v_lshlrev_b64 v[61:62], 5, v[61:62]
	s_clause 0x1
	global_load_dwordx4 v[35:38], v[127:128], off offset:1072
	global_load_dwordx4 v[14:17], v[127:128], off offset:1056
	v_add_co_u32 v131, vcc_lo, s2, v61
	v_add_co_ci_u32_e64 v132, null, s3, v62, vcc_lo
	global_load_dwordx4 v[59:62], v[59:60], off offset:16
	s_waitcnt vmcnt(6)
	v_fma_f64 v[47:48], v[47:48], v[123:124], v[119:120]
	v_fma_f64 v[55:56], v[55:56], v[123:124], v[139:140]
	;; [unrolled: 1-line block ×4, first 2 shown]
	v_sub_co_u32 v123, vcc_lo, v133, v4
	v_sub_co_ci_u32_e64 v124, null, v134, v5, vcc_lo
	v_lshlrev_b64 v[123:124], 5, v[123:124]
	v_fma_f64 v[139:140], v[49:50], v[125:126], v[47:48]
	v_fma_f64 v[137:138], v[57:58], v[125:126], v[55:56]
	global_load_dwordx4 v[55:58], v[131:132], off
	v_fma_f64 v[129:130], v[41:42], v[125:126], v[39:40]
	global_load_dwordx4 v[39:42], v[127:128], off offset:1040
	v_fma_f64 v[135:136], v[32:33], v[125:126], v[30:31]
	s_clause 0x2
	global_load_dwordx4 v[30:33], v[127:128], off offset:1024
	global_load_dwordx4 v[47:50], v[127:128], off offset:1120
	;; [unrolled: 1-line block ×3, first 2 shown]
	s_waitcnt vmcnt(10)
	v_fma_f64 v[75:76], v[75:76], v[51:52], v[129:130]
	v_fma_f64 v[67:68], v[67:68], v[51:52], v[135:136]
	v_fma_f64 v[91:92], v[91:92], v[51:52], v[137:138]
	v_fma_f64 v[51:52], v[83:84], v[51:52], v[139:140]
	v_fma_f64 v[129:130], v[77:78], v[53:54], v[75:76]
	global_load_dwordx4 v[75:78], v[131:132], off offset:16
	v_add_co_u32 v131, vcc_lo, s2, v123
	v_add_co_ci_u32_e64 v132, null, s3, v124, vcc_lo
	v_fma_f64 v[133:134], v[69:70], v[53:54], v[67:68]
	v_fma_f64 v[135:136], v[93:94], v[53:54], v[91:92]
	;; [unrolled: 1-line block ×3, first 2 shown]
	global_load_dwordx4 v[67:70], v[131:132], off
	s_clause 0x1
	global_load_dwordx4 v[91:94], v[127:128], off offset:1136
	global_load_dwordx4 v[123:126], v[127:128], off offset:1104
	;; [unrolled: 1-line block ×3, first 2 shown]
	v_add_co_u32 v26, vcc_lo, v26, 32
	v_add_co_ci_u32_e64 v27, null, 0, v27, vcc_lo
	v_add_co_u32 v28, vcc_lo, 0x100, v28
	v_add_co_ci_u32_e64 v29, null, 0, v29, vcc_lo
	v_cmp_ge_i64_e32 vcc_lo, v[26:27], v[6:7]
	s_waitcnt vmcnt(10)
	v_fma_f64 v[71:72], v[71:72], v[59:60], v[129:130]
	s_or_b32 s8, vcc_lo, s8
	v_fma_f64 v[63:64], v[63:64], v[59:60], v[133:134]
	v_fma_f64 v[85:86], v[87:88], v[59:60], v[135:136]
	v_fma_f64 v[59:60], v[79:80], v[59:60], v[83:84]
	v_fma_f64 v[71:72], v[73:74], v[61:62], v[71:72]
	v_fma_f64 v[63:64], v[65:66], v[61:62], v[63:64]
	v_fma_f64 v[65:66], v[89:90], v[61:62], v[85:86]
	v_fma_f64 v[59:60], v[81:82], v[61:62], v[59:60]
	s_waitcnt vmcnt(9)
	v_fma_f64 v[61:62], v[103:104], v[55:56], v[71:72]
	v_fma_f64 v[63:64], v[99:100], v[55:56], v[63:64]
	v_fma_f64 v[18:19], v[18:19], v[55:56], v[65:66]
	v_fma_f64 v[55:56], v[115:116], v[55:56], v[59:60]
	v_fma_f64 v[59:60], v[105:106], v[57:58], v[61:62]
	v_fma_f64 v[61:62], v[101:102], v[57:58], v[63:64]
	v_fma_f64 v[18:19], v[20:21], v[57:58], v[18:19]
	v_fma_f64 v[20:21], v[117:118], v[57:58], v[55:56]
	s_waitcnt vmcnt(4)
	v_fma_f64 v[55:56], v[107:108], v[75:76], v[59:60]
	;; [unrolled: 9-line block ×4, first 2 shown]
	v_fma_f64 v[14:15], v[35:36], v[51:52], v[14:15]
	v_fma_f64 v[16:17], v[123:124], v[51:52], v[16:17]
	;; [unrolled: 1-line block ×7, first 2 shown]
	s_andn2_b32 exec_lo, exec_lo, s8
	s_cbranch_execnz .LBB46_23
; %bb.24:
	s_or_b32 exec_lo, exec_lo, s8
.LBB46_25:
	s_or_b32 exec_lo, exec_lo, s7
.LBB46_26:
	s_or_b32 exec_lo, exec_lo, s6
	s_cbranch_execz .LBB46_28
	s_branch .LBB46_39
.LBB46_27:
                                        ; implicit-def: $vgpr14_vgpr15
                                        ; implicit-def: $vgpr16_vgpr17
                                        ; implicit-def: $vgpr18_vgpr19
                                        ; implicit-def: $vgpr20_vgpr21
.LBB46_28:
	v_mov_b32_e32 v14, 0
	v_mov_b32_e32 v16, 0
	;; [unrolled: 1-line block ×8, first 2 shown]
	s_and_saveexec_b32 s1, s0
	s_cbranch_execz .LBB46_38
; %bb.29:
	v_or_b32_e32 v14, 8, v34
	v_not_b32_e32 v17, v22
	v_sub_co_u32 v18, s0, v4, v34
	v_not_b32_e32 v16, v23
	v_sub_co_u32 v14, vcc_lo, v14, v4
	v_sub_co_ci_u32_e64 v15, null, 0, v5, vcc_lo
	v_subrev_co_ci_u32_e64 v19, null, 0, v5, s0
	v_add_co_u32 v14, vcc_lo, v14, v22
	v_add_co_ci_u32_e64 v15, null, v15, v23, vcc_lo
	v_cmp_gt_i64_e32 vcc_lo, v[14:15], v[6:7]
	v_cndmask_b32_e32 v20, v7, v15, vcc_lo
	v_cndmask_b32_e32 v14, v6, v14, vcc_lo
	v_add_co_u32 v15, vcc_lo, v18, v17
	v_add_co_ci_u32_e64 v16, null, v19, v16, vcc_lo
	v_mov_b32_e32 v18, 0
	v_add_co_u32 v22, vcc_lo, v15, v14
	v_mov_b32_e32 v15, 0
	v_add_co_ci_u32_e64 v23, null, v16, v20, vcc_lo
	v_and_b32_e32 v14, 24, v22
	v_mov_b32_e32 v20, 0
	v_mov_b32_e32 v16, 0
	;; [unrolled: 1-line block ×4, first 2 shown]
	v_cmp_ne_u64_e32 vcc_lo, 24, v[14:15]
	v_mov_b32_e32 v14, 0
	v_mov_b32_e32 v17, 0
	;; [unrolled: 1-line block ×3, first 2 shown]
	s_and_saveexec_b32 s6, vcc_lo
	s_cbranch_execz .LBB46_33
; %bb.30:
	v_lshrrev_b32_e32 v14, 3, v22
	v_lshlrev_b64 v[24:25], 3, v[0:1]
	v_mov_b32_e32 v16, 0
	v_mov_b32_e32 v18, 0
	;; [unrolled: 1-line block ×3, first 2 shown]
	v_add_nc_u32_e32 v26, 1, v14
	v_mov_b32_e32 v14, 0
	v_add_co_u32 v24, vcc_lo, s12, v24
	v_mov_b32_e32 v15, 0
	v_and_b32_e32 v26, 3, v26
	v_mov_b32_e32 v17, 0
	v_mov_b32_e32 v19, 0
	;; [unrolled: 1-line block ×3, first 2 shown]
	v_add_co_ci_u32_e64 v25, null, s13, v25, vcc_lo
	v_sub_co_u32 v26, s0, 0, v26
	v_sub_co_ci_u32_e64 v27, null, 0, 0, s0
	s_mov_b32 s7, 0
.LBB46_31:                              ; =>This Inner Loop Header: Depth=1
	global_load_dwordx2 v[32:33], v[24:25], off
	global_load_dwordx4 v[28:31], v[12:13], off offset:16
	v_add_co_u32 v24, s0, v24, 64
	v_add_co_ci_u32_e64 v25, null, 0, v25, s0
	s_waitcnt vmcnt(1)
	v_sub_co_u32 v32, vcc_lo, v32, v4
	v_sub_co_ci_u32_e64 v33, null, v33, v5, vcc_lo
	v_lshlrev_b64 v[32:33], 5, v[32:33]
	v_add_co_u32 v32, vcc_lo, s2, v32
	v_add_co_ci_u32_e64 v33, null, s3, v33, vcc_lo
	global_load_dwordx4 v[35:38], v[12:13], off
	s_clause 0x1
	global_load_dwordx4 v[39:42], v[32:33], off
	global_load_dwordx4 v[43:46], v[32:33], off offset:16
	s_clause 0x5
	global_load_dwordx4 v[47:50], v[12:13], off offset:32
	global_load_dwordx4 v[51:54], v[12:13], off offset:48
	;; [unrolled: 1-line block ×6, first 2 shown]
	v_add_co_u32 v12, vcc_lo, 0x400, v12
	v_add_co_ci_u32_e64 v13, null, 0, v13, vcc_lo
	v_add_co_u32 v26, vcc_lo, v26, 1
	v_add_co_ci_u32_e64 v27, null, 0, v27, vcc_lo
	;; [unrolled: 2-line block ×3, first 2 shown]
	v_cmp_eq_u64_e32 vcc_lo, 0, v[26:27]
	s_or_b32 s7, vcc_lo, s7
	s_waitcnt vmcnt(7)
	v_fma_f64 v[20:21], v[35:36], v[39:40], v[20:21]
	v_fma_f64 v[18:19], v[37:38], v[39:40], v[18:19]
	;; [unrolled: 1-line block ×4, first 2 shown]
	s_waitcnt vmcnt(5)
	v_fma_f64 v[20:21], v[47:48], v[41:42], v[20:21]
	v_fma_f64 v[18:19], v[49:50], v[41:42], v[18:19]
	s_waitcnt vmcnt(4)
	v_fma_f64 v[16:17], v[51:52], v[41:42], v[16:17]
	v_fma_f64 v[14:15], v[53:54], v[41:42], v[14:15]
	;; [unrolled: 3-line block ×6, first 2 shown]
	s_andn2_b32 exec_lo, exec_lo, s7
	s_cbranch_execnz .LBB46_31
; %bb.32:
	s_or_b32 exec_lo, exec_lo, s7
.LBB46_33:
	s_or_b32 exec_lo, exec_lo, s6
	s_mov_b32 s6, exec_lo
	v_cmpx_lt_u64_e32 23, v[22:23]
	s_cbranch_execz .LBB46_37
; %bb.34:
	v_lshlrev_b64 v[22:23], 3, v[0:1]
	s_mov_b32 s7, 0
	v_add_co_u32 v22, vcc_lo, s12, v22
	v_add_co_ci_u32_e64 v23, null, s13, v23, vcc_lo
	v_add_co_u32 v22, vcc_lo, 0x80, v22
	v_add_co_ci_u32_e64 v23, null, 0, v23, vcc_lo
.LBB46_35:                              ; =>This Inner Loop Header: Depth=1
	s_clause 0x2
	global_load_dwordx2 v[32:33], v[22:23], off offset:-128
	global_load_dwordx2 v[91:92], v[22:23], off offset:-64
	global_load_dwordx2 v[106:107], v[22:23], off
	s_clause 0x9
	global_load_dwordx4 v[24:27], v[12:13], off offset:48
	global_load_dwordx4 v[28:31], v[12:13], off offset:32
	;; [unrolled: 1-line block ×3, first 2 shown]
	global_load_dwordx4 v[39:42], v[12:13], off
	global_load_dwordx4 v[43:46], v[12:13], off offset:112
	global_load_dwordx4 v[47:50], v[12:13], off offset:96
	;; [unrolled: 1-line block ×6, first 2 shown]
	global_load_dwordx2 v[111:112], v[22:23], off offset:64
	s_clause 0x5
	global_load_dwordx4 v[67:70], v[12:13], off offset:1040
	global_load_dwordx4 v[71:74], v[12:13], off offset:1024
	;; [unrolled: 1-line block ×6, first 2 shown]
	v_add_co_u32 v113, vcc_lo, 0x800, v12
	v_add_co_ci_u32_e64 v114, null, 0, v13, vcc_lo
	s_waitcnt vmcnt(19)
	v_sub_co_u32 v32, vcc_lo, v32, v4
	v_sub_co_ci_u32_e64 v33, null, v33, v5, vcc_lo
	s_waitcnt vmcnt(18)
	v_sub_co_u32 v91, vcc_lo, v91, v4
	v_sub_co_ci_u32_e64 v92, null, v92, v5, vcc_lo
	v_lshlrev_b64 v[32:33], 5, v[32:33]
	s_waitcnt vmcnt(17)
	v_sub_co_u32 v108, vcc_lo, v106, v4
	v_lshlrev_b64 v[91:92], 5, v[91:92]
	v_sub_co_ci_u32_e64 v109, null, v107, v5, vcc_lo
	v_add_co_u32 v32, s0, s2, v32
	v_add_co_ci_u32_e64 v33, null, s3, v33, s0
	v_add_co_u32 v103, s0, s2, v91
	v_add_co_ci_u32_e64 v104, null, s3, v92, s0
	s_clause 0x3
	global_load_dwordx4 v[91:94], v[32:33], off
	global_load_dwordx4 v[95:98], v[32:33], off offset:16
	global_load_dwordx4 v[99:102], v[103:104], off
	global_load_dwordx4 v[103:106], v[103:104], off offset:16
	v_lshlrev_b64 v[32:33], 5, v[108:109]
	global_load_dwordx4 v[107:110], v[113:114], off
	v_add_co_u32 v12, s0, 0x1000, v12
	v_add_co_ci_u32_e64 v13, null, 0, v13, s0
	v_add_co_u32 v32, vcc_lo, s2, v32
	v_add_co_ci_u32_e64 v33, null, s3, v33, vcc_lo
	s_waitcnt vmcnt(4)
	v_fma_f64 v[39:40], v[39:40], v[91:92], v[20:21]
	v_fma_f64 v[41:42], v[41:42], v[91:92], v[18:19]
	global_load_dwordx4 v[18:21], v[113:114], off offset:16
	v_fma_f64 v[35:36], v[35:36], v[91:92], v[16:17]
	v_fma_f64 v[37:38], v[37:38], v[91:92], v[14:15]
	global_load_dwordx4 v[14:17], v[32:33], off
	v_fma_f64 v[39:40], v[28:29], v[93:94], v[39:40]
	v_fma_f64 v[41:42], v[30:31], v[93:94], v[41:42]
	global_load_dwordx4 v[28:31], v[113:114], off offset:48
	v_fma_f64 v[91:92], v[24:25], v[93:94], v[35:36]
	v_fma_f64 v[93:94], v[26:27], v[93:94], v[37:38]
	s_clause 0x1
	global_load_dwordx4 v[24:27], v[113:114], off offset:32
	global_load_dwordx4 v[35:38], v[113:114], off offset:64
	s_waitcnt vmcnt(8)
	v_fma_f64 v[55:56], v[55:56], v[95:96], v[39:40]
	v_fma_f64 v[57:58], v[57:58], v[95:96], v[41:42]
	global_load_dwordx4 v[39:42], v[113:114], off offset:80
	v_fma_f64 v[91:92], v[51:52], v[95:96], v[91:92]
	v_fma_f64 v[93:94], v[53:54], v[95:96], v[93:94]
	global_load_dwordx4 v[51:54], v[32:33], off offset:16
	;; [unrolled: 3-line block ×3, first 2 shown]
	v_fma_f64 v[91:92], v[43:44], v[97:98], v[91:92]
	v_fma_f64 v[93:94], v[45:46], v[97:98], v[93:94]
	s_clause 0x1
	global_load_dwordx4 v[43:46], v[113:114], off offset:96
	global_load_dwordx4 v[55:58], v[113:114], off offset:1040
	v_sub_co_u32 v97, vcc_lo, v111, v4
	v_sub_co_ci_u32_e64 v98, null, v112, v5, vcc_lo
	v_lshlrev_b64 v[97:98], 5, v[97:98]
	v_add_co_u32 v97, vcc_lo, s2, v97
	v_add_co_ci_u32_e64 v98, null, s3, v98, vcc_lo
	s_waitcnt vmcnt(12)
	v_fma_f64 v[32:33], v[71:72], v[99:100], v[32:33]
	v_fma_f64 v[95:96], v[73:74], v[99:100], v[95:96]
	global_load_dwordx4 v[71:74], v[113:114], off offset:1024
	v_fma_f64 v[91:92], v[67:68], v[99:100], v[91:92]
	v_fma_f64 v[93:94], v[69:70], v[99:100], v[93:94]
	global_load_dwordx4 v[67:70], v[97:98], off
	v_add_co_u32 v0, vcc_lo, v0, 32
	v_add_co_ci_u32_e64 v1, null, 0, v1, vcc_lo
	v_add_co_u32 v22, vcc_lo, 0x100, v22
	v_add_co_ci_u32_e64 v23, null, 0, v23, vcc_lo
	v_cmp_ge_i64_e32 vcc_lo, v[0:1], v[6:7]
	s_or_b32 s7, vcc_lo, s7
	v_fma_f64 v[32:33], v[63:64], v[101:102], v[32:33]
	v_fma_f64 v[95:96], v[65:66], v[101:102], v[95:96]
	global_load_dwordx4 v[63:66], v[113:114], off offset:1056
	v_fma_f64 v[99:100], v[59:60], v[101:102], v[91:92]
	v_fma_f64 v[101:102], v[61:62], v[101:102], v[93:94]
	s_clause 0x1
	global_load_dwordx4 v[59:62], v[113:114], off offset:1072
	global_load_dwordx4 v[91:94], v[113:114], off offset:1088
	s_waitcnt vmcnt(16)
	v_fma_f64 v[32:33], v[87:88], v[103:104], v[32:33]
	v_fma_f64 v[111:112], v[89:90], v[103:104], v[95:96]
	global_load_dwordx4 v[87:90], v[113:114], off offset:1104
	global_load_dwordx4 v[95:98], v[97:98], off offset:16
	v_fma_f64 v[99:100], v[83:84], v[103:104], v[99:100]
	v_fma_f64 v[101:102], v[85:86], v[103:104], v[101:102]
	global_load_dwordx4 v[83:86], v[113:114], off offset:1120
	v_fma_f64 v[32:33], v[79:80], v[105:106], v[32:33]
	v_fma_f64 v[103:104], v[81:82], v[105:106], v[111:112]
	;; [unrolled: 3-line block ×3, first 2 shown]
	s_waitcnt vmcnt(17)
	v_fma_f64 v[32:33], v[107:108], v[14:15], v[32:33]
	v_fma_f64 v[99:100], v[109:110], v[14:15], v[103:104]
	v_fma_f64 v[18:19], v[18:19], v[14:15], v[75:76]
	v_fma_f64 v[14:15], v[20:21], v[14:15], v[77:78]
	s_waitcnt vmcnt(15)
	v_fma_f64 v[20:21], v[24:25], v[16:17], v[32:33]
	v_fma_f64 v[24:25], v[26:27], v[16:17], v[99:100]
	v_fma_f64 v[18:19], v[28:29], v[16:17], v[18:19]
	v_fma_f64 v[14:15], v[30:31], v[16:17], v[14:15]
	;; [unrolled: 5-line block ×5, first 2 shown]
	s_waitcnt vmcnt(6)
	v_fma_f64 v[16:17], v[63:64], v[69:70], v[16:17]
	v_fma_f64 v[20:21], v[65:66], v[69:70], v[20:21]
	s_waitcnt vmcnt(5)
	v_fma_f64 v[18:19], v[59:60], v[69:70], v[18:19]
	v_fma_f64 v[14:15], v[61:62], v[69:70], v[14:15]
	;; [unrolled: 3-line block ×3, first 2 shown]
	v_fma_f64 v[26:27], v[87:88], v[95:96], v[18:19]
	v_fma_f64 v[14:15], v[89:90], v[95:96], v[14:15]
	s_waitcnt vmcnt(1)
	v_fma_f64 v[20:21], v[83:84], v[97:98], v[16:17]
	v_fma_f64 v[18:19], v[85:86], v[97:98], v[24:25]
	s_waitcnt vmcnt(0)
	v_fma_f64 v[16:17], v[79:80], v[97:98], v[26:27]
	v_fma_f64 v[14:15], v[81:82], v[97:98], v[14:15]
	s_andn2_b32 exec_lo, exec_lo, s7
	s_cbranch_execnz .LBB46_35
; %bb.36:
	s_or_b32 exec_lo, exec_lo, s7
.LBB46_37:
	s_or_b32 exec_lo, exec_lo, s6
.LBB46_38:
	s_or_b32 exec_lo, exec_lo, s1
.LBB46_39:
	v_mbcnt_lo_u32_b32 v24, -1, 0
	v_xor_b32_e32 v0, 4, v24
	v_cmp_gt_i32_e32 vcc_lo, 32, v0
	v_cndmask_b32_e32 v0, v24, v0, vcc_lo
	v_lshlrev_b32_e32 v13, 2, v0
	ds_bpermute_b32 v0, v13, v20
	ds_bpermute_b32 v1, v13, v21
	;; [unrolled: 1-line block ×8, first 2 shown]
	s_waitcnt lgkmcnt(6)
	v_add_f64 v[0:1], v[20:21], v[0:1]
	s_waitcnt lgkmcnt(4)
	v_add_f64 v[4:5], v[18:19], v[4:5]
	;; [unrolled: 2-line block ×3, first 2 shown]
	v_xor_b32_e32 v6, 2, v24
	s_waitcnt lgkmcnt(0)
	v_add_f64 v[14:15], v[14:15], v[12:13]
	v_cmp_gt_i32_e32 vcc_lo, 32, v6
	v_cndmask_b32_e32 v6, v24, v6, vcc_lo
	v_lshlrev_b32_e32 v12, 2, v6
	ds_bpermute_b32 v6, v12, v0
	ds_bpermute_b32 v7, v12, v1
	;; [unrolled: 1-line block ×8, first 2 shown]
	s_waitcnt lgkmcnt(6)
	v_add_f64 v[12:13], v[0:1], v[6:7]
	s_waitcnt lgkmcnt(4)
	v_add_f64 v[6:7], v[4:5], v[18:19]
	;; [unrolled: 2-line block ×4, first 2 shown]
	v_xor_b32_e32 v14, 1, v24
	v_cmp_gt_i32_e32 vcc_lo, 32, v14
	v_cndmask_b32_e32 v14, v24, v14, vcc_lo
	v_cmp_eq_u32_e32 vcc_lo, 7, v34
	v_lshlrev_b32_e32 v15, 2, v14
	ds_bpermute_b32 v20, v15, v12
	ds_bpermute_b32 v21, v15, v13
	;; [unrolled: 1-line block ×8, first 2 shown]
	s_and_b32 exec_lo, exec_lo, vcc_lo
	s_cbranch_execz .LBB46_10
; %bb.40:
	s_waitcnt lgkmcnt(6)
	v_add_f64 v[12:13], v[12:13], v[20:21]
	s_waitcnt lgkmcnt(4)
	v_add_f64 v[6:7], v[6:7], v[18:19]
	;; [unrolled: 2-line block ×4, first 2 shown]
	s_load_dwordx2 s[0:1], s[4:5], 0x58
	v_lshlrev_b64 v[10:11], 5, v[10:11]
	s_mov_b32 s2, exec_lo
	v_mul_f64 v[4:5], v[2:3], v[12:13]
	v_mul_f64 v[6:7], v[2:3], v[6:7]
	;; [unrolled: 1-line block ×4, first 2 shown]
	v_cmpx_eq_f64_e32 0, v[8:9]
	s_xor_b32 s2, exec_lo, s2
	s_cbranch_execz .LBB46_42
; %bb.41:
	s_waitcnt lgkmcnt(0)
	v_add_co_u32 v8, vcc_lo, s0, v10
	v_add_co_ci_u32_e64 v9, null, s1, v11, vcc_lo
                                        ; implicit-def: $vgpr10_vgpr11
	global_store_dwordx4 v[8:9], v[4:7], off
	global_store_dwordx4 v[8:9], v[0:3], off offset:16
                                        ; implicit-def: $vgpr8_vgpr9
                                        ; implicit-def: $vgpr4_vgpr5
                                        ; implicit-def: $vgpr0_vgpr1
.LBB46_42:
	s_andn2_saveexec_b32 s2, s2
	s_cbranch_execz .LBB46_10
; %bb.43:
	s_waitcnt lgkmcnt(0)
	v_add_co_u32 v18, vcc_lo, s0, v10
	v_add_co_ci_u32_e64 v19, null, s1, v11, vcc_lo
	s_clause 0x1
	global_load_dwordx4 v[10:13], v[18:19], off
	global_load_dwordx4 v[14:17], v[18:19], off offset:16
	s_waitcnt vmcnt(1)
	v_fma_f64 v[4:5], v[8:9], v[10:11], v[4:5]
	v_fma_f64 v[6:7], v[8:9], v[12:13], v[6:7]
	s_waitcnt vmcnt(0)
	v_fma_f64 v[0:1], v[8:9], v[14:15], v[0:1]
	v_fma_f64 v[2:3], v[8:9], v[16:17], v[2:3]
	global_store_dwordx4 v[18:19], v[4:7], off
	global_store_dwordx4 v[18:19], v[0:3], off offset:16
	s_endpgm
	.section	.rodata,"a",@progbits
	.p2align	6, 0x0
	.amdhsa_kernel _ZN9rocsparseL18bsrxmvn_4x4_kernelILj128ELj8EdlldddEEvT3_20rocsparse_direction_NS_24const_host_device_scalarIT1_EES1_PKS1_PKT2_SA_S7_PKT4_PKT5_S5_PT6_21rocsparse_index_base_b
		.amdhsa_group_segment_fixed_size 0
		.amdhsa_private_segment_fixed_size 0
		.amdhsa_kernarg_size 104
		.amdhsa_user_sgpr_count 6
		.amdhsa_user_sgpr_private_segment_buffer 1
		.amdhsa_user_sgpr_dispatch_ptr 0
		.amdhsa_user_sgpr_queue_ptr 0
		.amdhsa_user_sgpr_kernarg_segment_ptr 1
		.amdhsa_user_sgpr_dispatch_id 0
		.amdhsa_user_sgpr_flat_scratch_init 0
		.amdhsa_user_sgpr_private_segment_size 0
		.amdhsa_wavefront_size32 1
		.amdhsa_uses_dynamic_stack 0
		.amdhsa_system_sgpr_private_segment_wavefront_offset 0
		.amdhsa_system_sgpr_workgroup_id_x 1
		.amdhsa_system_sgpr_workgroup_id_y 0
		.amdhsa_system_sgpr_workgroup_id_z 0
		.amdhsa_system_sgpr_workgroup_info 0
		.amdhsa_system_vgpr_workitem_id 0
		.amdhsa_next_free_vgpr 141
		.amdhsa_next_free_sgpr 16
		.amdhsa_reserve_vcc 1
		.amdhsa_reserve_flat_scratch 0
		.amdhsa_float_round_mode_32 0
		.amdhsa_float_round_mode_16_64 0
		.amdhsa_float_denorm_mode_32 3
		.amdhsa_float_denorm_mode_16_64 3
		.amdhsa_dx10_clamp 1
		.amdhsa_ieee_mode 1
		.amdhsa_fp16_overflow 0
		.amdhsa_workgroup_processor_mode 1
		.amdhsa_memory_ordered 1
		.amdhsa_forward_progress 1
		.amdhsa_shared_vgpr_count 0
		.amdhsa_exception_fp_ieee_invalid_op 0
		.amdhsa_exception_fp_denorm_src 0
		.amdhsa_exception_fp_ieee_div_zero 0
		.amdhsa_exception_fp_ieee_overflow 0
		.amdhsa_exception_fp_ieee_underflow 0
		.amdhsa_exception_fp_ieee_inexact 0
		.amdhsa_exception_int_div_zero 0
	.end_amdhsa_kernel
	.section	.text._ZN9rocsparseL18bsrxmvn_4x4_kernelILj128ELj8EdlldddEEvT3_20rocsparse_direction_NS_24const_host_device_scalarIT1_EES1_PKS1_PKT2_SA_S7_PKT4_PKT5_S5_PT6_21rocsparse_index_base_b,"axG",@progbits,_ZN9rocsparseL18bsrxmvn_4x4_kernelILj128ELj8EdlldddEEvT3_20rocsparse_direction_NS_24const_host_device_scalarIT1_EES1_PKS1_PKT2_SA_S7_PKT4_PKT5_S5_PT6_21rocsparse_index_base_b,comdat
.Lfunc_end46:
	.size	_ZN9rocsparseL18bsrxmvn_4x4_kernelILj128ELj8EdlldddEEvT3_20rocsparse_direction_NS_24const_host_device_scalarIT1_EES1_PKS1_PKT2_SA_S7_PKT4_PKT5_S5_PT6_21rocsparse_index_base_b, .Lfunc_end46-_ZN9rocsparseL18bsrxmvn_4x4_kernelILj128ELj8EdlldddEEvT3_20rocsparse_direction_NS_24const_host_device_scalarIT1_EES1_PKS1_PKT2_SA_S7_PKT4_PKT5_S5_PT6_21rocsparse_index_base_b
                                        ; -- End function
	.set _ZN9rocsparseL18bsrxmvn_4x4_kernelILj128ELj8EdlldddEEvT3_20rocsparse_direction_NS_24const_host_device_scalarIT1_EES1_PKS1_PKT2_SA_S7_PKT4_PKT5_S5_PT6_21rocsparse_index_base_b.num_vgpr, 141
	.set _ZN9rocsparseL18bsrxmvn_4x4_kernelILj128ELj8EdlldddEEvT3_20rocsparse_direction_NS_24const_host_device_scalarIT1_EES1_PKS1_PKT2_SA_S7_PKT4_PKT5_S5_PT6_21rocsparse_index_base_b.num_agpr, 0
	.set _ZN9rocsparseL18bsrxmvn_4x4_kernelILj128ELj8EdlldddEEvT3_20rocsparse_direction_NS_24const_host_device_scalarIT1_EES1_PKS1_PKT2_SA_S7_PKT4_PKT5_S5_PT6_21rocsparse_index_base_b.numbered_sgpr, 16
	.set _ZN9rocsparseL18bsrxmvn_4x4_kernelILj128ELj8EdlldddEEvT3_20rocsparse_direction_NS_24const_host_device_scalarIT1_EES1_PKS1_PKT2_SA_S7_PKT4_PKT5_S5_PT6_21rocsparse_index_base_b.num_named_barrier, 0
	.set _ZN9rocsparseL18bsrxmvn_4x4_kernelILj128ELj8EdlldddEEvT3_20rocsparse_direction_NS_24const_host_device_scalarIT1_EES1_PKS1_PKT2_SA_S7_PKT4_PKT5_S5_PT6_21rocsparse_index_base_b.private_seg_size, 0
	.set _ZN9rocsparseL18bsrxmvn_4x4_kernelILj128ELj8EdlldddEEvT3_20rocsparse_direction_NS_24const_host_device_scalarIT1_EES1_PKS1_PKT2_SA_S7_PKT4_PKT5_S5_PT6_21rocsparse_index_base_b.uses_vcc, 1
	.set _ZN9rocsparseL18bsrxmvn_4x4_kernelILj128ELj8EdlldddEEvT3_20rocsparse_direction_NS_24const_host_device_scalarIT1_EES1_PKS1_PKT2_SA_S7_PKT4_PKT5_S5_PT6_21rocsparse_index_base_b.uses_flat_scratch, 0
	.set _ZN9rocsparseL18bsrxmvn_4x4_kernelILj128ELj8EdlldddEEvT3_20rocsparse_direction_NS_24const_host_device_scalarIT1_EES1_PKS1_PKT2_SA_S7_PKT4_PKT5_S5_PT6_21rocsparse_index_base_b.has_dyn_sized_stack, 0
	.set _ZN9rocsparseL18bsrxmvn_4x4_kernelILj128ELj8EdlldddEEvT3_20rocsparse_direction_NS_24const_host_device_scalarIT1_EES1_PKS1_PKT2_SA_S7_PKT4_PKT5_S5_PT6_21rocsparse_index_base_b.has_recursion, 0
	.set _ZN9rocsparseL18bsrxmvn_4x4_kernelILj128ELj8EdlldddEEvT3_20rocsparse_direction_NS_24const_host_device_scalarIT1_EES1_PKS1_PKT2_SA_S7_PKT4_PKT5_S5_PT6_21rocsparse_index_base_b.has_indirect_call, 0
	.section	.AMDGPU.csdata,"",@progbits
; Kernel info:
; codeLenInByte = 5088
; TotalNumSgprs: 18
; NumVgprs: 141
; ScratchSize: 0
; MemoryBound: 1
; FloatMode: 240
; IeeeMode: 1
; LDSByteSize: 0 bytes/workgroup (compile time only)
; SGPRBlocks: 0
; VGPRBlocks: 17
; NumSGPRsForWavesPerEU: 18
; NumVGPRsForWavesPerEU: 141
; Occupancy: 7
; WaveLimiterHint : 1
; COMPUTE_PGM_RSRC2:SCRATCH_EN: 0
; COMPUTE_PGM_RSRC2:USER_SGPR: 6
; COMPUTE_PGM_RSRC2:TRAP_HANDLER: 0
; COMPUTE_PGM_RSRC2:TGID_X_EN: 1
; COMPUTE_PGM_RSRC2:TGID_Y_EN: 0
; COMPUTE_PGM_RSRC2:TGID_Z_EN: 0
; COMPUTE_PGM_RSRC2:TIDIG_COMP_CNT: 0
	.section	.text._ZN9rocsparseL18bsrxmvn_4x4_kernelILj128ELj16EdlldddEEvT3_20rocsparse_direction_NS_24const_host_device_scalarIT1_EES1_PKS1_PKT2_SA_S7_PKT4_PKT5_S5_PT6_21rocsparse_index_base_b,"axG",@progbits,_ZN9rocsparseL18bsrxmvn_4x4_kernelILj128ELj16EdlldddEEvT3_20rocsparse_direction_NS_24const_host_device_scalarIT1_EES1_PKS1_PKT2_SA_S7_PKT4_PKT5_S5_PT6_21rocsparse_index_base_b,comdat
	.globl	_ZN9rocsparseL18bsrxmvn_4x4_kernelILj128ELj16EdlldddEEvT3_20rocsparse_direction_NS_24const_host_device_scalarIT1_EES1_PKS1_PKT2_SA_S7_PKT4_PKT5_S5_PT6_21rocsparse_index_base_b ; -- Begin function _ZN9rocsparseL18bsrxmvn_4x4_kernelILj128ELj16EdlldddEEvT3_20rocsparse_direction_NS_24const_host_device_scalarIT1_EES1_PKS1_PKT2_SA_S7_PKT4_PKT5_S5_PT6_21rocsparse_index_base_b
	.p2align	8
	.type	_ZN9rocsparseL18bsrxmvn_4x4_kernelILj128ELj16EdlldddEEvT3_20rocsparse_direction_NS_24const_host_device_scalarIT1_EES1_PKS1_PKT2_SA_S7_PKT4_PKT5_S5_PT6_21rocsparse_index_base_b,@function
_ZN9rocsparseL18bsrxmvn_4x4_kernelILj128ELj16EdlldddEEvT3_20rocsparse_direction_NS_24const_host_device_scalarIT1_EES1_PKS1_PKT2_SA_S7_PKT4_PKT5_S5_PT6_21rocsparse_index_base_b: ; @_ZN9rocsparseL18bsrxmvn_4x4_kernelILj128ELj16EdlldddEEvT3_20rocsparse_direction_NS_24const_host_device_scalarIT1_EES1_PKS1_PKT2_SA_S7_PKT4_PKT5_S5_PT6_21rocsparse_index_base_b
; %bb.0:
	s_clause 0x2
	s_load_dwordx2 s[8:9], s[4:5], 0x60
	s_load_dwordx4 s[0:3], s[4:5], 0x10
	s_load_dwordx2 s[10:11], s[4:5], 0x50
	s_waitcnt lgkmcnt(0)
	s_bitcmp1_b32 s9, 0
	v_mov_b32_e32 v3, s1
	v_mov_b32_e32 v2, s0
	s_cselect_b32 s7, -1, 0
	s_and_b32 vcc_lo, exec_lo, s7
	s_xor_b32 s7, s7, -1
	s_cbranch_vccnz .LBB47_2
; %bb.1:
	v_mov_b32_e32 v2, s1
	v_mov_b32_e32 v1, s0
	flat_load_dwordx2 v[2:3], v[1:2]
.LBB47_2:
	v_mov_b32_e32 v8, s10
	v_mov_b32_e32 v9, s11
	s_andn2_b32 vcc_lo, exec_lo, s7
	s_cbranch_vccnz .LBB47_4
; %bb.3:
	v_mov_b32_e32 v4, s10
	v_mov_b32_e32 v5, s11
	flat_load_dwordx2 v[8:9], v[4:5]
.LBB47_4:
	s_waitcnt vmcnt(0) lgkmcnt(0)
	v_cmp_neq_f64_e32 vcc_lo, 0, v[2:3]
	v_cmp_neq_f64_e64 s0, 1.0, v[8:9]
	s_or_b32 s0, vcc_lo, s0
	s_and_saveexec_b32 s1, s0
	s_cbranch_execz .LBB47_10
; %bb.5:
	s_load_dwordx2 s[0:1], s[4:5], 0x20
	v_lshrrev_b32_e32 v1, 4, v0
	v_mov_b32_e32 v7, 0
	v_lshl_or_b32 v6, s6, 3, v1
	s_waitcnt lgkmcnt(0)
	s_cmp_lg_u64 s[0:1], 0
	s_cbranch_scc0 .LBB47_11
; %bb.6:
	v_cmp_gt_i64_e32 vcc_lo, s[2:3], v[6:7]
	s_mov_b32 s3, 0
	s_mov_b32 s2, 0
                                        ; implicit-def: $vgpr10_vgpr11
                                        ; implicit-def: $vgpr4_vgpr5
	s_and_saveexec_b32 s6, vcc_lo
	s_xor_b32 s6, exec_lo, s6
	s_cbranch_execz .LBB47_8
; %bb.7:
	v_lshlrev_b64 v[4:5], 3, v[6:7]
	s_mov_b32 s9, 0
	s_mov_b32 s2, exec_lo
	v_add_co_u32 v4, vcc_lo, s0, v4
	v_add_co_ci_u32_e64 v5, null, s1, v5, vcc_lo
	global_load_dwordx2 v[4:5], v[4:5], off
	s_waitcnt vmcnt(0)
	v_sub_co_u32 v10, vcc_lo, v4, s8
	v_subrev_co_ci_u32_e64 v11, null, 0, v5, vcc_lo
	v_mov_b32_e32 v4, s8
	v_mov_b32_e32 v5, s9
.LBB47_8:
	s_or_b32 exec_lo, exec_lo, s6
	s_and_b32 vcc_lo, exec_lo, s3
	s_cbranch_vccnz .LBB47_12
.LBB47_9:
	s_and_b32 exec_lo, exec_lo, s2
	s_cbranch_execnz .LBB47_15
.LBB47_10:
	s_endpgm
.LBB47_11:
	s_mov_b32 s2, 0
                                        ; implicit-def: $vgpr10_vgpr11
                                        ; implicit-def: $vgpr4_vgpr5
	s_cbranch_execz .LBB47_9
.LBB47_12:
	s_load_dwordx2 s[0:1], s[4:5], 0x0
	s_waitcnt lgkmcnt(0)
	v_cmp_gt_i64_e32 vcc_lo, s[0:1], v[6:7]
	s_and_saveexec_b32 s0, vcc_lo
; %bb.13:
	s_mov_b32 s9, 0
	s_or_b32 s2, s2, exec_lo
; %bb.14:
	s_or_b32 exec_lo, exec_lo, s0
	v_mov_b32_e32 v4, s8
	v_mov_b32_e32 v11, v7
	;; [unrolled: 1-line block ×4, first 2 shown]
	s_and_b32 exec_lo, exec_lo, s2
	s_cbranch_execz .LBB47_10
.LBB47_15:
	s_load_dwordx8 s[8:15], s[4:5], 0x28
	v_lshlrev_b64 v[6:7], 3, v[10:11]
	v_and_b32_e32 v34, 15, v0
	s_clause 0x1
	s_load_dword s1, s[4:5], 0x8
	s_load_dwordx2 s[2:3], s[4:5], 0x48
	s_waitcnt lgkmcnt(0)
	v_add_co_u32 v12, vcc_lo, s8, v6
	v_add_co_ci_u32_e64 v13, null, s9, v7, vcc_lo
	v_add_co_u32 v1, vcc_lo, s10, v6
	v_add_co_ci_u32_e64 v6, null, s11, v7, vcc_lo
	v_add_co_u32 v14, vcc_lo, v12, 8
	global_load_dwordx2 v[22:23], v[12:13], off
	v_add_co_ci_u32_e64 v7, null, 0, v13, vcc_lo
	s_cmp_eq_u64 s[10:11], 0
	s_cselect_b32 vcc_lo, -1, 0
	s_cmp_eq_u32 s1, 1
	v_cndmask_b32_e32 v7, v6, v7, vcc_lo
	v_cndmask_b32_e32 v6, v1, v14, vcc_lo
	global_load_dwordx2 v[6:7], v[6:7], off
	s_waitcnt vmcnt(1)
	v_sub_co_u32 v0, vcc_lo, v22, v4
	v_sub_co_ci_u32_e64 v1, null, v23, v5, vcc_lo
	v_add_co_u32 v0, vcc_lo, v0, v34
	v_add_co_ci_u32_e64 v1, null, 0, v1, vcc_lo
	v_lshlrev_b64 v[12:13], 7, v[0:1]
	s_waitcnt vmcnt(0)
	v_sub_co_u32 v6, vcc_lo, v6, v4
	v_sub_co_ci_u32_e64 v7, null, v7, v5, vcc_lo
	v_add_co_u32 v12, vcc_lo, s14, v12
	v_cmp_lt_i64_e64 s0, v[0:1], v[6:7]
	v_add_co_ci_u32_e64 v13, null, s15, v13, vcc_lo
	s_cbranch_scc1 .LBB47_27
; %bb.16:
	v_mov_b32_e32 v14, 0
	v_mov_b32_e32 v16, 0
	;; [unrolled: 1-line block ×8, first 2 shown]
	s_and_saveexec_b32 s6, s0
	s_cbranch_execz .LBB47_26
; %bb.17:
	v_or_b32_e32 v14, 16, v34
	v_not_b32_e32 v17, v22
	v_sub_co_u32 v18, s1, v4, v34
	v_not_b32_e32 v16, v23
	v_sub_co_u32 v14, vcc_lo, v14, v4
	v_sub_co_ci_u32_e64 v15, null, 0, v5, vcc_lo
	v_subrev_co_ci_u32_e64 v19, null, 0, v5, s1
	v_add_co_u32 v14, vcc_lo, v14, v22
	v_add_co_ci_u32_e64 v15, null, v15, v23, vcc_lo
	v_mov_b32_e32 v25, 0
	v_mov_b32_e32 v20, 0
	;; [unrolled: 1-line block ×3, first 2 shown]
	v_cmp_gt_i64_e32 vcc_lo, v[14:15], v[6:7]
	v_mov_b32_e32 v21, 0
	v_mov_b32_e32 v26, v0
	v_cndmask_b32_e32 v15, v7, v15, vcc_lo
	v_cndmask_b32_e32 v14, v6, v14, vcc_lo
	v_add_co_u32 v17, vcc_lo, v18, v17
	v_add_co_ci_u32_e64 v16, null, v19, v16, vcc_lo
	v_mov_b32_e32 v18, 0
	v_add_co_u32 v28, vcc_lo, v17, v14
	v_add_co_ci_u32_e64 v29, null, v16, v15, vcc_lo
	v_mov_b32_e32 v16, 0
	v_and_b32_e32 v24, 48, v28
	v_mov_b32_e32 v14, 0
	v_mov_b32_e32 v19, 0
	;; [unrolled: 1-line block ×4, first 2 shown]
	v_cmp_ne_u64_e32 vcc_lo, 48, v[24:25]
	v_mov_b32_e32 v25, v13
	v_mov_b32_e32 v24, v12
	s_and_saveexec_b32 s7, vcc_lo
	s_cbranch_execz .LBB47_21
; %bb.18:
	v_lshrrev_b32_e32 v14, 4, v28
	v_lshlrev_b64 v[20:21], 3, v[0:1]
	v_mov_b32_e32 v25, v13
	v_mov_b32_e32 v16, 0
	;; [unrolled: 1-line block ×3, first 2 shown]
	v_add_nc_u32_e32 v26, 1, v14
	v_mov_b32_e32 v14, 0
	v_add_co_u32 v30, vcc_lo, s12, v20
	v_add_co_ci_u32_e64 v31, null, s13, v21, vcc_lo
	v_and_b32_e32 v26, 3, v26
	v_mov_b32_e32 v20, 0
	v_mov_b32_e32 v15, 0
	;; [unrolled: 1-line block ×4, first 2 shown]
	v_sub_co_u32 v32, s1, 0, v26
	v_mov_b32_e32 v27, v1
	v_mov_b32_e32 v19, 0
	v_sub_co_ci_u32_e64 v33, null, 0, 0, s1
	v_mov_b32_e32 v21, 0
	v_mov_b32_e32 v26, v0
	s_mov_b32 s8, 0
.LBB47_19:                              ; =>This Inner Loop Header: Depth=1
	global_load_dwordx2 v[63:64], v[30:31], off
	s_clause 0x6
	global_load_dwordx4 v[35:38], v[24:25], off offset:48
	global_load_dwordx4 v[39:42], v[24:25], off offset:32
	global_load_dwordx4 v[43:46], v[24:25], off offset:16
	global_load_dwordx4 v[47:50], v[24:25], off
	global_load_dwordx4 v[51:54], v[24:25], off offset:112
	global_load_dwordx4 v[55:58], v[24:25], off offset:96
	;; [unrolled: 1-line block ×3, first 2 shown]
	v_add_co_u32 v30, s1, 0x80, v30
	v_add_co_ci_u32_e64 v31, null, 0, v31, s1
	s_waitcnt vmcnt(7)
	v_sub_co_u32 v63, vcc_lo, v63, v4
	v_sub_co_ci_u32_e64 v64, null, v64, v5, vcc_lo
	v_lshlrev_b64 v[63:64], 5, v[63:64]
	v_add_co_u32 v71, vcc_lo, s2, v63
	v_add_co_ci_u32_e64 v72, null, s3, v64, vcc_lo
	global_load_dwordx4 v[63:66], v[24:25], off offset:64
	s_clause 0x1
	global_load_dwordx4 v[67:70], v[71:72], off
	global_load_dwordx4 v[71:74], v[71:72], off offset:16
	v_add_co_u32 v24, vcc_lo, 0x800, v24
	v_add_co_ci_u32_e64 v25, null, 0, v25, vcc_lo
	v_add_co_u32 v32, vcc_lo, v32, 1
	v_add_co_ci_u32_e64 v33, null, 0, v33, vcc_lo
	;; [unrolled: 2-line block ×3, first 2 shown]
	v_cmp_eq_u64_e32 vcc_lo, 0, v[32:33]
	s_or_b32 s8, vcc_lo, s8
	s_waitcnt vmcnt(1)
	v_fma_f64 v[20:21], v[47:48], v[67:68], v[20:21]
	v_fma_f64 v[18:19], v[39:40], v[67:68], v[18:19]
	;; [unrolled: 1-line block ×8, first 2 shown]
	s_waitcnt vmcnt(0)
	v_fma_f64 v[20:21], v[43:44], v[71:72], v[20:21]
	v_fma_f64 v[18:19], v[35:36], v[71:72], v[18:19]
	;; [unrolled: 1-line block ×8, first 2 shown]
	s_andn2_b32 exec_lo, exec_lo, s8
	s_cbranch_execnz .LBB47_19
; %bb.20:
	s_or_b32 exec_lo, exec_lo, s8
.LBB47_21:
	s_or_b32 exec_lo, exec_lo, s7
	s_mov_b32 s7, exec_lo
	v_cmpx_lt_u64_e32 47, v[28:29]
	s_cbranch_execz .LBB47_25
; %bb.22:
	v_lshlrev_b64 v[28:29], 3, v[26:27]
	s_mov_b32 s8, 0
	v_add_co_u32 v28, vcc_lo, s12, v28
	v_add_co_ci_u32_e64 v29, null, s13, v29, vcc_lo
	v_add_co_u32 v28, vcc_lo, 0x100, v28
	v_add_co_ci_u32_e64 v29, null, 0, v29, vcc_lo
.LBB47_23:                              ; =>This Inner Loop Header: Depth=1
	global_load_dwordx2 v[119:120], v[28:29], off offset:-256
	s_clause 0x7
	global_load_dwordx4 v[30:33], v[24:25], off offset:48
	global_load_dwordx4 v[35:38], v[24:25], off offset:32
	;; [unrolled: 1-line block ×3, first 2 shown]
	global_load_dwordx4 v[43:46], v[24:25], off
	global_load_dwordx4 v[47:50], v[24:25], off offset:112
	global_load_dwordx4 v[51:54], v[24:25], off offset:96
	;; [unrolled: 1-line block ×4, first 2 shown]
	s_clause 0x2
	global_load_dwordx2 v[127:128], v[28:29], off offset:-128
	global_load_dwordx2 v[129:130], v[28:29], off
	global_load_dwordx2 v[131:132], v[28:29], off offset:128
	v_add_co_u32 v87, vcc_lo, 0x800, v24
	v_add_co_ci_u32_e64 v88, null, 0, v25, vcc_lo
	v_add_co_u32 v95, vcc_lo, v24, 0x1000
	v_add_co_ci_u32_e64 v96, null, 0, v25, vcc_lo
	;; [unrolled: 2-line block ×4, first 2 shown]
	s_clause 0xd
	global_load_dwordx4 v[63:66], v[87:88], off offset:32
	global_load_dwordx4 v[67:70], v[87:88], off offset:16
	;; [unrolled: 1-line block ×7, first 2 shown]
	global_load_dwordx4 v[91:94], v[95:96], off offset:-2048
	global_load_dwordx4 v[95:98], v[95:96], off
	global_load_dwordx4 v[99:102], v[133:134], off offset:48
	global_load_dwordx4 v[103:106], v[133:134], off offset:32
	;; [unrolled: 1-line block ×5, first 2 shown]
	v_add_co_u32 v24, s1, 0x2000, v24
	v_add_co_ci_u32_e64 v25, null, 0, v25, s1
	s_waitcnt vmcnt(25)
	v_sub_co_u32 v119, vcc_lo, v119, v4
	v_sub_co_ci_u32_e64 v120, null, v120, v5, vcc_lo
	v_lshlrev_b64 v[119:120], 5, v[119:120]
	v_add_co_u32 v123, vcc_lo, s2, v119
	v_add_co_ci_u32_e64 v124, null, s3, v120, vcc_lo
	s_clause 0x1
	global_load_dwordx4 v[119:122], v[123:124], off
	global_load_dwordx4 v[123:126], v[123:124], off offset:16
	s_waitcnt vmcnt(1)
	v_fma_f64 v[14:15], v[51:52], v[119:120], v[14:15]
	v_sub_co_u32 v51, vcc_lo, v127, v4
	v_sub_co_ci_u32_e64 v52, null, v128, v5, vcc_lo
	v_fma_f64 v[16:17], v[59:60], v[119:120], v[16:17]
	v_fma_f64 v[20:21], v[43:44], v[119:120], v[20:21]
	;; [unrolled: 1-line block ×3, first 2 shown]
	v_lshlrev_b64 v[51:52], 5, v[51:52]
	v_add_co_u32 v59, vcc_lo, s2, v51
	v_add_co_ci_u32_e64 v60, null, s3, v52, vcc_lo
	v_fma_f64 v[119:120], v[53:54], v[121:122], v[14:15]
	global_load_dwordx4 v[51:54], v[59:60], off
	v_fma_f64 v[137:138], v[45:46], v[121:122], v[20:21]
	global_load_dwordx4 v[43:46], v[133:134], off offset:80
	v_fma_f64 v[139:140], v[37:38], v[121:122], v[18:19]
	global_load_dwordx4 v[18:21], v[133:134], off offset:64
	v_fma_f64 v[133:134], v[61:62], v[121:122], v[16:17]
	v_sub_co_u32 v61, vcc_lo, v129, v4
	v_sub_co_ci_u32_e64 v62, null, v130, v5, vcc_lo
	s_clause 0x1
	global_load_dwordx4 v[35:38], v[135:136], off
	global_load_dwordx4 v[14:17], v[135:136], off offset:48
	v_lshlrev_b64 v[61:62], 5, v[61:62]
	s_waitcnt vmcnt(5)
	v_fma_f64 v[47:48], v[47:48], v[123:124], v[119:120]
	v_add_co_u32 v129, vcc_lo, s2, v61
	v_add_co_ci_u32_e64 v130, null, s3, v62, vcc_lo
	v_fma_f64 v[39:40], v[39:40], v[123:124], v[137:138]
	v_fma_f64 v[30:31], v[30:31], v[123:124], v[139:140]
	;; [unrolled: 1-line block ×3, first 2 shown]
	v_sub_co_u32 v123, vcc_lo, v131, v4
	v_sub_co_ci_u32_e64 v124, null, v132, v5, vcc_lo
	v_lshlrev_b64 v[123:124], 5, v[123:124]
	v_fma_f64 v[139:140], v[49:50], v[125:126], v[47:48]
	v_fma_f64 v[127:128], v[41:42], v[125:126], v[39:40]
	global_load_dwordx4 v[39:42], v[135:136], off offset:32
	v_fma_f64 v[137:138], v[32:33], v[125:126], v[30:31]
	global_load_dwordx4 v[30:33], v[135:136], off offset:112
	v_fma_f64 v[133:134], v[57:58], v[125:126], v[55:56]
	s_clause 0x1
	global_load_dwordx4 v[55:58], v[129:130], off
	global_load_dwordx4 v[59:62], v[59:60], off offset:16
	s_clause 0x1
	global_load_dwordx4 v[47:50], v[135:136], off offset:96
	global_load_dwordx4 v[119:122], v[135:136], off offset:64
	s_waitcnt vmcnt(10)
	v_fma_f64 v[91:92], v[91:92], v[51:52], v[127:128]
	v_fma_f64 v[63:64], v[63:64], v[51:52], v[137:138]
	;; [unrolled: 1-line block ×5, first 2 shown]
	global_load_dwordx4 v[91:94], v[129:130], off offset:16
	v_add_co_u32 v129, vcc_lo, s2, v123
	v_add_co_ci_u32_e64 v130, null, s3, v124, vcc_lo
	v_fma_f64 v[131:132], v[65:66], v[53:54], v[63:64]
	v_fma_f64 v[133:134], v[89:90], v[53:54], v[87:88]
	;; [unrolled: 1-line block ×3, first 2 shown]
	global_load_dwordx4 v[63:66], v[129:130], off
	s_clause 0x1
	global_load_dwordx4 v[87:90], v[135:136], off offset:80
	global_load_dwordx4 v[123:126], v[135:136], off offset:16
	;; [unrolled: 1-line block ×3, first 2 shown]
	v_add_co_u32 v26, vcc_lo, v26, 64
	v_add_co_ci_u32_e64 v27, null, 0, v27, vcc_lo
	v_add_co_u32 v28, vcc_lo, 0x200, v28
	v_add_co_ci_u32_e64 v29, null, 0, v29, vcc_lo
	v_cmp_ge_i64_e32 vcc_lo, v[26:27], v[6:7]
	s_or_b32 s8, vcc_lo, s8
	s_waitcnt vmcnt(7)
	v_fma_f64 v[67:68], v[67:68], v[59:60], v[127:128]
	v_fma_f64 v[77:78], v[83:84], v[59:60], v[131:132]
	;; [unrolled: 1-line block ×16, first 2 shown]
	s_waitcnt vmcnt(4)
	v_fma_f64 v[55:56], v[107:108], v[91:92], v[59:60]
	v_fma_f64 v[57:58], v[99:100], v[91:92], v[61:62]
	v_fma_f64 v[18:19], v[43:44], v[91:92], v[18:19]
	v_fma_f64 v[20:21], v[111:112], v[91:92], v[20:21]
	v_fma_f64 v[43:44], v[109:110], v[93:94], v[55:56]
	v_fma_f64 v[55:56], v[101:102], v[93:94], v[57:58]
	v_fma_f64 v[18:19], v[45:46], v[93:94], v[18:19]
	v_fma_f64 v[20:21], v[113:114], v[93:94], v[20:21]
	s_waitcnt vmcnt(3)
	v_fma_f64 v[35:36], v[35:36], v[63:64], v[43:44]
	v_fma_f64 v[39:40], v[39:40], v[63:64], v[55:56]
	v_fma_f64 v[18:19], v[119:120], v[63:64], v[18:19]
	v_fma_f64 v[20:21], v[47:48], v[63:64], v[20:21]
	v_fma_f64 v[35:36], v[37:38], v[65:66], v[35:36]
	v_fma_f64 v[37:38], v[41:42], v[65:66], v[39:40]
	v_fma_f64 v[18:19], v[121:122], v[65:66], v[18:19]
	v_fma_f64 v[20:21], v[49:50], v[65:66], v[20:21]
	;; [unrolled: 9-line block ×3, first 2 shown]
	s_andn2_b32 exec_lo, exec_lo, s8
	s_cbranch_execnz .LBB47_23
; %bb.24:
	s_or_b32 exec_lo, exec_lo, s8
.LBB47_25:
	s_or_b32 exec_lo, exec_lo, s7
.LBB47_26:
	s_or_b32 exec_lo, exec_lo, s6
	s_cbranch_execz .LBB47_28
	s_branch .LBB47_39
.LBB47_27:
                                        ; implicit-def: $vgpr14_vgpr15
                                        ; implicit-def: $vgpr16_vgpr17
                                        ; implicit-def: $vgpr18_vgpr19
                                        ; implicit-def: $vgpr20_vgpr21
.LBB47_28:
	v_mov_b32_e32 v14, 0
	v_mov_b32_e32 v16, 0
	;; [unrolled: 1-line block ×8, first 2 shown]
	s_and_saveexec_b32 s1, s0
	s_cbranch_execz .LBB47_38
; %bb.29:
	v_or_b32_e32 v14, 16, v34
	v_not_b32_e32 v17, v22
	v_sub_co_u32 v18, s0, v4, v34
	v_not_b32_e32 v16, v23
	v_sub_co_u32 v14, vcc_lo, v14, v4
	v_sub_co_ci_u32_e64 v15, null, 0, v5, vcc_lo
	v_subrev_co_ci_u32_e64 v19, null, 0, v5, s0
	v_add_co_u32 v14, vcc_lo, v14, v22
	v_add_co_ci_u32_e64 v15, null, v15, v23, vcc_lo
	v_cmp_gt_i64_e32 vcc_lo, v[14:15], v[6:7]
	v_cndmask_b32_e32 v20, v7, v15, vcc_lo
	v_cndmask_b32_e32 v14, v6, v14, vcc_lo
	v_add_co_u32 v15, vcc_lo, v18, v17
	v_add_co_ci_u32_e64 v16, null, v19, v16, vcc_lo
	v_mov_b32_e32 v18, 0
	v_add_co_u32 v22, vcc_lo, v15, v14
	v_mov_b32_e32 v15, 0
	v_add_co_ci_u32_e64 v23, null, v16, v20, vcc_lo
	v_and_b32_e32 v14, 48, v22
	v_mov_b32_e32 v20, 0
	v_mov_b32_e32 v16, 0
	;; [unrolled: 1-line block ×4, first 2 shown]
	v_cmp_ne_u64_e32 vcc_lo, 48, v[14:15]
	v_mov_b32_e32 v14, 0
	v_mov_b32_e32 v17, 0
	;; [unrolled: 1-line block ×3, first 2 shown]
	s_and_saveexec_b32 s6, vcc_lo
	s_cbranch_execz .LBB47_33
; %bb.30:
	v_lshrrev_b32_e32 v14, 4, v22
	v_lshlrev_b64 v[24:25], 3, v[0:1]
	v_mov_b32_e32 v16, 0
	v_mov_b32_e32 v18, 0
	;; [unrolled: 1-line block ×3, first 2 shown]
	v_add_nc_u32_e32 v26, 1, v14
	v_mov_b32_e32 v14, 0
	v_add_co_u32 v24, vcc_lo, s12, v24
	v_mov_b32_e32 v15, 0
	v_and_b32_e32 v26, 3, v26
	v_mov_b32_e32 v17, 0
	v_mov_b32_e32 v19, 0
	;; [unrolled: 1-line block ×3, first 2 shown]
	v_add_co_ci_u32_e64 v25, null, s13, v25, vcc_lo
	v_sub_co_u32 v26, s0, 0, v26
	v_sub_co_ci_u32_e64 v27, null, 0, 0, s0
	s_mov_b32 s7, 0
.LBB47_31:                              ; =>This Inner Loop Header: Depth=1
	global_load_dwordx2 v[32:33], v[24:25], off
	global_load_dwordx4 v[28:31], v[12:13], off offset:16
	v_add_co_u32 v24, s0, 0x80, v24
	v_add_co_ci_u32_e64 v25, null, 0, v25, s0
	s_waitcnt vmcnt(1)
	v_sub_co_u32 v32, vcc_lo, v32, v4
	v_sub_co_ci_u32_e64 v33, null, v33, v5, vcc_lo
	v_lshlrev_b64 v[32:33], 5, v[32:33]
	v_add_co_u32 v32, vcc_lo, s2, v32
	v_add_co_ci_u32_e64 v33, null, s3, v33, vcc_lo
	global_load_dwordx4 v[35:38], v[12:13], off
	s_clause 0x1
	global_load_dwordx4 v[39:42], v[32:33], off
	global_load_dwordx4 v[43:46], v[32:33], off offset:16
	s_clause 0x5
	global_load_dwordx4 v[47:50], v[12:13], off offset:32
	global_load_dwordx4 v[51:54], v[12:13], off offset:48
	;; [unrolled: 1-line block ×6, first 2 shown]
	v_add_co_u32 v12, vcc_lo, 0x800, v12
	v_add_co_ci_u32_e64 v13, null, 0, v13, vcc_lo
	v_add_co_u32 v26, vcc_lo, v26, 1
	v_add_co_ci_u32_e64 v27, null, 0, v27, vcc_lo
	;; [unrolled: 2-line block ×3, first 2 shown]
	v_cmp_eq_u64_e32 vcc_lo, 0, v[26:27]
	s_or_b32 s7, vcc_lo, s7
	s_waitcnt vmcnt(7)
	v_fma_f64 v[20:21], v[35:36], v[39:40], v[20:21]
	v_fma_f64 v[18:19], v[37:38], v[39:40], v[18:19]
	;; [unrolled: 1-line block ×4, first 2 shown]
	s_waitcnt vmcnt(5)
	v_fma_f64 v[20:21], v[47:48], v[41:42], v[20:21]
	v_fma_f64 v[18:19], v[49:50], v[41:42], v[18:19]
	s_waitcnt vmcnt(4)
	v_fma_f64 v[16:17], v[51:52], v[41:42], v[16:17]
	v_fma_f64 v[14:15], v[53:54], v[41:42], v[14:15]
	;; [unrolled: 3-line block ×6, first 2 shown]
	s_andn2_b32 exec_lo, exec_lo, s7
	s_cbranch_execnz .LBB47_31
; %bb.32:
	s_or_b32 exec_lo, exec_lo, s7
.LBB47_33:
	s_or_b32 exec_lo, exec_lo, s6
	s_mov_b32 s6, exec_lo
	v_cmpx_lt_u64_e32 47, v[22:23]
	s_cbranch_execz .LBB47_37
; %bb.34:
	v_lshlrev_b64 v[22:23], 3, v[0:1]
	s_mov_b32 s7, 0
	v_add_co_u32 v22, vcc_lo, s12, v22
	v_add_co_ci_u32_e64 v23, null, s13, v23, vcc_lo
	v_add_co_u32 v22, vcc_lo, 0x100, v22
	v_add_co_ci_u32_e64 v23, null, 0, v23, vcc_lo
.LBB47_35:                              ; =>This Inner Loop Header: Depth=1
	s_clause 0x2
	global_load_dwordx2 v[32:33], v[22:23], off offset:-256
	global_load_dwordx2 v[91:92], v[22:23], off offset:-128
	global_load_dwordx2 v[106:107], v[22:23], off
	s_clause 0x7
	global_load_dwordx4 v[24:27], v[12:13], off offset:48
	global_load_dwordx4 v[28:31], v[12:13], off offset:32
	;; [unrolled: 1-line block ×3, first 2 shown]
	global_load_dwordx4 v[39:42], v[12:13], off
	global_load_dwordx4 v[43:46], v[12:13], off offset:112
	global_load_dwordx4 v[47:50], v[12:13], off offset:96
	;; [unrolled: 1-line block ×4, first 2 shown]
	v_add_co_u32 v87, vcc_lo, 0x800, v12
	v_add_co_ci_u32_e64 v88, null, 0, v13, vcc_lo
	v_add_co_u32 v108, vcc_lo, v12, 0x1000
	v_add_co_ci_u32_e64 v109, null, 0, v13, vcc_lo
	;; [unrolled: 2-line block ×3, first 2 shown]
	global_load_dwordx2 v[113:114], v[22:23], off offset:128
	s_clause 0x7
	global_load_dwordx4 v[59:62], v[108:109], off offset:-2048
	global_load_dwordx4 v[63:66], v[87:88], off offset:32
	global_load_dwordx4 v[67:70], v[87:88], off offset:16
	;; [unrolled: 1-line block ×7, first 2 shown]
	s_waitcnt vmcnt(19)
	v_sub_co_u32 v32, vcc_lo, v32, v4
	v_sub_co_ci_u32_e64 v33, null, v33, v5, vcc_lo
	s_waitcnt vmcnt(18)
	v_sub_co_u32 v91, vcc_lo, v91, v4
	v_sub_co_ci_u32_e64 v92, null, v92, v5, vcc_lo
	v_lshlrev_b64 v[32:33], 5, v[32:33]
	s_waitcnt vmcnt(17)
	v_sub_co_u32 v115, vcc_lo, v106, v4
	v_lshlrev_b64 v[91:92], 5, v[91:92]
	v_sub_co_ci_u32_e64 v116, null, v107, v5, vcc_lo
	v_add_co_u32 v32, s0, s2, v32
	v_add_co_ci_u32_e64 v33, null, s3, v33, s0
	v_add_co_u32 v103, s0, s2, v91
	v_add_co_ci_u32_e64 v104, null, s3, v92, s0
	s_clause 0x3
	global_load_dwordx4 v[91:94], v[32:33], off
	global_load_dwordx4 v[95:98], v[32:33], off offset:16
	global_load_dwordx4 v[99:102], v[103:104], off
	global_load_dwordx4 v[103:106], v[103:104], off offset:16
	v_lshlrev_b64 v[32:33], 5, v[115:116]
	global_load_dwordx4 v[107:110], v[108:109], off
	v_add_co_u32 v32, vcc_lo, s2, v32
	v_add_co_ci_u32_e64 v33, null, s3, v33, vcc_lo
	v_add_co_u32 v115, vcc_lo, 0x1800, v12
	v_add_co_ci_u32_e64 v116, null, 0, v13, vcc_lo
	v_add_co_u32 v12, s0, 0x2000, v12
	v_add_co_ci_u32_e64 v13, null, 0, v13, s0
	s_waitcnt vmcnt(4)
	v_fma_f64 v[39:40], v[39:40], v[91:92], v[20:21]
	v_fma_f64 v[41:42], v[41:42], v[91:92], v[18:19]
	;; [unrolled: 1-line block ×4, first 2 shown]
	s_clause 0x1
	global_load_dwordx4 v[14:17], v[111:112], off offset:16
	global_load_dwordx4 v[18:21], v[111:112], off offset:32
	v_fma_f64 v[39:40], v[28:29], v[93:94], v[39:40]
	v_fma_f64 v[41:42], v[30:31], v[93:94], v[41:42]
	global_load_dwordx4 v[28:31], v[32:33], off
	v_fma_f64 v[91:92], v[24:25], v[93:94], v[35:36]
	v_fma_f64 v[93:94], v[26:27], v[93:94], v[37:38]
	s_clause 0x1
	global_load_dwordx4 v[24:27], v[111:112], off offset:48
	global_load_dwordx4 v[35:38], v[111:112], off offset:64
	s_waitcnt vmcnt(8)
	v_fma_f64 v[55:56], v[55:56], v[95:96], v[39:40]
	v_fma_f64 v[57:58], v[57:58], v[95:96], v[41:42]
	;; [unrolled: 1-line block ×4, first 2 shown]
	global_load_dwordx4 v[39:42], v[111:112], off offset:80
	global_load_dwordx4 v[51:54], v[32:33], off offset:16
	v_fma_f64 v[32:33], v[47:48], v[97:98], v[55:56]
	v_fma_f64 v[95:96], v[49:50], v[97:98], v[57:58]
	global_load_dwordx4 v[47:50], v[111:112], off offset:96
	v_fma_f64 v[91:92], v[43:44], v[97:98], v[91:92]
	v_fma_f64 v[93:94], v[45:46], v[97:98], v[93:94]
	s_clause 0x1
	global_load_dwordx4 v[43:46], v[111:112], off offset:112
	global_load_dwordx4 v[55:58], v[115:116], off
	v_sub_co_u32 v97, vcc_lo, v113, v4
	v_sub_co_ci_u32_e64 v98, null, v114, v5, vcc_lo
	v_lshlrev_b64 v[97:98], 5, v[97:98]
	v_add_co_u32 v97, vcc_lo, s2, v97
	v_add_co_ci_u32_e64 v98, null, s3, v98, vcc_lo
	s_waitcnt vmcnt(12)
	v_fma_f64 v[32:33], v[59:60], v[99:100], v[32:33]
	v_fma_f64 v[95:96], v[61:62], v[99:100], v[95:96]
	global_load_dwordx4 v[59:62], v[115:116], off offset:16
	v_fma_f64 v[91:92], v[67:68], v[99:100], v[91:92]
	v_fma_f64 v[93:94], v[69:70], v[99:100], v[93:94]
	global_load_dwordx4 v[67:70], v[97:98], off
	v_add_co_u32 v0, vcc_lo, v0, 64
	v_add_co_ci_u32_e64 v1, null, 0, v1, vcc_lo
	v_add_co_u32 v22, vcc_lo, 0x200, v22
	v_add_co_ci_u32_e64 v23, null, 0, v23, vcc_lo
	v_cmp_ge_i64_e32 vcc_lo, v[0:1], v[6:7]
	s_or_b32 s7, vcc_lo, s7
	v_fma_f64 v[32:33], v[63:64], v[101:102], v[32:33]
	v_fma_f64 v[95:96], v[65:66], v[101:102], v[95:96]
	global_load_dwordx4 v[63:66], v[115:116], off offset:32
	v_fma_f64 v[99:100], v[83:84], v[101:102], v[91:92]
	v_fma_f64 v[101:102], v[85:86], v[101:102], v[93:94]
	s_clause 0x1
	global_load_dwordx4 v[83:86], v[115:116], off offset:48
	global_load_dwordx4 v[91:94], v[115:116], off offset:64
	s_waitcnt vmcnt(16)
	v_fma_f64 v[32:33], v[87:88], v[103:104], v[32:33]
	v_fma_f64 v[111:112], v[89:90], v[103:104], v[95:96]
	global_load_dwordx4 v[87:90], v[115:116], off offset:80
	global_load_dwordx4 v[95:98], v[97:98], off offset:16
	v_fma_f64 v[99:100], v[79:80], v[103:104], v[99:100]
	v_fma_f64 v[101:102], v[81:82], v[103:104], v[101:102]
	global_load_dwordx4 v[79:82], v[115:116], off offset:96
	v_fma_f64 v[32:33], v[75:76], v[105:106], v[32:33]
	v_fma_f64 v[103:104], v[77:78], v[105:106], v[111:112]
	;; [unrolled: 3-line block ×3, first 2 shown]
	s_waitcnt vmcnt(16)
	v_fma_f64 v[32:33], v[107:108], v[28:29], v[32:33]
	v_fma_f64 v[99:100], v[109:110], v[28:29], v[103:104]
	;; [unrolled: 1-line block ×6, first 2 shown]
	s_waitcnt vmcnt(15)
	v_fma_f64 v[14:15], v[24:25], v[30:31], v[14:15]
	v_fma_f64 v[16:17], v[26:27], v[30:31], v[16:17]
	s_waitcnt vmcnt(12)
	v_fma_f64 v[18:19], v[35:36], v[51:52], v[18:19]
	v_fma_f64 v[20:21], v[37:38], v[51:52], v[20:21]
	v_fma_f64 v[14:15], v[39:40], v[51:52], v[14:15]
	v_fma_f64 v[16:17], v[41:42], v[51:52], v[16:17]
	s_waitcnt vmcnt(11)
	v_fma_f64 v[18:19], v[47:48], v[53:54], v[18:19]
	v_fma_f64 v[20:21], v[49:50], v[53:54], v[20:21]
	s_waitcnt vmcnt(10)
	v_fma_f64 v[14:15], v[43:44], v[53:54], v[14:15]
	v_fma_f64 v[16:17], v[45:46], v[53:54], v[16:17]
	s_waitcnt vmcnt(7)
	v_fma_f64 v[18:19], v[55:56], v[67:68], v[18:19]
	v_fma_f64 v[20:21], v[57:58], v[67:68], v[20:21]
	v_fma_f64 v[14:15], v[59:60], v[67:68], v[14:15]
	v_fma_f64 v[16:17], v[61:62], v[67:68], v[16:17]
	s_waitcnt vmcnt(6)
	v_fma_f64 v[18:19], v[63:64], v[69:70], v[18:19]
	v_fma_f64 v[20:21], v[65:66], v[69:70], v[20:21]
	;; [unrolled: 11-line block ×3, first 2 shown]
	s_waitcnt vmcnt(0)
	v_fma_f64 v[16:17], v[75:76], v[97:98], v[14:15]
	v_fma_f64 v[14:15], v[77:78], v[97:98], v[26:27]
	s_andn2_b32 exec_lo, exec_lo, s7
	s_cbranch_execnz .LBB47_35
; %bb.36:
	s_or_b32 exec_lo, exec_lo, s7
.LBB47_37:
	s_or_b32 exec_lo, exec_lo, s6
.LBB47_38:
	s_or_b32 exec_lo, exec_lo, s1
.LBB47_39:
	v_mbcnt_lo_u32_b32 v24, -1, 0
	v_xor_b32_e32 v0, 8, v24
	v_cmp_gt_i32_e32 vcc_lo, 32, v0
	v_cndmask_b32_e32 v0, v24, v0, vcc_lo
	v_lshlrev_b32_e32 v13, 2, v0
	ds_bpermute_b32 v0, v13, v20
	ds_bpermute_b32 v1, v13, v21
	ds_bpermute_b32 v4, v13, v18
	ds_bpermute_b32 v5, v13, v19
	ds_bpermute_b32 v6, v13, v16
	ds_bpermute_b32 v7, v13, v17
	ds_bpermute_b32 v12, v13, v14
	ds_bpermute_b32 v13, v13, v15
	s_waitcnt lgkmcnt(6)
	v_add_f64 v[0:1], v[20:21], v[0:1]
	s_waitcnt lgkmcnt(4)
	v_add_f64 v[4:5], v[18:19], v[4:5]
	s_waitcnt lgkmcnt(2)
	v_add_f64 v[6:7], v[16:17], v[6:7]
	v_xor_b32_e32 v16, 4, v24
	s_waitcnt lgkmcnt(0)
	v_add_f64 v[12:13], v[14:15], v[12:13]
	v_cmp_gt_i32_e32 vcc_lo, 32, v16
	v_cndmask_b32_e32 v14, v24, v16, vcc_lo
	v_lshlrev_b32_e32 v21, 2, v14
	ds_bpermute_b32 v14, v21, v0
	ds_bpermute_b32 v15, v21, v1
	ds_bpermute_b32 v16, v21, v4
	ds_bpermute_b32 v17, v21, v5
	ds_bpermute_b32 v18, v21, v6
	ds_bpermute_b32 v19, v21, v7
	ds_bpermute_b32 v20, v21, v12
	ds_bpermute_b32 v21, v21, v13
	s_waitcnt lgkmcnt(6)
	v_add_f64 v[0:1], v[0:1], v[14:15]
	s_waitcnt lgkmcnt(4)
	v_add_f64 v[4:5], v[4:5], v[16:17]
	s_waitcnt lgkmcnt(2)
	v_add_f64 v[14:15], v[6:7], v[18:19]
	v_xor_b32_e32 v6, 2, v24
	s_waitcnt lgkmcnt(0)
	v_add_f64 v[16:17], v[12:13], v[20:21]
	;; [unrolled: 20-line block ×3, first 2 shown]
	v_cmp_gt_i32_e32 vcc_lo, 32, v14
	v_cndmask_b32_e32 v14, v24, v14, vcc_lo
	v_cmp_eq_u32_e32 vcc_lo, 15, v34
	v_lshlrev_b32_e32 v15, 2, v14
	ds_bpermute_b32 v20, v15, v12
	ds_bpermute_b32 v21, v15, v13
	;; [unrolled: 1-line block ×8, first 2 shown]
	s_and_b32 exec_lo, exec_lo, vcc_lo
	s_cbranch_execz .LBB47_10
; %bb.40:
	s_waitcnt lgkmcnt(6)
	v_add_f64 v[12:13], v[12:13], v[20:21]
	s_waitcnt lgkmcnt(4)
	v_add_f64 v[6:7], v[6:7], v[18:19]
	;; [unrolled: 2-line block ×4, first 2 shown]
	s_load_dwordx2 s[0:1], s[4:5], 0x58
	v_lshlrev_b64 v[10:11], 5, v[10:11]
	s_mov_b32 s2, exec_lo
	v_mul_f64 v[4:5], v[2:3], v[12:13]
	v_mul_f64 v[6:7], v[2:3], v[6:7]
	;; [unrolled: 1-line block ×4, first 2 shown]
	v_cmpx_eq_f64_e32 0, v[8:9]
	s_xor_b32 s2, exec_lo, s2
	s_cbranch_execz .LBB47_42
; %bb.41:
	s_waitcnt lgkmcnt(0)
	v_add_co_u32 v8, vcc_lo, s0, v10
	v_add_co_ci_u32_e64 v9, null, s1, v11, vcc_lo
                                        ; implicit-def: $vgpr10_vgpr11
	global_store_dwordx4 v[8:9], v[4:7], off
	global_store_dwordx4 v[8:9], v[0:3], off offset:16
                                        ; implicit-def: $vgpr8_vgpr9
                                        ; implicit-def: $vgpr4_vgpr5
                                        ; implicit-def: $vgpr0_vgpr1
.LBB47_42:
	s_andn2_saveexec_b32 s2, s2
	s_cbranch_execz .LBB47_10
; %bb.43:
	s_waitcnt lgkmcnt(0)
	v_add_co_u32 v18, vcc_lo, s0, v10
	v_add_co_ci_u32_e64 v19, null, s1, v11, vcc_lo
	s_clause 0x1
	global_load_dwordx4 v[10:13], v[18:19], off
	global_load_dwordx4 v[14:17], v[18:19], off offset:16
	s_waitcnt vmcnt(1)
	v_fma_f64 v[4:5], v[8:9], v[10:11], v[4:5]
	v_fma_f64 v[6:7], v[8:9], v[12:13], v[6:7]
	s_waitcnt vmcnt(0)
	v_fma_f64 v[0:1], v[8:9], v[14:15], v[0:1]
	v_fma_f64 v[2:3], v[8:9], v[16:17], v[2:3]
	global_store_dwordx4 v[18:19], v[4:7], off
	global_store_dwordx4 v[18:19], v[0:3], off offset:16
	s_endpgm
	.section	.rodata,"a",@progbits
	.p2align	6, 0x0
	.amdhsa_kernel _ZN9rocsparseL18bsrxmvn_4x4_kernelILj128ELj16EdlldddEEvT3_20rocsparse_direction_NS_24const_host_device_scalarIT1_EES1_PKS1_PKT2_SA_S7_PKT4_PKT5_S5_PT6_21rocsparse_index_base_b
		.amdhsa_group_segment_fixed_size 0
		.amdhsa_private_segment_fixed_size 0
		.amdhsa_kernarg_size 104
		.amdhsa_user_sgpr_count 6
		.amdhsa_user_sgpr_private_segment_buffer 1
		.amdhsa_user_sgpr_dispatch_ptr 0
		.amdhsa_user_sgpr_queue_ptr 0
		.amdhsa_user_sgpr_kernarg_segment_ptr 1
		.amdhsa_user_sgpr_dispatch_id 0
		.amdhsa_user_sgpr_flat_scratch_init 0
		.amdhsa_user_sgpr_private_segment_size 0
		.amdhsa_wavefront_size32 1
		.amdhsa_uses_dynamic_stack 0
		.amdhsa_system_sgpr_private_segment_wavefront_offset 0
		.amdhsa_system_sgpr_workgroup_id_x 1
		.amdhsa_system_sgpr_workgroup_id_y 0
		.amdhsa_system_sgpr_workgroup_id_z 0
		.amdhsa_system_sgpr_workgroup_info 0
		.amdhsa_system_vgpr_workitem_id 0
		.amdhsa_next_free_vgpr 141
		.amdhsa_next_free_sgpr 16
		.amdhsa_reserve_vcc 1
		.amdhsa_reserve_flat_scratch 0
		.amdhsa_float_round_mode_32 0
		.amdhsa_float_round_mode_16_64 0
		.amdhsa_float_denorm_mode_32 3
		.amdhsa_float_denorm_mode_16_64 3
		.amdhsa_dx10_clamp 1
		.amdhsa_ieee_mode 1
		.amdhsa_fp16_overflow 0
		.amdhsa_workgroup_processor_mode 1
		.amdhsa_memory_ordered 1
		.amdhsa_forward_progress 1
		.amdhsa_shared_vgpr_count 0
		.amdhsa_exception_fp_ieee_invalid_op 0
		.amdhsa_exception_fp_denorm_src 0
		.amdhsa_exception_fp_ieee_div_zero 0
		.amdhsa_exception_fp_ieee_overflow 0
		.amdhsa_exception_fp_ieee_underflow 0
		.amdhsa_exception_fp_ieee_inexact 0
		.amdhsa_exception_int_div_zero 0
	.end_amdhsa_kernel
	.section	.text._ZN9rocsparseL18bsrxmvn_4x4_kernelILj128ELj16EdlldddEEvT3_20rocsparse_direction_NS_24const_host_device_scalarIT1_EES1_PKS1_PKT2_SA_S7_PKT4_PKT5_S5_PT6_21rocsparse_index_base_b,"axG",@progbits,_ZN9rocsparseL18bsrxmvn_4x4_kernelILj128ELj16EdlldddEEvT3_20rocsparse_direction_NS_24const_host_device_scalarIT1_EES1_PKS1_PKT2_SA_S7_PKT4_PKT5_S5_PT6_21rocsparse_index_base_b,comdat
.Lfunc_end47:
	.size	_ZN9rocsparseL18bsrxmvn_4x4_kernelILj128ELj16EdlldddEEvT3_20rocsparse_direction_NS_24const_host_device_scalarIT1_EES1_PKS1_PKT2_SA_S7_PKT4_PKT5_S5_PT6_21rocsparse_index_base_b, .Lfunc_end47-_ZN9rocsparseL18bsrxmvn_4x4_kernelILj128ELj16EdlldddEEvT3_20rocsparse_direction_NS_24const_host_device_scalarIT1_EES1_PKS1_PKT2_SA_S7_PKT4_PKT5_S5_PT6_21rocsparse_index_base_b
                                        ; -- End function
	.set _ZN9rocsparseL18bsrxmvn_4x4_kernelILj128ELj16EdlldddEEvT3_20rocsparse_direction_NS_24const_host_device_scalarIT1_EES1_PKS1_PKT2_SA_S7_PKT4_PKT5_S5_PT6_21rocsparse_index_base_b.num_vgpr, 141
	.set _ZN9rocsparseL18bsrxmvn_4x4_kernelILj128ELj16EdlldddEEvT3_20rocsparse_direction_NS_24const_host_device_scalarIT1_EES1_PKS1_PKT2_SA_S7_PKT4_PKT5_S5_PT6_21rocsparse_index_base_b.num_agpr, 0
	.set _ZN9rocsparseL18bsrxmvn_4x4_kernelILj128ELj16EdlldddEEvT3_20rocsparse_direction_NS_24const_host_device_scalarIT1_EES1_PKS1_PKT2_SA_S7_PKT4_PKT5_S5_PT6_21rocsparse_index_base_b.numbered_sgpr, 16
	.set _ZN9rocsparseL18bsrxmvn_4x4_kernelILj128ELj16EdlldddEEvT3_20rocsparse_direction_NS_24const_host_device_scalarIT1_EES1_PKS1_PKT2_SA_S7_PKT4_PKT5_S5_PT6_21rocsparse_index_base_b.num_named_barrier, 0
	.set _ZN9rocsparseL18bsrxmvn_4x4_kernelILj128ELj16EdlldddEEvT3_20rocsparse_direction_NS_24const_host_device_scalarIT1_EES1_PKS1_PKT2_SA_S7_PKT4_PKT5_S5_PT6_21rocsparse_index_base_b.private_seg_size, 0
	.set _ZN9rocsparseL18bsrxmvn_4x4_kernelILj128ELj16EdlldddEEvT3_20rocsparse_direction_NS_24const_host_device_scalarIT1_EES1_PKS1_PKT2_SA_S7_PKT4_PKT5_S5_PT6_21rocsparse_index_base_b.uses_vcc, 1
	.set _ZN9rocsparseL18bsrxmvn_4x4_kernelILj128ELj16EdlldddEEvT3_20rocsparse_direction_NS_24const_host_device_scalarIT1_EES1_PKS1_PKT2_SA_S7_PKT4_PKT5_S5_PT6_21rocsparse_index_base_b.uses_flat_scratch, 0
	.set _ZN9rocsparseL18bsrxmvn_4x4_kernelILj128ELj16EdlldddEEvT3_20rocsparse_direction_NS_24const_host_device_scalarIT1_EES1_PKS1_PKT2_SA_S7_PKT4_PKT5_S5_PT6_21rocsparse_index_base_b.has_dyn_sized_stack, 0
	.set _ZN9rocsparseL18bsrxmvn_4x4_kernelILj128ELj16EdlldddEEvT3_20rocsparse_direction_NS_24const_host_device_scalarIT1_EES1_PKS1_PKT2_SA_S7_PKT4_PKT5_S5_PT6_21rocsparse_index_base_b.has_recursion, 0
	.set _ZN9rocsparseL18bsrxmvn_4x4_kernelILj128ELj16EdlldddEEvT3_20rocsparse_direction_NS_24const_host_device_scalarIT1_EES1_PKS1_PKT2_SA_S7_PKT4_PKT5_S5_PT6_21rocsparse_index_base_b.has_indirect_call, 0
	.section	.AMDGPU.csdata,"",@progbits
; Kernel info:
; codeLenInByte = 5348
; TotalNumSgprs: 18
; NumVgprs: 141
; ScratchSize: 0
; MemoryBound: 1
; FloatMode: 240
; IeeeMode: 1
; LDSByteSize: 0 bytes/workgroup (compile time only)
; SGPRBlocks: 0
; VGPRBlocks: 17
; NumSGPRsForWavesPerEU: 18
; NumVGPRsForWavesPerEU: 141
; Occupancy: 7
; WaveLimiterHint : 1
; COMPUTE_PGM_RSRC2:SCRATCH_EN: 0
; COMPUTE_PGM_RSRC2:USER_SGPR: 6
; COMPUTE_PGM_RSRC2:TRAP_HANDLER: 0
; COMPUTE_PGM_RSRC2:TGID_X_EN: 1
; COMPUTE_PGM_RSRC2:TGID_Y_EN: 0
; COMPUTE_PGM_RSRC2:TGID_Z_EN: 0
; COMPUTE_PGM_RSRC2:TIDIG_COMP_CNT: 0
	.section	.text._ZN9rocsparseL18bsrxmvn_4x4_kernelILj128ELj32EdlldddEEvT3_20rocsparse_direction_NS_24const_host_device_scalarIT1_EES1_PKS1_PKT2_SA_S7_PKT4_PKT5_S5_PT6_21rocsparse_index_base_b,"axG",@progbits,_ZN9rocsparseL18bsrxmvn_4x4_kernelILj128ELj32EdlldddEEvT3_20rocsparse_direction_NS_24const_host_device_scalarIT1_EES1_PKS1_PKT2_SA_S7_PKT4_PKT5_S5_PT6_21rocsparse_index_base_b,comdat
	.globl	_ZN9rocsparseL18bsrxmvn_4x4_kernelILj128ELj32EdlldddEEvT3_20rocsparse_direction_NS_24const_host_device_scalarIT1_EES1_PKS1_PKT2_SA_S7_PKT4_PKT5_S5_PT6_21rocsparse_index_base_b ; -- Begin function _ZN9rocsparseL18bsrxmvn_4x4_kernelILj128ELj32EdlldddEEvT3_20rocsparse_direction_NS_24const_host_device_scalarIT1_EES1_PKS1_PKT2_SA_S7_PKT4_PKT5_S5_PT6_21rocsparse_index_base_b
	.p2align	8
	.type	_ZN9rocsparseL18bsrxmvn_4x4_kernelILj128ELj32EdlldddEEvT3_20rocsparse_direction_NS_24const_host_device_scalarIT1_EES1_PKS1_PKT2_SA_S7_PKT4_PKT5_S5_PT6_21rocsparse_index_base_b,@function
_ZN9rocsparseL18bsrxmvn_4x4_kernelILj128ELj32EdlldddEEvT3_20rocsparse_direction_NS_24const_host_device_scalarIT1_EES1_PKS1_PKT2_SA_S7_PKT4_PKT5_S5_PT6_21rocsparse_index_base_b: ; @_ZN9rocsparseL18bsrxmvn_4x4_kernelILj128ELj32EdlldddEEvT3_20rocsparse_direction_NS_24const_host_device_scalarIT1_EES1_PKS1_PKT2_SA_S7_PKT4_PKT5_S5_PT6_21rocsparse_index_base_b
; %bb.0:
	s_clause 0x2
	s_load_dwordx2 s[8:9], s[4:5], 0x60
	s_load_dwordx4 s[0:3], s[4:5], 0x10
	s_load_dwordx2 s[10:11], s[4:5], 0x50
	s_waitcnt lgkmcnt(0)
	s_bitcmp1_b32 s9, 0
	v_mov_b32_e32 v3, s1
	v_mov_b32_e32 v2, s0
	s_cselect_b32 s7, -1, 0
	s_and_b32 vcc_lo, exec_lo, s7
	s_xor_b32 s7, s7, -1
	s_cbranch_vccnz .LBB48_2
; %bb.1:
	v_mov_b32_e32 v2, s1
	v_mov_b32_e32 v1, s0
	flat_load_dwordx2 v[2:3], v[1:2]
.LBB48_2:
	v_mov_b32_e32 v8, s10
	v_mov_b32_e32 v9, s11
	s_andn2_b32 vcc_lo, exec_lo, s7
	s_cbranch_vccnz .LBB48_4
; %bb.3:
	v_mov_b32_e32 v4, s10
	v_mov_b32_e32 v5, s11
	flat_load_dwordx2 v[8:9], v[4:5]
.LBB48_4:
	s_waitcnt vmcnt(0) lgkmcnt(0)
	v_cmp_neq_f64_e32 vcc_lo, 0, v[2:3]
	v_cmp_neq_f64_e64 s0, 1.0, v[8:9]
	s_or_b32 s0, vcc_lo, s0
	s_and_saveexec_b32 s1, s0
	s_cbranch_execz .LBB48_10
; %bb.5:
	s_load_dwordx2 s[0:1], s[4:5], 0x20
	v_lshrrev_b32_e32 v1, 5, v0
	v_mov_b32_e32 v7, 0
	v_lshl_or_b32 v6, s6, 2, v1
	s_waitcnt lgkmcnt(0)
	s_cmp_lg_u64 s[0:1], 0
	s_cbranch_scc0 .LBB48_11
; %bb.6:
	v_cmp_gt_i64_e32 vcc_lo, s[2:3], v[6:7]
	s_mov_b32 s3, 0
	s_mov_b32 s2, 0
                                        ; implicit-def: $vgpr10_vgpr11
                                        ; implicit-def: $vgpr4_vgpr5
	s_and_saveexec_b32 s6, vcc_lo
	s_xor_b32 s6, exec_lo, s6
	s_cbranch_execz .LBB48_8
; %bb.7:
	v_lshlrev_b64 v[4:5], 3, v[6:7]
	s_mov_b32 s9, 0
	s_mov_b32 s2, exec_lo
	v_add_co_u32 v4, vcc_lo, s0, v4
	v_add_co_ci_u32_e64 v5, null, s1, v5, vcc_lo
	global_load_dwordx2 v[4:5], v[4:5], off
	s_waitcnt vmcnt(0)
	v_sub_co_u32 v10, vcc_lo, v4, s8
	v_subrev_co_ci_u32_e64 v11, null, 0, v5, vcc_lo
	v_mov_b32_e32 v4, s8
	v_mov_b32_e32 v5, s9
.LBB48_8:
	s_or_b32 exec_lo, exec_lo, s6
	s_and_b32 vcc_lo, exec_lo, s3
	s_cbranch_vccnz .LBB48_12
.LBB48_9:
	s_and_b32 exec_lo, exec_lo, s2
	s_cbranch_execnz .LBB48_15
.LBB48_10:
	s_endpgm
.LBB48_11:
	s_mov_b32 s2, 0
                                        ; implicit-def: $vgpr10_vgpr11
                                        ; implicit-def: $vgpr4_vgpr5
	s_cbranch_execz .LBB48_9
.LBB48_12:
	s_load_dwordx2 s[0:1], s[4:5], 0x0
	s_waitcnt lgkmcnt(0)
	v_cmp_gt_i64_e32 vcc_lo, s[0:1], v[6:7]
	s_and_saveexec_b32 s0, vcc_lo
; %bb.13:
	s_mov_b32 s9, 0
	s_or_b32 s2, s2, exec_lo
; %bb.14:
	s_or_b32 exec_lo, exec_lo, s0
	v_mov_b32_e32 v4, s8
	v_mov_b32_e32 v11, v7
	;; [unrolled: 1-line block ×4, first 2 shown]
	s_and_b32 exec_lo, exec_lo, s2
	s_cbranch_execz .LBB48_10
.LBB48_15:
	s_load_dwordx8 s[8:15], s[4:5], 0x28
	v_lshlrev_b64 v[6:7], 3, v[10:11]
	v_and_b32_e32 v34, 31, v0
	s_clause 0x1
	s_load_dword s1, s[4:5], 0x8
	s_load_dwordx2 s[2:3], s[4:5], 0x48
	s_waitcnt lgkmcnt(0)
	v_add_co_u32 v12, vcc_lo, s8, v6
	v_add_co_ci_u32_e64 v13, null, s9, v7, vcc_lo
	v_add_co_u32 v1, vcc_lo, s10, v6
	v_add_co_ci_u32_e64 v6, null, s11, v7, vcc_lo
	v_add_co_u32 v14, vcc_lo, v12, 8
	global_load_dwordx2 v[22:23], v[12:13], off
	v_add_co_ci_u32_e64 v7, null, 0, v13, vcc_lo
	s_cmp_eq_u64 s[10:11], 0
	s_cselect_b32 vcc_lo, -1, 0
	s_cmp_eq_u32 s1, 1
	v_cndmask_b32_e32 v7, v6, v7, vcc_lo
	v_cndmask_b32_e32 v6, v1, v14, vcc_lo
	global_load_dwordx2 v[6:7], v[6:7], off
	s_waitcnt vmcnt(1)
	v_sub_co_u32 v0, vcc_lo, v22, v4
	v_sub_co_ci_u32_e64 v1, null, v23, v5, vcc_lo
	v_add_co_u32 v0, vcc_lo, v0, v34
	v_add_co_ci_u32_e64 v1, null, 0, v1, vcc_lo
	v_lshlrev_b64 v[12:13], 7, v[0:1]
	s_waitcnt vmcnt(0)
	v_sub_co_u32 v6, vcc_lo, v6, v4
	v_sub_co_ci_u32_e64 v7, null, v7, v5, vcc_lo
	v_add_co_u32 v12, vcc_lo, s14, v12
	v_cmp_lt_i64_e64 s0, v[0:1], v[6:7]
	v_add_co_ci_u32_e64 v13, null, s15, v13, vcc_lo
	s_cbranch_scc1 .LBB48_27
; %bb.16:
	v_mov_b32_e32 v14, 0
	v_mov_b32_e32 v16, 0
	;; [unrolled: 1-line block ×8, first 2 shown]
	s_and_saveexec_b32 s6, s0
	s_cbranch_execz .LBB48_26
; %bb.17:
	v_or_b32_e32 v14, 32, v34
	v_not_b32_e32 v17, v22
	v_sub_co_u32 v18, s1, v4, v34
	v_not_b32_e32 v16, v23
	v_sub_co_u32 v14, vcc_lo, v14, v4
	v_sub_co_ci_u32_e64 v15, null, 0, v5, vcc_lo
	v_subrev_co_ci_u32_e64 v19, null, 0, v5, s1
	v_add_co_u32 v14, vcc_lo, v14, v22
	v_add_co_ci_u32_e64 v15, null, v15, v23, vcc_lo
	v_mov_b32_e32 v25, 0
	v_mov_b32_e32 v20, 0
	;; [unrolled: 1-line block ×3, first 2 shown]
	v_cmp_gt_i64_e32 vcc_lo, v[14:15], v[6:7]
	v_mov_b32_e32 v21, 0
	v_mov_b32_e32 v26, v0
	v_cndmask_b32_e32 v15, v7, v15, vcc_lo
	v_cndmask_b32_e32 v14, v6, v14, vcc_lo
	v_add_co_u32 v17, vcc_lo, v18, v17
	v_add_co_ci_u32_e64 v16, null, v19, v16, vcc_lo
	v_mov_b32_e32 v18, 0
	v_add_co_u32 v28, vcc_lo, v17, v14
	v_add_co_ci_u32_e64 v29, null, v16, v15, vcc_lo
	v_mov_b32_e32 v16, 0
	v_and_b32_e32 v24, 0x60, v28
	v_mov_b32_e32 v14, 0
	v_mov_b32_e32 v19, 0
	;; [unrolled: 1-line block ×4, first 2 shown]
	v_cmp_ne_u64_e32 vcc_lo, 0x60, v[24:25]
	v_mov_b32_e32 v25, v13
	v_mov_b32_e32 v24, v12
	s_and_saveexec_b32 s7, vcc_lo
	s_cbranch_execz .LBB48_21
; %bb.18:
	v_lshrrev_b32_e32 v14, 5, v28
	v_lshlrev_b64 v[20:21], 3, v[0:1]
	v_mov_b32_e32 v25, v13
	v_mov_b32_e32 v16, 0
	;; [unrolled: 1-line block ×3, first 2 shown]
	v_add_nc_u32_e32 v26, 1, v14
	v_mov_b32_e32 v14, 0
	v_add_co_u32 v30, vcc_lo, s12, v20
	v_add_co_ci_u32_e64 v31, null, s13, v21, vcc_lo
	v_and_b32_e32 v26, 3, v26
	v_mov_b32_e32 v20, 0
	v_mov_b32_e32 v15, 0
	;; [unrolled: 1-line block ×4, first 2 shown]
	v_sub_co_u32 v32, s1, 0, v26
	v_mov_b32_e32 v27, v1
	v_mov_b32_e32 v19, 0
	v_sub_co_ci_u32_e64 v33, null, 0, 0, s1
	v_mov_b32_e32 v21, 0
	v_mov_b32_e32 v26, v0
	s_mov_b32 s8, 0
.LBB48_19:                              ; =>This Inner Loop Header: Depth=1
	global_load_dwordx2 v[63:64], v[30:31], off
	s_clause 0x6
	global_load_dwordx4 v[35:38], v[24:25], off offset:48
	global_load_dwordx4 v[39:42], v[24:25], off offset:32
	;; [unrolled: 1-line block ×3, first 2 shown]
	global_load_dwordx4 v[47:50], v[24:25], off
	global_load_dwordx4 v[51:54], v[24:25], off offset:112
	global_load_dwordx4 v[55:58], v[24:25], off offset:96
	global_load_dwordx4 v[59:62], v[24:25], off offset:80
	v_add_co_u32 v30, s1, 0x100, v30
	v_add_co_ci_u32_e64 v31, null, 0, v31, s1
	s_waitcnt vmcnt(7)
	v_sub_co_u32 v63, vcc_lo, v63, v4
	v_sub_co_ci_u32_e64 v64, null, v64, v5, vcc_lo
	v_lshlrev_b64 v[63:64], 5, v[63:64]
	v_add_co_u32 v71, vcc_lo, s2, v63
	v_add_co_ci_u32_e64 v72, null, s3, v64, vcc_lo
	global_load_dwordx4 v[63:66], v[24:25], off offset:64
	s_clause 0x1
	global_load_dwordx4 v[67:70], v[71:72], off
	global_load_dwordx4 v[71:74], v[71:72], off offset:16
	v_add_co_u32 v24, vcc_lo, 0x1000, v24
	v_add_co_ci_u32_e64 v25, null, 0, v25, vcc_lo
	v_add_co_u32 v32, vcc_lo, v32, 1
	v_add_co_ci_u32_e64 v33, null, 0, v33, vcc_lo
	;; [unrolled: 2-line block ×3, first 2 shown]
	v_cmp_eq_u64_e32 vcc_lo, 0, v[32:33]
	s_or_b32 s8, vcc_lo, s8
	s_waitcnt vmcnt(1)
	v_fma_f64 v[20:21], v[47:48], v[67:68], v[20:21]
	v_fma_f64 v[18:19], v[39:40], v[67:68], v[18:19]
	;; [unrolled: 1-line block ×8, first 2 shown]
	s_waitcnt vmcnt(0)
	v_fma_f64 v[20:21], v[43:44], v[71:72], v[20:21]
	v_fma_f64 v[18:19], v[35:36], v[71:72], v[18:19]
	;; [unrolled: 1-line block ×8, first 2 shown]
	s_andn2_b32 exec_lo, exec_lo, s8
	s_cbranch_execnz .LBB48_19
; %bb.20:
	s_or_b32 exec_lo, exec_lo, s8
.LBB48_21:
	s_or_b32 exec_lo, exec_lo, s7
	s_mov_b32 s7, exec_lo
	v_cmpx_lt_u64_e32 0x5f, v[28:29]
	s_cbranch_execz .LBB48_25
; %bb.22:
	v_lshlrev_b64 v[28:29], 3, v[26:27]
	s_mov_b32 s8, 0
	v_add_co_u32 v28, vcc_lo, s12, v28
	v_add_co_ci_u32_e64 v29, null, s13, v29, vcc_lo
	v_add_co_u32 v28, vcc_lo, 0x200, v28
	v_add_co_ci_u32_e64 v29, null, 0, v29, vcc_lo
.LBB48_23:                              ; =>This Inner Loop Header: Depth=1
	global_load_dwordx2 v[119:120], v[28:29], off offset:-512
	s_clause 0x7
	global_load_dwordx4 v[30:33], v[24:25], off offset:48
	global_load_dwordx4 v[35:38], v[24:25], off offset:32
	;; [unrolled: 1-line block ×3, first 2 shown]
	global_load_dwordx4 v[43:46], v[24:25], off
	global_load_dwordx4 v[47:50], v[24:25], off offset:112
	global_load_dwordx4 v[51:54], v[24:25], off offset:96
	;; [unrolled: 1-line block ×4, first 2 shown]
	s_clause 0x2
	global_load_dwordx2 v[127:128], v[28:29], off offset:-256
	global_load_dwordx2 v[129:130], v[28:29], off
	global_load_dwordx2 v[131:132], v[28:29], off offset:256
	v_add_co_u32 v91, vcc_lo, 0x1000, v24
	v_add_co_ci_u32_e64 v92, null, 0, v25, vcc_lo
	v_add_co_u32 v133, vcc_lo, 0x2000, v24
	v_add_co_ci_u32_e64 v134, null, 0, v25, vcc_lo
	;; [unrolled: 2-line block ×3, first 2 shown]
	s_clause 0xd
	global_load_dwordx4 v[63:66], v[91:92], off offset:48
	global_load_dwordx4 v[67:70], v[91:92], off offset:32
	global_load_dwordx4 v[71:74], v[91:92], off
	global_load_dwordx4 v[75:78], v[91:92], off offset:16
	global_load_dwordx4 v[79:82], v[91:92], off offset:112
	;; [unrolled: 1-line block ×7, first 2 shown]
	global_load_dwordx4 v[103:106], v[133:134], off
	global_load_dwordx4 v[107:110], v[133:134], off offset:16
	global_load_dwordx4 v[111:114], v[133:134], off offset:112
	;; [unrolled: 1-line block ×3, first 2 shown]
	v_add_co_u32 v24, s1, 0x4000, v24
	v_add_co_ci_u32_e64 v25, null, 0, v25, s1
	s_waitcnt vmcnt(25)
	v_sub_co_u32 v119, vcc_lo, v119, v4
	v_sub_co_ci_u32_e64 v120, null, v120, v5, vcc_lo
	v_lshlrev_b64 v[119:120], 5, v[119:120]
	v_add_co_u32 v123, vcc_lo, s2, v119
	v_add_co_ci_u32_e64 v124, null, s3, v120, vcc_lo
	s_clause 0x1
	global_load_dwordx4 v[119:122], v[123:124], off
	global_load_dwordx4 v[123:126], v[123:124], off offset:16
	s_waitcnt vmcnt(1)
	v_fma_f64 v[14:15], v[51:52], v[119:120], v[14:15]
	v_sub_co_u32 v51, vcc_lo, v127, v4
	v_sub_co_ci_u32_e64 v52, null, v128, v5, vcc_lo
	v_fma_f64 v[16:17], v[59:60], v[119:120], v[16:17]
	v_fma_f64 v[20:21], v[43:44], v[119:120], v[20:21]
	;; [unrolled: 1-line block ×3, first 2 shown]
	v_lshlrev_b64 v[51:52], 5, v[51:52]
	v_add_co_u32 v59, vcc_lo, s2, v51
	v_add_co_ci_u32_e64 v60, null, s3, v52, vcc_lo
	v_fma_f64 v[119:120], v[53:54], v[121:122], v[14:15]
	global_load_dwordx4 v[51:54], v[59:60], off
	v_fma_f64 v[137:138], v[45:46], v[121:122], v[20:21]
	global_load_dwordx4 v[43:46], v[133:134], off offset:80
	v_fma_f64 v[139:140], v[37:38], v[121:122], v[18:19]
	global_load_dwordx4 v[18:21], v[133:134], off offset:64
	v_fma_f64 v[133:134], v[61:62], v[121:122], v[16:17]
	v_sub_co_u32 v61, vcc_lo, v129, v4
	v_sub_co_ci_u32_e64 v62, null, v130, v5, vcc_lo
	s_clause 0x1
	global_load_dwordx4 v[35:38], v[135:136], off
	global_load_dwordx4 v[14:17], v[135:136], off offset:48
	v_lshlrev_b64 v[61:62], 5, v[61:62]
	s_waitcnt vmcnt(5)
	v_fma_f64 v[47:48], v[47:48], v[123:124], v[119:120]
	v_add_co_u32 v129, vcc_lo, s2, v61
	v_add_co_ci_u32_e64 v130, null, s3, v62, vcc_lo
	v_fma_f64 v[39:40], v[39:40], v[123:124], v[137:138]
	v_fma_f64 v[30:31], v[30:31], v[123:124], v[139:140]
	;; [unrolled: 1-line block ×3, first 2 shown]
	v_sub_co_u32 v123, vcc_lo, v131, v4
	v_sub_co_ci_u32_e64 v124, null, v132, v5, vcc_lo
	v_lshlrev_b64 v[123:124], 5, v[123:124]
	v_fma_f64 v[139:140], v[49:50], v[125:126], v[47:48]
	v_fma_f64 v[127:128], v[41:42], v[125:126], v[39:40]
	global_load_dwordx4 v[39:42], v[135:136], off offset:32
	v_fma_f64 v[137:138], v[32:33], v[125:126], v[30:31]
	global_load_dwordx4 v[30:33], v[135:136], off offset:112
	v_fma_f64 v[133:134], v[57:58], v[125:126], v[55:56]
	s_clause 0x1
	global_load_dwordx4 v[55:58], v[129:130], off
	global_load_dwordx4 v[59:62], v[59:60], off offset:16
	s_clause 0x1
	global_load_dwordx4 v[47:50], v[135:136], off offset:96
	global_load_dwordx4 v[119:122], v[135:136], off offset:64
	s_waitcnt vmcnt(10)
	v_fma_f64 v[71:72], v[71:72], v[51:52], v[127:128]
	v_fma_f64 v[67:68], v[67:68], v[51:52], v[137:138]
	v_fma_f64 v[91:92], v[91:92], v[51:52], v[133:134]
	v_fma_f64 v[51:52], v[83:84], v[51:52], v[139:140]
	v_fma_f64 v[127:128], v[73:74], v[53:54], v[71:72]
	global_load_dwordx4 v[71:74], v[129:130], off offset:16
	v_add_co_u32 v129, vcc_lo, s2, v123
	v_add_co_ci_u32_e64 v130, null, s3, v124, vcc_lo
	v_fma_f64 v[131:132], v[69:70], v[53:54], v[67:68]
	v_fma_f64 v[133:134], v[93:94], v[53:54], v[91:92]
	;; [unrolled: 1-line block ×3, first 2 shown]
	global_load_dwordx4 v[67:70], v[129:130], off
	s_clause 0x1
	global_load_dwordx4 v[91:94], v[135:136], off offset:80
	global_load_dwordx4 v[123:126], v[135:136], off offset:16
	;; [unrolled: 1-line block ×3, first 2 shown]
	v_add_co_u32 v26, vcc_lo, 0x80, v26
	v_add_co_ci_u32_e64 v27, null, 0, v27, vcc_lo
	v_add_co_u32 v28, vcc_lo, 0x400, v28
	v_add_co_ci_u32_e64 v29, null, 0, v29, vcc_lo
	v_cmp_ge_i64_e32 vcc_lo, v[26:27], v[6:7]
	s_or_b32 s8, vcc_lo, s8
	s_waitcnt vmcnt(7)
	v_fma_f64 v[75:76], v[75:76], v[59:60], v[127:128]
	v_fma_f64 v[63:64], v[63:64], v[59:60], v[131:132]
	;; [unrolled: 1-line block ×16, first 2 shown]
	s_waitcnt vmcnt(4)
	v_fma_f64 v[55:56], v[107:108], v[71:72], v[59:60]
	v_fma_f64 v[57:58], v[95:96], v[71:72], v[61:62]
	v_fma_f64 v[18:19], v[43:44], v[71:72], v[18:19]
	v_fma_f64 v[20:21], v[111:112], v[71:72], v[20:21]
	v_fma_f64 v[43:44], v[109:110], v[73:74], v[55:56]
	v_fma_f64 v[55:56], v[97:98], v[73:74], v[57:58]
	v_fma_f64 v[18:19], v[45:46], v[73:74], v[18:19]
	v_fma_f64 v[20:21], v[113:114], v[73:74], v[20:21]
	s_waitcnt vmcnt(3)
	v_fma_f64 v[35:36], v[35:36], v[67:68], v[43:44]
	v_fma_f64 v[39:40], v[39:40], v[67:68], v[55:56]
	v_fma_f64 v[18:19], v[119:120], v[67:68], v[18:19]
	v_fma_f64 v[20:21], v[47:48], v[67:68], v[20:21]
	v_fma_f64 v[35:36], v[37:38], v[69:70], v[35:36]
	v_fma_f64 v[37:38], v[41:42], v[69:70], v[39:40]
	v_fma_f64 v[18:19], v[121:122], v[69:70], v[18:19]
	v_fma_f64 v[20:21], v[49:50], v[69:70], v[20:21]
	;; [unrolled: 9-line block ×3, first 2 shown]
	s_andn2_b32 exec_lo, exec_lo, s8
	s_cbranch_execnz .LBB48_23
; %bb.24:
	s_or_b32 exec_lo, exec_lo, s8
.LBB48_25:
	s_or_b32 exec_lo, exec_lo, s7
.LBB48_26:
	s_or_b32 exec_lo, exec_lo, s6
	s_cbranch_execz .LBB48_28
	s_branch .LBB48_39
.LBB48_27:
                                        ; implicit-def: $vgpr14_vgpr15
                                        ; implicit-def: $vgpr16_vgpr17
                                        ; implicit-def: $vgpr18_vgpr19
                                        ; implicit-def: $vgpr20_vgpr21
.LBB48_28:
	v_mov_b32_e32 v14, 0
	v_mov_b32_e32 v16, 0
	;; [unrolled: 1-line block ×8, first 2 shown]
	s_and_saveexec_b32 s1, s0
	s_cbranch_execz .LBB48_38
; %bb.29:
	v_or_b32_e32 v14, 32, v34
	v_not_b32_e32 v17, v22
	v_sub_co_u32 v18, s0, v4, v34
	v_not_b32_e32 v16, v23
	v_sub_co_u32 v14, vcc_lo, v14, v4
	v_sub_co_ci_u32_e64 v15, null, 0, v5, vcc_lo
	v_subrev_co_ci_u32_e64 v19, null, 0, v5, s0
	v_add_co_u32 v14, vcc_lo, v14, v22
	v_add_co_ci_u32_e64 v15, null, v15, v23, vcc_lo
	v_cmp_gt_i64_e32 vcc_lo, v[14:15], v[6:7]
	v_cndmask_b32_e32 v20, v7, v15, vcc_lo
	v_cndmask_b32_e32 v14, v6, v14, vcc_lo
	v_add_co_u32 v15, vcc_lo, v18, v17
	v_add_co_ci_u32_e64 v16, null, v19, v16, vcc_lo
	v_mov_b32_e32 v18, 0
	v_add_co_u32 v22, vcc_lo, v15, v14
	v_mov_b32_e32 v15, 0
	v_add_co_ci_u32_e64 v23, null, v16, v20, vcc_lo
	v_and_b32_e32 v14, 0x60, v22
	v_mov_b32_e32 v20, 0
	v_mov_b32_e32 v16, 0
	;; [unrolled: 1-line block ×4, first 2 shown]
	v_cmp_ne_u64_e32 vcc_lo, 0x60, v[14:15]
	v_mov_b32_e32 v14, 0
	v_mov_b32_e32 v17, 0
	;; [unrolled: 1-line block ×3, first 2 shown]
	s_and_saveexec_b32 s6, vcc_lo
	s_cbranch_execz .LBB48_33
; %bb.30:
	v_lshrrev_b32_e32 v14, 5, v22
	v_lshlrev_b64 v[24:25], 3, v[0:1]
	v_mov_b32_e32 v16, 0
	v_mov_b32_e32 v18, 0
	;; [unrolled: 1-line block ×3, first 2 shown]
	v_add_nc_u32_e32 v26, 1, v14
	v_mov_b32_e32 v14, 0
	v_add_co_u32 v24, vcc_lo, s12, v24
	v_mov_b32_e32 v15, 0
	v_and_b32_e32 v26, 3, v26
	v_mov_b32_e32 v17, 0
	v_mov_b32_e32 v19, 0
	;; [unrolled: 1-line block ×3, first 2 shown]
	v_add_co_ci_u32_e64 v25, null, s13, v25, vcc_lo
	v_sub_co_u32 v26, s0, 0, v26
	v_sub_co_ci_u32_e64 v27, null, 0, 0, s0
	s_mov_b32 s7, 0
.LBB48_31:                              ; =>This Inner Loop Header: Depth=1
	global_load_dwordx2 v[32:33], v[24:25], off
	global_load_dwordx4 v[28:31], v[12:13], off offset:16
	v_add_co_u32 v24, s0, 0x100, v24
	v_add_co_ci_u32_e64 v25, null, 0, v25, s0
	s_waitcnt vmcnt(1)
	v_sub_co_u32 v32, vcc_lo, v32, v4
	v_sub_co_ci_u32_e64 v33, null, v33, v5, vcc_lo
	v_lshlrev_b64 v[32:33], 5, v[32:33]
	v_add_co_u32 v32, vcc_lo, s2, v32
	v_add_co_ci_u32_e64 v33, null, s3, v33, vcc_lo
	global_load_dwordx4 v[35:38], v[12:13], off
	s_clause 0x1
	global_load_dwordx4 v[39:42], v[32:33], off
	global_load_dwordx4 v[43:46], v[32:33], off offset:16
	s_clause 0x5
	global_load_dwordx4 v[47:50], v[12:13], off offset:32
	global_load_dwordx4 v[51:54], v[12:13], off offset:48
	;; [unrolled: 1-line block ×6, first 2 shown]
	v_add_co_u32 v12, vcc_lo, 0x1000, v12
	v_add_co_ci_u32_e64 v13, null, 0, v13, vcc_lo
	v_add_co_u32 v26, vcc_lo, v26, 1
	v_add_co_ci_u32_e64 v27, null, 0, v27, vcc_lo
	v_add_co_u32 v0, vcc_lo, v0, 32
	v_add_co_ci_u32_e64 v1, null, 0, v1, vcc_lo
	v_cmp_eq_u64_e32 vcc_lo, 0, v[26:27]
	s_or_b32 s7, vcc_lo, s7
	s_waitcnt vmcnt(7)
	v_fma_f64 v[20:21], v[35:36], v[39:40], v[20:21]
	v_fma_f64 v[18:19], v[37:38], v[39:40], v[18:19]
	;; [unrolled: 1-line block ×4, first 2 shown]
	s_waitcnt vmcnt(5)
	v_fma_f64 v[20:21], v[47:48], v[41:42], v[20:21]
	v_fma_f64 v[18:19], v[49:50], v[41:42], v[18:19]
	s_waitcnt vmcnt(4)
	v_fma_f64 v[16:17], v[51:52], v[41:42], v[16:17]
	v_fma_f64 v[14:15], v[53:54], v[41:42], v[14:15]
	;; [unrolled: 3-line block ×6, first 2 shown]
	s_andn2_b32 exec_lo, exec_lo, s7
	s_cbranch_execnz .LBB48_31
; %bb.32:
	s_or_b32 exec_lo, exec_lo, s7
.LBB48_33:
	s_or_b32 exec_lo, exec_lo, s6
	s_mov_b32 s6, exec_lo
	v_cmpx_lt_u64_e32 0x5f, v[22:23]
	s_cbranch_execz .LBB48_37
; %bb.34:
	v_lshlrev_b64 v[22:23], 3, v[0:1]
	s_mov_b32 s7, 0
	v_add_co_u32 v22, vcc_lo, s12, v22
	v_add_co_ci_u32_e64 v23, null, s13, v23, vcc_lo
	v_add_co_u32 v22, vcc_lo, 0x200, v22
	v_add_co_ci_u32_e64 v23, null, 0, v23, vcc_lo
.LBB48_35:                              ; =>This Inner Loop Header: Depth=1
	s_clause 0x2
	global_load_dwordx2 v[32:33], v[22:23], off offset:-512
	global_load_dwordx2 v[91:92], v[22:23], off offset:-256
	global_load_dwordx2 v[106:107], v[22:23], off
	s_clause 0x7
	global_load_dwordx4 v[24:27], v[12:13], off offset:48
	global_load_dwordx4 v[28:31], v[12:13], off offset:32
	global_load_dwordx4 v[35:38], v[12:13], off offset:16
	global_load_dwordx4 v[39:42], v[12:13], off
	global_load_dwordx4 v[43:46], v[12:13], off offset:112
	global_load_dwordx4 v[47:50], v[12:13], off offset:96
	;; [unrolled: 1-line block ×4, first 2 shown]
	v_add_co_u32 v87, vcc_lo, 0x1000, v12
	v_add_co_ci_u32_e64 v88, null, 0, v13, vcc_lo
	v_add_co_u32 v111, vcc_lo, 0x2000, v12
	v_add_co_ci_u32_e64 v112, null, 0, v13, vcc_lo
	global_load_dwordx2 v[113:114], v[22:23], off offset:256
	s_clause 0x7
	global_load_dwordx4 v[59:62], v[87:88], off offset:48
	global_load_dwordx4 v[63:66], v[87:88], off offset:32
	global_load_dwordx4 v[67:70], v[87:88], off
	global_load_dwordx4 v[71:74], v[87:88], off offset:16
	global_load_dwordx4 v[75:78], v[87:88], off offset:112
	;; [unrolled: 1-line block ×5, first 2 shown]
	s_waitcnt vmcnt(19)
	v_sub_co_u32 v32, vcc_lo, v32, v4
	v_sub_co_ci_u32_e64 v33, null, v33, v5, vcc_lo
	s_waitcnt vmcnt(18)
	v_sub_co_u32 v91, vcc_lo, v91, v4
	v_sub_co_ci_u32_e64 v92, null, v92, v5, vcc_lo
	v_lshlrev_b64 v[32:33], 5, v[32:33]
	s_waitcnt vmcnt(17)
	v_sub_co_u32 v108, vcc_lo, v106, v4
	v_lshlrev_b64 v[91:92], 5, v[91:92]
	v_sub_co_ci_u32_e64 v109, null, v107, v5, vcc_lo
	v_add_co_u32 v32, s0, s2, v32
	v_add_co_ci_u32_e64 v33, null, s3, v33, s0
	v_add_co_u32 v103, s0, s2, v91
	v_add_co_ci_u32_e64 v104, null, s3, v92, s0
	s_clause 0x3
	global_load_dwordx4 v[91:94], v[32:33], off
	global_load_dwordx4 v[95:98], v[32:33], off offset:16
	global_load_dwordx4 v[99:102], v[103:104], off
	global_load_dwordx4 v[103:106], v[103:104], off offset:16
	v_lshlrev_b64 v[32:33], 5, v[108:109]
	global_load_dwordx4 v[107:110], v[111:112], off
	v_add_co_u32 v32, vcc_lo, s2, v32
	v_add_co_ci_u32_e64 v33, null, s3, v33, vcc_lo
	v_add_co_u32 v115, vcc_lo, 0x3000, v12
	v_add_co_ci_u32_e64 v116, null, 0, v13, vcc_lo
	v_add_co_u32 v12, s0, 0x4000, v12
	v_add_co_ci_u32_e64 v13, null, 0, v13, s0
	s_waitcnt vmcnt(4)
	v_fma_f64 v[39:40], v[39:40], v[91:92], v[20:21]
	v_fma_f64 v[41:42], v[41:42], v[91:92], v[18:19]
	global_load_dwordx4 v[18:21], v[111:112], off offset:16
	v_fma_f64 v[35:36], v[35:36], v[91:92], v[16:17]
	v_fma_f64 v[37:38], v[37:38], v[91:92], v[14:15]
	global_load_dwordx4 v[14:17], v[32:33], off
	v_fma_f64 v[39:40], v[28:29], v[93:94], v[39:40]
	v_fma_f64 v[41:42], v[30:31], v[93:94], v[41:42]
	v_fma_f64 v[91:92], v[24:25], v[93:94], v[35:36]
	v_fma_f64 v[93:94], v[26:27], v[93:94], v[37:38]
	s_clause 0x2
	global_load_dwordx4 v[24:27], v[111:112], off offset:48
	global_load_dwordx4 v[28:31], v[111:112], off offset:32
	;; [unrolled: 1-line block ×3, first 2 shown]
	s_waitcnt vmcnt(8)
	v_fma_f64 v[55:56], v[55:56], v[95:96], v[39:40]
	v_fma_f64 v[57:58], v[57:58], v[95:96], v[41:42]
	;; [unrolled: 1-line block ×4, first 2 shown]
	global_load_dwordx4 v[39:42], v[111:112], off offset:80
	global_load_dwordx4 v[51:54], v[32:33], off offset:16
	v_fma_f64 v[32:33], v[47:48], v[97:98], v[55:56]
	v_fma_f64 v[95:96], v[49:50], v[97:98], v[57:58]
	global_load_dwordx4 v[47:50], v[111:112], off offset:112
	v_fma_f64 v[91:92], v[43:44], v[97:98], v[91:92]
	v_fma_f64 v[93:94], v[45:46], v[97:98], v[93:94]
	s_clause 0x1
	global_load_dwordx4 v[43:46], v[111:112], off offset:96
	global_load_dwordx4 v[55:58], v[115:116], off
	v_sub_co_u32 v97, vcc_lo, v113, v4
	v_sub_co_ci_u32_e64 v98, null, v114, v5, vcc_lo
	v_lshlrev_b64 v[97:98], 5, v[97:98]
	v_add_co_u32 v97, vcc_lo, s2, v97
	v_add_co_ci_u32_e64 v98, null, s3, v98, vcc_lo
	s_waitcnt vmcnt(12)
	v_fma_f64 v[32:33], v[67:68], v[99:100], v[32:33]
	v_fma_f64 v[95:96], v[69:70], v[99:100], v[95:96]
	global_load_dwordx4 v[67:70], v[115:116], off offset:16
	v_fma_f64 v[91:92], v[71:72], v[99:100], v[91:92]
	v_fma_f64 v[93:94], v[73:74], v[99:100], v[93:94]
	global_load_dwordx4 v[71:74], v[97:98], off
	v_add_co_u32 v0, vcc_lo, 0x80, v0
	v_add_co_ci_u32_e64 v1, null, 0, v1, vcc_lo
	v_add_co_u32 v22, vcc_lo, 0x400, v22
	v_add_co_ci_u32_e64 v23, null, 0, v23, vcc_lo
	v_cmp_ge_i64_e32 vcc_lo, v[0:1], v[6:7]
	s_or_b32 s7, vcc_lo, s7
	v_fma_f64 v[32:33], v[63:64], v[101:102], v[32:33]
	v_fma_f64 v[95:96], v[65:66], v[101:102], v[95:96]
	global_load_dwordx4 v[63:66], v[115:116], off offset:32
	v_fma_f64 v[99:100], v[59:60], v[101:102], v[91:92]
	v_fma_f64 v[101:102], v[61:62], v[101:102], v[93:94]
	s_clause 0x1
	global_load_dwordx4 v[59:62], v[115:116], off offset:48
	global_load_dwordx4 v[91:94], v[115:116], off offset:64
	s_waitcnt vmcnt(16)
	v_fma_f64 v[32:33], v[87:88], v[103:104], v[32:33]
	v_fma_f64 v[111:112], v[89:90], v[103:104], v[95:96]
	global_load_dwordx4 v[87:90], v[115:116], off offset:80
	global_load_dwordx4 v[95:98], v[97:98], off offset:16
	v_fma_f64 v[99:100], v[83:84], v[103:104], v[99:100]
	v_fma_f64 v[101:102], v[85:86], v[103:104], v[101:102]
	global_load_dwordx4 v[83:86], v[115:116], off offset:96
	v_fma_f64 v[32:33], v[79:80], v[105:106], v[32:33]
	v_fma_f64 v[103:104], v[81:82], v[105:106], v[111:112]
	;; [unrolled: 3-line block ×3, first 2 shown]
	s_waitcnt vmcnt(17)
	v_fma_f64 v[32:33], v[107:108], v[14:15], v[32:33]
	v_fma_f64 v[99:100], v[109:110], v[14:15], v[103:104]
	v_fma_f64 v[18:19], v[18:19], v[14:15], v[75:76]
	v_fma_f64 v[14:15], v[20:21], v[14:15], v[77:78]
	s_waitcnt vmcnt(15)
	v_fma_f64 v[20:21], v[28:29], v[16:17], v[32:33]
	v_fma_f64 v[28:29], v[30:31], v[16:17], v[99:100]
	v_fma_f64 v[18:19], v[24:25], v[16:17], v[18:19]
	v_fma_f64 v[14:15], v[26:27], v[16:17], v[14:15]
	;; [unrolled: 5-line block ×5, first 2 shown]
	s_waitcnt vmcnt(6)
	v_fma_f64 v[16:17], v[63:64], v[73:74], v[16:17]
	v_fma_f64 v[20:21], v[65:66], v[73:74], v[20:21]
	s_waitcnt vmcnt(5)
	v_fma_f64 v[18:19], v[59:60], v[73:74], v[18:19]
	v_fma_f64 v[14:15], v[61:62], v[73:74], v[14:15]
	;; [unrolled: 3-line block ×3, first 2 shown]
	v_fma_f64 v[26:27], v[87:88], v[95:96], v[18:19]
	v_fma_f64 v[14:15], v[89:90], v[95:96], v[14:15]
	s_waitcnt vmcnt(1)
	v_fma_f64 v[20:21], v[83:84], v[97:98], v[16:17]
	v_fma_f64 v[18:19], v[85:86], v[97:98], v[24:25]
	s_waitcnt vmcnt(0)
	v_fma_f64 v[16:17], v[79:80], v[97:98], v[26:27]
	v_fma_f64 v[14:15], v[81:82], v[97:98], v[14:15]
	s_andn2_b32 exec_lo, exec_lo, s7
	s_cbranch_execnz .LBB48_35
; %bb.36:
	s_or_b32 exec_lo, exec_lo, s7
.LBB48_37:
	s_or_b32 exec_lo, exec_lo, s6
.LBB48_38:
	s_or_b32 exec_lo, exec_lo, s1
.LBB48_39:
	v_mbcnt_lo_u32_b32 v24, -1, 0
	v_xor_b32_e32 v0, 16, v24
	v_cmp_gt_i32_e32 vcc_lo, 32, v0
	v_cndmask_b32_e32 v0, v24, v0, vcc_lo
	v_lshlrev_b32_e32 v13, 2, v0
	ds_bpermute_b32 v0, v13, v20
	ds_bpermute_b32 v1, v13, v21
	;; [unrolled: 1-line block ×8, first 2 shown]
	s_waitcnt lgkmcnt(6)
	v_add_f64 v[0:1], v[20:21], v[0:1]
	s_waitcnt lgkmcnt(4)
	v_add_f64 v[4:5], v[18:19], v[4:5]
	s_waitcnt lgkmcnt(2)
	v_add_f64 v[6:7], v[16:17], v[6:7]
	v_xor_b32_e32 v16, 8, v24
	s_waitcnt lgkmcnt(0)
	v_add_f64 v[12:13], v[14:15], v[12:13]
	v_cmp_gt_i32_e32 vcc_lo, 32, v16
	v_cndmask_b32_e32 v14, v24, v16, vcc_lo
	v_lshlrev_b32_e32 v21, 2, v14
	ds_bpermute_b32 v14, v21, v0
	ds_bpermute_b32 v15, v21, v1
	;; [unrolled: 1-line block ×8, first 2 shown]
	s_waitcnt lgkmcnt(6)
	v_add_f64 v[0:1], v[0:1], v[14:15]
	v_xor_b32_e32 v14, 4, v24
	s_waitcnt lgkmcnt(4)
	v_add_f64 v[4:5], v[4:5], v[16:17]
	s_waitcnt lgkmcnt(2)
	v_add_f64 v[6:7], v[6:7], v[18:19]
	s_waitcnt lgkmcnt(0)
	v_add_f64 v[12:13], v[12:13], v[20:21]
	v_cmp_gt_i32_e32 vcc_lo, 32, v14
	v_cndmask_b32_e32 v14, v24, v14, vcc_lo
	v_lshlrev_b32_e32 v21, 2, v14
	ds_bpermute_b32 v14, v21, v0
	ds_bpermute_b32 v15, v21, v1
	;; [unrolled: 1-line block ×8, first 2 shown]
	s_waitcnt lgkmcnt(6)
	v_add_f64 v[0:1], v[0:1], v[14:15]
	s_waitcnt lgkmcnt(4)
	v_add_f64 v[4:5], v[4:5], v[16:17]
	;; [unrolled: 2-line block ×3, first 2 shown]
	v_xor_b32_e32 v6, 2, v24
	s_waitcnt lgkmcnt(0)
	v_add_f64 v[16:17], v[12:13], v[20:21]
	v_cmp_gt_i32_e32 vcc_lo, 32, v6
	v_cndmask_b32_e32 v6, v24, v6, vcc_lo
	v_lshlrev_b32_e32 v12, 2, v6
	ds_bpermute_b32 v6, v12, v0
	ds_bpermute_b32 v7, v12, v1
	;; [unrolled: 1-line block ×8, first 2 shown]
	s_waitcnt lgkmcnt(6)
	v_add_f64 v[12:13], v[0:1], v[6:7]
	s_waitcnt lgkmcnt(4)
	v_add_f64 v[6:7], v[4:5], v[18:19]
	;; [unrolled: 2-line block ×3, first 2 shown]
	v_xor_b32_e32 v14, 1, v24
	s_waitcnt lgkmcnt(0)
	v_add_f64 v[4:5], v[16:17], v[22:23]
	v_cmp_gt_i32_e32 vcc_lo, 32, v14
	v_cndmask_b32_e32 v14, v24, v14, vcc_lo
	v_cmp_eq_u32_e32 vcc_lo, 31, v34
	v_lshlrev_b32_e32 v15, 2, v14
	ds_bpermute_b32 v20, v15, v12
	ds_bpermute_b32 v21, v15, v13
	;; [unrolled: 1-line block ×8, first 2 shown]
	s_and_b32 exec_lo, exec_lo, vcc_lo
	s_cbranch_execz .LBB48_10
; %bb.40:
	s_waitcnt lgkmcnt(6)
	v_add_f64 v[12:13], v[12:13], v[20:21]
	s_waitcnt lgkmcnt(4)
	v_add_f64 v[6:7], v[6:7], v[18:19]
	s_waitcnt lgkmcnt(2)
	v_add_f64 v[0:1], v[0:1], v[16:17]
	s_waitcnt lgkmcnt(0)
	v_add_f64 v[14:15], v[4:5], v[14:15]
	s_load_dwordx2 s[0:1], s[4:5], 0x58
	v_lshlrev_b64 v[10:11], 5, v[10:11]
	s_mov_b32 s2, exec_lo
	v_mul_f64 v[4:5], v[2:3], v[12:13]
	v_mul_f64 v[6:7], v[2:3], v[6:7]
	;; [unrolled: 1-line block ×4, first 2 shown]
	v_cmpx_eq_f64_e32 0, v[8:9]
	s_xor_b32 s2, exec_lo, s2
	s_cbranch_execz .LBB48_42
; %bb.41:
	s_waitcnt lgkmcnt(0)
	v_add_co_u32 v8, vcc_lo, s0, v10
	v_add_co_ci_u32_e64 v9, null, s1, v11, vcc_lo
                                        ; implicit-def: $vgpr10_vgpr11
	global_store_dwordx4 v[8:9], v[4:7], off
	global_store_dwordx4 v[8:9], v[0:3], off offset:16
                                        ; implicit-def: $vgpr8_vgpr9
                                        ; implicit-def: $vgpr4_vgpr5
                                        ; implicit-def: $vgpr0_vgpr1
.LBB48_42:
	s_andn2_saveexec_b32 s2, s2
	s_cbranch_execz .LBB48_10
; %bb.43:
	s_waitcnt lgkmcnt(0)
	v_add_co_u32 v18, vcc_lo, s0, v10
	v_add_co_ci_u32_e64 v19, null, s1, v11, vcc_lo
	s_clause 0x1
	global_load_dwordx4 v[10:13], v[18:19], off
	global_load_dwordx4 v[14:17], v[18:19], off offset:16
	s_waitcnt vmcnt(1)
	v_fma_f64 v[4:5], v[8:9], v[10:11], v[4:5]
	v_fma_f64 v[6:7], v[8:9], v[12:13], v[6:7]
	s_waitcnt vmcnt(0)
	v_fma_f64 v[0:1], v[8:9], v[14:15], v[0:1]
	v_fma_f64 v[2:3], v[8:9], v[16:17], v[2:3]
	global_store_dwordx4 v[18:19], v[4:7], off
	global_store_dwordx4 v[18:19], v[0:3], off offset:16
	s_endpgm
	.section	.rodata,"a",@progbits
	.p2align	6, 0x0
	.amdhsa_kernel _ZN9rocsparseL18bsrxmvn_4x4_kernelILj128ELj32EdlldddEEvT3_20rocsparse_direction_NS_24const_host_device_scalarIT1_EES1_PKS1_PKT2_SA_S7_PKT4_PKT5_S5_PT6_21rocsparse_index_base_b
		.amdhsa_group_segment_fixed_size 0
		.amdhsa_private_segment_fixed_size 0
		.amdhsa_kernarg_size 104
		.amdhsa_user_sgpr_count 6
		.amdhsa_user_sgpr_private_segment_buffer 1
		.amdhsa_user_sgpr_dispatch_ptr 0
		.amdhsa_user_sgpr_queue_ptr 0
		.amdhsa_user_sgpr_kernarg_segment_ptr 1
		.amdhsa_user_sgpr_dispatch_id 0
		.amdhsa_user_sgpr_flat_scratch_init 0
		.amdhsa_user_sgpr_private_segment_size 0
		.amdhsa_wavefront_size32 1
		.amdhsa_uses_dynamic_stack 0
		.amdhsa_system_sgpr_private_segment_wavefront_offset 0
		.amdhsa_system_sgpr_workgroup_id_x 1
		.amdhsa_system_sgpr_workgroup_id_y 0
		.amdhsa_system_sgpr_workgroup_id_z 0
		.amdhsa_system_sgpr_workgroup_info 0
		.amdhsa_system_vgpr_workitem_id 0
		.amdhsa_next_free_vgpr 141
		.amdhsa_next_free_sgpr 16
		.amdhsa_reserve_vcc 1
		.amdhsa_reserve_flat_scratch 0
		.amdhsa_float_round_mode_32 0
		.amdhsa_float_round_mode_16_64 0
		.amdhsa_float_denorm_mode_32 3
		.amdhsa_float_denorm_mode_16_64 3
		.amdhsa_dx10_clamp 1
		.amdhsa_ieee_mode 1
		.amdhsa_fp16_overflow 0
		.amdhsa_workgroup_processor_mode 1
		.amdhsa_memory_ordered 1
		.amdhsa_forward_progress 1
		.amdhsa_shared_vgpr_count 0
		.amdhsa_exception_fp_ieee_invalid_op 0
		.amdhsa_exception_fp_denorm_src 0
		.amdhsa_exception_fp_ieee_div_zero 0
		.amdhsa_exception_fp_ieee_overflow 0
		.amdhsa_exception_fp_ieee_underflow 0
		.amdhsa_exception_fp_ieee_inexact 0
		.amdhsa_exception_int_div_zero 0
	.end_amdhsa_kernel
	.section	.text._ZN9rocsparseL18bsrxmvn_4x4_kernelILj128ELj32EdlldddEEvT3_20rocsparse_direction_NS_24const_host_device_scalarIT1_EES1_PKS1_PKT2_SA_S7_PKT4_PKT5_S5_PT6_21rocsparse_index_base_b,"axG",@progbits,_ZN9rocsparseL18bsrxmvn_4x4_kernelILj128ELj32EdlldddEEvT3_20rocsparse_direction_NS_24const_host_device_scalarIT1_EES1_PKS1_PKT2_SA_S7_PKT4_PKT5_S5_PT6_21rocsparse_index_base_b,comdat
.Lfunc_end48:
	.size	_ZN9rocsparseL18bsrxmvn_4x4_kernelILj128ELj32EdlldddEEvT3_20rocsparse_direction_NS_24const_host_device_scalarIT1_EES1_PKS1_PKT2_SA_S7_PKT4_PKT5_S5_PT6_21rocsparse_index_base_b, .Lfunc_end48-_ZN9rocsparseL18bsrxmvn_4x4_kernelILj128ELj32EdlldddEEvT3_20rocsparse_direction_NS_24const_host_device_scalarIT1_EES1_PKS1_PKT2_SA_S7_PKT4_PKT5_S5_PT6_21rocsparse_index_base_b
                                        ; -- End function
	.set _ZN9rocsparseL18bsrxmvn_4x4_kernelILj128ELj32EdlldddEEvT3_20rocsparse_direction_NS_24const_host_device_scalarIT1_EES1_PKS1_PKT2_SA_S7_PKT4_PKT5_S5_PT6_21rocsparse_index_base_b.num_vgpr, 141
	.set _ZN9rocsparseL18bsrxmvn_4x4_kernelILj128ELj32EdlldddEEvT3_20rocsparse_direction_NS_24const_host_device_scalarIT1_EES1_PKS1_PKT2_SA_S7_PKT4_PKT5_S5_PT6_21rocsparse_index_base_b.num_agpr, 0
	.set _ZN9rocsparseL18bsrxmvn_4x4_kernelILj128ELj32EdlldddEEvT3_20rocsparse_direction_NS_24const_host_device_scalarIT1_EES1_PKS1_PKT2_SA_S7_PKT4_PKT5_S5_PT6_21rocsparse_index_base_b.numbered_sgpr, 16
	.set _ZN9rocsparseL18bsrxmvn_4x4_kernelILj128ELj32EdlldddEEvT3_20rocsparse_direction_NS_24const_host_device_scalarIT1_EES1_PKS1_PKT2_SA_S7_PKT4_PKT5_S5_PT6_21rocsparse_index_base_b.num_named_barrier, 0
	.set _ZN9rocsparseL18bsrxmvn_4x4_kernelILj128ELj32EdlldddEEvT3_20rocsparse_direction_NS_24const_host_device_scalarIT1_EES1_PKS1_PKT2_SA_S7_PKT4_PKT5_S5_PT6_21rocsparse_index_base_b.private_seg_size, 0
	.set _ZN9rocsparseL18bsrxmvn_4x4_kernelILj128ELj32EdlldddEEvT3_20rocsparse_direction_NS_24const_host_device_scalarIT1_EES1_PKS1_PKT2_SA_S7_PKT4_PKT5_S5_PT6_21rocsparse_index_base_b.uses_vcc, 1
	.set _ZN9rocsparseL18bsrxmvn_4x4_kernelILj128ELj32EdlldddEEvT3_20rocsparse_direction_NS_24const_host_device_scalarIT1_EES1_PKS1_PKT2_SA_S7_PKT4_PKT5_S5_PT6_21rocsparse_index_base_b.uses_flat_scratch, 0
	.set _ZN9rocsparseL18bsrxmvn_4x4_kernelILj128ELj32EdlldddEEvT3_20rocsparse_direction_NS_24const_host_device_scalarIT1_EES1_PKS1_PKT2_SA_S7_PKT4_PKT5_S5_PT6_21rocsparse_index_base_b.has_dyn_sized_stack, 0
	.set _ZN9rocsparseL18bsrxmvn_4x4_kernelILj128ELj32EdlldddEEvT3_20rocsparse_direction_NS_24const_host_device_scalarIT1_EES1_PKS1_PKT2_SA_S7_PKT4_PKT5_S5_PT6_21rocsparse_index_base_b.has_recursion, 0
	.set _ZN9rocsparseL18bsrxmvn_4x4_kernelILj128ELj32EdlldddEEvT3_20rocsparse_direction_NS_24const_host_device_scalarIT1_EES1_PKS1_PKT2_SA_S7_PKT4_PKT5_S5_PT6_21rocsparse_index_base_b.has_indirect_call, 0
	.section	.AMDGPU.csdata,"",@progbits
; Kernel info:
; codeLenInByte = 5460
; TotalNumSgprs: 18
; NumVgprs: 141
; ScratchSize: 0
; MemoryBound: 1
; FloatMode: 240
; IeeeMode: 1
; LDSByteSize: 0 bytes/workgroup (compile time only)
; SGPRBlocks: 0
; VGPRBlocks: 17
; NumSGPRsForWavesPerEU: 18
; NumVGPRsForWavesPerEU: 141
; Occupancy: 7
; WaveLimiterHint : 1
; COMPUTE_PGM_RSRC2:SCRATCH_EN: 0
; COMPUTE_PGM_RSRC2:USER_SGPR: 6
; COMPUTE_PGM_RSRC2:TRAP_HANDLER: 0
; COMPUTE_PGM_RSRC2:TGID_X_EN: 1
; COMPUTE_PGM_RSRC2:TGID_Y_EN: 0
; COMPUTE_PGM_RSRC2:TGID_Z_EN: 0
; COMPUTE_PGM_RSRC2:TIDIG_COMP_CNT: 0
	.section	.text._ZN9rocsparseL18bsrxmvn_4x4_kernelILj128ELj64EdlldddEEvT3_20rocsparse_direction_NS_24const_host_device_scalarIT1_EES1_PKS1_PKT2_SA_S7_PKT4_PKT5_S5_PT6_21rocsparse_index_base_b,"axG",@progbits,_ZN9rocsparseL18bsrxmvn_4x4_kernelILj128ELj64EdlldddEEvT3_20rocsparse_direction_NS_24const_host_device_scalarIT1_EES1_PKS1_PKT2_SA_S7_PKT4_PKT5_S5_PT6_21rocsparse_index_base_b,comdat
	.globl	_ZN9rocsparseL18bsrxmvn_4x4_kernelILj128ELj64EdlldddEEvT3_20rocsparse_direction_NS_24const_host_device_scalarIT1_EES1_PKS1_PKT2_SA_S7_PKT4_PKT5_S5_PT6_21rocsparse_index_base_b ; -- Begin function _ZN9rocsparseL18bsrxmvn_4x4_kernelILj128ELj64EdlldddEEvT3_20rocsparse_direction_NS_24const_host_device_scalarIT1_EES1_PKS1_PKT2_SA_S7_PKT4_PKT5_S5_PT6_21rocsparse_index_base_b
	.p2align	8
	.type	_ZN9rocsparseL18bsrxmvn_4x4_kernelILj128ELj64EdlldddEEvT3_20rocsparse_direction_NS_24const_host_device_scalarIT1_EES1_PKS1_PKT2_SA_S7_PKT4_PKT5_S5_PT6_21rocsparse_index_base_b,@function
_ZN9rocsparseL18bsrxmvn_4x4_kernelILj128ELj64EdlldddEEvT3_20rocsparse_direction_NS_24const_host_device_scalarIT1_EES1_PKS1_PKT2_SA_S7_PKT4_PKT5_S5_PT6_21rocsparse_index_base_b: ; @_ZN9rocsparseL18bsrxmvn_4x4_kernelILj128ELj64EdlldddEEvT3_20rocsparse_direction_NS_24const_host_device_scalarIT1_EES1_PKS1_PKT2_SA_S7_PKT4_PKT5_S5_PT6_21rocsparse_index_base_b
; %bb.0:
	s_clause 0x2
	s_load_dwordx2 s[8:9], s[4:5], 0x60
	s_load_dwordx4 s[0:3], s[4:5], 0x10
	s_load_dwordx2 s[10:11], s[4:5], 0x50
	s_waitcnt lgkmcnt(0)
	s_bitcmp1_b32 s9, 0
	v_mov_b32_e32 v3, s1
	v_mov_b32_e32 v2, s0
	s_cselect_b32 s7, -1, 0
	s_and_b32 vcc_lo, exec_lo, s7
	s_xor_b32 s7, s7, -1
	s_cbranch_vccnz .LBB49_2
; %bb.1:
	v_mov_b32_e32 v2, s1
	v_mov_b32_e32 v1, s0
	flat_load_dwordx2 v[2:3], v[1:2]
.LBB49_2:
	v_mov_b32_e32 v8, s10
	v_mov_b32_e32 v9, s11
	s_andn2_b32 vcc_lo, exec_lo, s7
	s_cbranch_vccnz .LBB49_4
; %bb.3:
	v_mov_b32_e32 v4, s10
	v_mov_b32_e32 v5, s11
	flat_load_dwordx2 v[8:9], v[4:5]
.LBB49_4:
	s_waitcnt vmcnt(0) lgkmcnt(0)
	v_cmp_neq_f64_e32 vcc_lo, 0, v[2:3]
	v_cmp_neq_f64_e64 s0, 1.0, v[8:9]
	s_or_b32 s0, vcc_lo, s0
	s_and_saveexec_b32 s1, s0
	s_cbranch_execz .LBB49_10
; %bb.5:
	s_load_dwordx2 s[0:1], s[4:5], 0x20
	v_lshrrev_b32_e32 v1, 6, v0
	v_mov_b32_e32 v7, 0
	v_lshl_or_b32 v6, s6, 1, v1
	s_waitcnt lgkmcnt(0)
	s_cmp_lg_u64 s[0:1], 0
	s_cbranch_scc0 .LBB49_11
; %bb.6:
	v_cmp_gt_i64_e32 vcc_lo, s[2:3], v[6:7]
	s_mov_b32 s3, 0
	s_mov_b32 s2, 0
                                        ; implicit-def: $vgpr10_vgpr11
                                        ; implicit-def: $vgpr4_vgpr5
	s_and_saveexec_b32 s6, vcc_lo
	s_xor_b32 s6, exec_lo, s6
	s_cbranch_execz .LBB49_8
; %bb.7:
	v_lshlrev_b64 v[4:5], 3, v[6:7]
	s_mov_b32 s9, 0
	s_mov_b32 s2, exec_lo
	v_add_co_u32 v4, vcc_lo, s0, v4
	v_add_co_ci_u32_e64 v5, null, s1, v5, vcc_lo
	global_load_dwordx2 v[4:5], v[4:5], off
	s_waitcnt vmcnt(0)
	v_sub_co_u32 v10, vcc_lo, v4, s8
	v_subrev_co_ci_u32_e64 v11, null, 0, v5, vcc_lo
	v_mov_b32_e32 v4, s8
	v_mov_b32_e32 v5, s9
.LBB49_8:
	s_or_b32 exec_lo, exec_lo, s6
	s_and_b32 vcc_lo, exec_lo, s3
	s_cbranch_vccnz .LBB49_12
.LBB49_9:
	s_and_b32 exec_lo, exec_lo, s2
	s_cbranch_execnz .LBB49_15
.LBB49_10:
	s_endpgm
.LBB49_11:
	s_mov_b32 s2, 0
                                        ; implicit-def: $vgpr10_vgpr11
                                        ; implicit-def: $vgpr4_vgpr5
	s_cbranch_execz .LBB49_9
.LBB49_12:
	s_load_dwordx2 s[0:1], s[4:5], 0x0
	s_waitcnt lgkmcnt(0)
	v_cmp_gt_i64_e32 vcc_lo, s[0:1], v[6:7]
	s_and_saveexec_b32 s0, vcc_lo
; %bb.13:
	s_mov_b32 s9, 0
	s_or_b32 s2, s2, exec_lo
; %bb.14:
	s_or_b32 exec_lo, exec_lo, s0
	v_mov_b32_e32 v4, s8
	v_mov_b32_e32 v11, v7
	;; [unrolled: 1-line block ×4, first 2 shown]
	s_and_b32 exec_lo, exec_lo, s2
	s_cbranch_execz .LBB49_10
.LBB49_15:
	s_load_dwordx8 s[8:15], s[4:5], 0x28
	v_lshlrev_b64 v[6:7], 3, v[10:11]
	v_and_b32_e32 v34, 63, v0
	s_clause 0x1
	s_load_dword s1, s[4:5], 0x8
	s_load_dwordx2 s[2:3], s[4:5], 0x48
	s_waitcnt lgkmcnt(0)
	v_add_co_u32 v12, vcc_lo, s8, v6
	v_add_co_ci_u32_e64 v13, null, s9, v7, vcc_lo
	v_add_co_u32 v1, vcc_lo, s10, v6
	v_add_co_ci_u32_e64 v6, null, s11, v7, vcc_lo
	v_add_co_u32 v14, vcc_lo, v12, 8
	global_load_dwordx2 v[22:23], v[12:13], off
	v_add_co_ci_u32_e64 v7, null, 0, v13, vcc_lo
	s_cmp_eq_u64 s[10:11], 0
	s_cselect_b32 vcc_lo, -1, 0
	s_cmp_eq_u32 s1, 1
	v_cndmask_b32_e32 v7, v6, v7, vcc_lo
	v_cndmask_b32_e32 v6, v1, v14, vcc_lo
	global_load_dwordx2 v[6:7], v[6:7], off
	s_waitcnt vmcnt(1)
	v_sub_co_u32 v0, vcc_lo, v22, v4
	v_sub_co_ci_u32_e64 v1, null, v23, v5, vcc_lo
	v_add_co_u32 v0, vcc_lo, v0, v34
	v_add_co_ci_u32_e64 v1, null, 0, v1, vcc_lo
	v_lshlrev_b64 v[12:13], 7, v[0:1]
	s_waitcnt vmcnt(0)
	v_sub_co_u32 v6, vcc_lo, v6, v4
	v_sub_co_ci_u32_e64 v7, null, v7, v5, vcc_lo
	v_add_co_u32 v12, vcc_lo, s14, v12
	v_cmp_lt_i64_e64 s0, v[0:1], v[6:7]
	v_add_co_ci_u32_e64 v13, null, s15, v13, vcc_lo
	s_cbranch_scc1 .LBB49_27
; %bb.16:
	v_mov_b32_e32 v14, 0
	v_mov_b32_e32 v16, 0
	;; [unrolled: 1-line block ×8, first 2 shown]
	s_and_saveexec_b32 s6, s0
	s_cbranch_execz .LBB49_26
; %bb.17:
	v_or_b32_e32 v14, 64, v34
	v_not_b32_e32 v17, v22
	v_sub_co_u32 v18, s1, v4, v34
	v_not_b32_e32 v16, v23
	v_sub_co_u32 v14, vcc_lo, v14, v4
	v_sub_co_ci_u32_e64 v15, null, 0, v5, vcc_lo
	v_subrev_co_ci_u32_e64 v19, null, 0, v5, s1
	v_add_co_u32 v14, vcc_lo, v14, v22
	v_add_co_ci_u32_e64 v15, null, v15, v23, vcc_lo
	v_mov_b32_e32 v25, 0
	v_mov_b32_e32 v20, 0
	;; [unrolled: 1-line block ×3, first 2 shown]
	v_cmp_gt_i64_e32 vcc_lo, v[14:15], v[6:7]
	v_mov_b32_e32 v21, 0
	v_mov_b32_e32 v26, v0
	v_cndmask_b32_e32 v15, v7, v15, vcc_lo
	v_cndmask_b32_e32 v14, v6, v14, vcc_lo
	v_add_co_u32 v17, vcc_lo, v18, v17
	v_add_co_ci_u32_e64 v16, null, v19, v16, vcc_lo
	v_mov_b32_e32 v18, 0
	v_add_co_u32 v28, vcc_lo, v17, v14
	v_add_co_ci_u32_e64 v29, null, v16, v15, vcc_lo
	v_mov_b32_e32 v16, 0
	v_and_b32_e32 v24, 0xc0, v28
	v_mov_b32_e32 v14, 0
	v_mov_b32_e32 v19, 0
	;; [unrolled: 1-line block ×4, first 2 shown]
	v_cmp_ne_u64_e32 vcc_lo, 0xc0, v[24:25]
	v_mov_b32_e32 v25, v13
	v_mov_b32_e32 v24, v12
	s_and_saveexec_b32 s7, vcc_lo
	s_cbranch_execz .LBB49_21
; %bb.18:
	v_lshrrev_b32_e32 v14, 6, v28
	v_lshlrev_b64 v[20:21], 3, v[0:1]
	v_mov_b32_e32 v25, v13
	v_mov_b32_e32 v16, 0
	;; [unrolled: 1-line block ×3, first 2 shown]
	v_add_nc_u32_e32 v26, 1, v14
	v_mov_b32_e32 v14, 0
	v_add_co_u32 v30, vcc_lo, s12, v20
	v_add_co_ci_u32_e64 v31, null, s13, v21, vcc_lo
	v_and_b32_e32 v26, 3, v26
	v_mov_b32_e32 v20, 0
	v_mov_b32_e32 v15, 0
	;; [unrolled: 1-line block ×4, first 2 shown]
	v_sub_co_u32 v32, s1, 0, v26
	v_mov_b32_e32 v27, v1
	v_mov_b32_e32 v19, 0
	v_sub_co_ci_u32_e64 v33, null, 0, 0, s1
	v_mov_b32_e32 v21, 0
	v_mov_b32_e32 v26, v0
	s_mov_b32 s8, 0
.LBB49_19:                              ; =>This Inner Loop Header: Depth=1
	global_load_dwordx2 v[63:64], v[30:31], off
	s_clause 0x6
	global_load_dwordx4 v[35:38], v[24:25], off offset:48
	global_load_dwordx4 v[39:42], v[24:25], off offset:32
	global_load_dwordx4 v[43:46], v[24:25], off offset:16
	global_load_dwordx4 v[47:50], v[24:25], off
	global_load_dwordx4 v[51:54], v[24:25], off offset:112
	global_load_dwordx4 v[55:58], v[24:25], off offset:96
	;; [unrolled: 1-line block ×3, first 2 shown]
	v_add_co_u32 v30, s1, 0x200, v30
	v_add_co_ci_u32_e64 v31, null, 0, v31, s1
	s_waitcnt vmcnt(7)
	v_sub_co_u32 v63, vcc_lo, v63, v4
	v_sub_co_ci_u32_e64 v64, null, v64, v5, vcc_lo
	v_lshlrev_b64 v[63:64], 5, v[63:64]
	v_add_co_u32 v71, vcc_lo, s2, v63
	v_add_co_ci_u32_e64 v72, null, s3, v64, vcc_lo
	global_load_dwordx4 v[63:66], v[24:25], off offset:64
	s_clause 0x1
	global_load_dwordx4 v[67:70], v[71:72], off
	global_load_dwordx4 v[71:74], v[71:72], off offset:16
	v_add_co_u32 v24, vcc_lo, 0x2000, v24
	v_add_co_ci_u32_e64 v25, null, 0, v25, vcc_lo
	v_add_co_u32 v32, vcc_lo, v32, 1
	v_add_co_ci_u32_e64 v33, null, 0, v33, vcc_lo
	;; [unrolled: 2-line block ×3, first 2 shown]
	v_cmp_eq_u64_e32 vcc_lo, 0, v[32:33]
	s_or_b32 s8, vcc_lo, s8
	s_waitcnt vmcnt(1)
	v_fma_f64 v[20:21], v[47:48], v[67:68], v[20:21]
	v_fma_f64 v[18:19], v[39:40], v[67:68], v[18:19]
	;; [unrolled: 1-line block ×8, first 2 shown]
	s_waitcnt vmcnt(0)
	v_fma_f64 v[20:21], v[43:44], v[71:72], v[20:21]
	v_fma_f64 v[18:19], v[35:36], v[71:72], v[18:19]
	;; [unrolled: 1-line block ×8, first 2 shown]
	s_andn2_b32 exec_lo, exec_lo, s8
	s_cbranch_execnz .LBB49_19
; %bb.20:
	s_or_b32 exec_lo, exec_lo, s8
.LBB49_21:
	s_or_b32 exec_lo, exec_lo, s7
	s_mov_b32 s7, exec_lo
	v_cmpx_lt_u64_e32 0xbf, v[28:29]
	s_cbranch_execz .LBB49_25
; %bb.22:
	v_lshlrev_b64 v[28:29], 3, v[26:27]
	s_mov_b32 s8, 0
	v_add_co_u32 v28, vcc_lo, s12, v28
	v_add_co_ci_u32_e64 v29, null, s13, v29, vcc_lo
	v_add_co_u32 v28, vcc_lo, 0x400, v28
	v_add_co_ci_u32_e64 v29, null, 0, v29, vcc_lo
.LBB49_23:                              ; =>This Inner Loop Header: Depth=1
	global_load_dwordx2 v[119:120], v[28:29], off offset:-1024
	s_clause 0x7
	global_load_dwordx4 v[30:33], v[24:25], off offset:48
	global_load_dwordx4 v[35:38], v[24:25], off offset:32
	;; [unrolled: 1-line block ×3, first 2 shown]
	global_load_dwordx4 v[43:46], v[24:25], off
	global_load_dwordx4 v[47:50], v[24:25], off offset:112
	global_load_dwordx4 v[51:54], v[24:25], off offset:96
	;; [unrolled: 1-line block ×4, first 2 shown]
	s_clause 0x2
	global_load_dwordx2 v[127:128], v[28:29], off offset:-512
	global_load_dwordx2 v[129:130], v[28:29], off
	global_load_dwordx2 v[131:132], v[28:29], off offset:512
	v_add_co_u32 v91, vcc_lo, 0x2000, v24
	v_add_co_ci_u32_e64 v92, null, 0, v25, vcc_lo
	v_add_co_u32 v133, vcc_lo, 0x4000, v24
	v_add_co_ci_u32_e64 v134, null, 0, v25, vcc_lo
	;; [unrolled: 2-line block ×3, first 2 shown]
	s_clause 0xd
	global_load_dwordx4 v[63:66], v[91:92], off offset:48
	global_load_dwordx4 v[67:70], v[91:92], off offset:32
	global_load_dwordx4 v[71:74], v[91:92], off
	global_load_dwordx4 v[75:78], v[91:92], off offset:16
	global_load_dwordx4 v[79:82], v[91:92], off offset:112
	;; [unrolled: 1-line block ×7, first 2 shown]
	global_load_dwordx4 v[103:106], v[133:134], off
	global_load_dwordx4 v[107:110], v[133:134], off offset:16
	global_load_dwordx4 v[111:114], v[133:134], off offset:112
	;; [unrolled: 1-line block ×3, first 2 shown]
	v_add_co_u32 v24, s1, 0x8000, v24
	v_add_co_ci_u32_e64 v25, null, 0, v25, s1
	s_waitcnt vmcnt(25)
	v_sub_co_u32 v119, vcc_lo, v119, v4
	v_sub_co_ci_u32_e64 v120, null, v120, v5, vcc_lo
	v_lshlrev_b64 v[119:120], 5, v[119:120]
	v_add_co_u32 v123, vcc_lo, s2, v119
	v_add_co_ci_u32_e64 v124, null, s3, v120, vcc_lo
	s_clause 0x1
	global_load_dwordx4 v[119:122], v[123:124], off
	global_load_dwordx4 v[123:126], v[123:124], off offset:16
	s_waitcnt vmcnt(1)
	v_fma_f64 v[14:15], v[51:52], v[119:120], v[14:15]
	v_sub_co_u32 v51, vcc_lo, v127, v4
	v_sub_co_ci_u32_e64 v52, null, v128, v5, vcc_lo
	v_fma_f64 v[16:17], v[59:60], v[119:120], v[16:17]
	v_fma_f64 v[20:21], v[43:44], v[119:120], v[20:21]
	;; [unrolled: 1-line block ×3, first 2 shown]
	v_lshlrev_b64 v[51:52], 5, v[51:52]
	v_add_co_u32 v59, vcc_lo, s2, v51
	v_add_co_ci_u32_e64 v60, null, s3, v52, vcc_lo
	v_fma_f64 v[119:120], v[53:54], v[121:122], v[14:15]
	global_load_dwordx4 v[51:54], v[59:60], off
	v_fma_f64 v[137:138], v[45:46], v[121:122], v[20:21]
	global_load_dwordx4 v[43:46], v[133:134], off offset:80
	v_fma_f64 v[139:140], v[37:38], v[121:122], v[18:19]
	global_load_dwordx4 v[18:21], v[133:134], off offset:64
	v_fma_f64 v[133:134], v[61:62], v[121:122], v[16:17]
	v_sub_co_u32 v61, vcc_lo, v129, v4
	v_sub_co_ci_u32_e64 v62, null, v130, v5, vcc_lo
	s_clause 0x1
	global_load_dwordx4 v[35:38], v[135:136], off
	global_load_dwordx4 v[14:17], v[135:136], off offset:48
	v_lshlrev_b64 v[61:62], 5, v[61:62]
	s_waitcnt vmcnt(5)
	v_fma_f64 v[47:48], v[47:48], v[123:124], v[119:120]
	v_add_co_u32 v129, vcc_lo, s2, v61
	v_add_co_ci_u32_e64 v130, null, s3, v62, vcc_lo
	v_fma_f64 v[39:40], v[39:40], v[123:124], v[137:138]
	v_fma_f64 v[30:31], v[30:31], v[123:124], v[139:140]
	v_fma_f64 v[55:56], v[55:56], v[123:124], v[133:134]
	v_sub_co_u32 v123, vcc_lo, v131, v4
	v_sub_co_ci_u32_e64 v124, null, v132, v5, vcc_lo
	v_lshlrev_b64 v[123:124], 5, v[123:124]
	v_fma_f64 v[139:140], v[49:50], v[125:126], v[47:48]
	v_fma_f64 v[127:128], v[41:42], v[125:126], v[39:40]
	global_load_dwordx4 v[39:42], v[135:136], off offset:32
	v_fma_f64 v[137:138], v[32:33], v[125:126], v[30:31]
	global_load_dwordx4 v[30:33], v[135:136], off offset:112
	v_fma_f64 v[133:134], v[57:58], v[125:126], v[55:56]
	s_clause 0x1
	global_load_dwordx4 v[55:58], v[129:130], off
	global_load_dwordx4 v[59:62], v[59:60], off offset:16
	s_clause 0x1
	global_load_dwordx4 v[47:50], v[135:136], off offset:96
	global_load_dwordx4 v[119:122], v[135:136], off offset:64
	s_waitcnt vmcnt(10)
	v_fma_f64 v[71:72], v[71:72], v[51:52], v[127:128]
	v_fma_f64 v[67:68], v[67:68], v[51:52], v[137:138]
	;; [unrolled: 1-line block ×5, first 2 shown]
	global_load_dwordx4 v[71:74], v[129:130], off offset:16
	v_add_co_u32 v129, vcc_lo, s2, v123
	v_add_co_ci_u32_e64 v130, null, s3, v124, vcc_lo
	v_fma_f64 v[131:132], v[69:70], v[53:54], v[67:68]
	v_fma_f64 v[133:134], v[93:94], v[53:54], v[91:92]
	;; [unrolled: 1-line block ×3, first 2 shown]
	global_load_dwordx4 v[67:70], v[129:130], off
	s_clause 0x1
	global_load_dwordx4 v[91:94], v[135:136], off offset:80
	global_load_dwordx4 v[123:126], v[135:136], off offset:16
	;; [unrolled: 1-line block ×3, first 2 shown]
	v_add_co_u32 v26, vcc_lo, 0x100, v26
	v_add_co_ci_u32_e64 v27, null, 0, v27, vcc_lo
	v_add_co_u32 v28, vcc_lo, 0x800, v28
	v_add_co_ci_u32_e64 v29, null, 0, v29, vcc_lo
	v_cmp_ge_i64_e32 vcc_lo, v[26:27], v[6:7]
	s_or_b32 s8, vcc_lo, s8
	s_waitcnt vmcnt(7)
	v_fma_f64 v[75:76], v[75:76], v[59:60], v[127:128]
	v_fma_f64 v[63:64], v[63:64], v[59:60], v[131:132]
	;; [unrolled: 1-line block ×16, first 2 shown]
	s_waitcnt vmcnt(4)
	v_fma_f64 v[55:56], v[107:108], v[71:72], v[59:60]
	v_fma_f64 v[57:58], v[95:96], v[71:72], v[61:62]
	v_fma_f64 v[18:19], v[43:44], v[71:72], v[18:19]
	v_fma_f64 v[20:21], v[111:112], v[71:72], v[20:21]
	v_fma_f64 v[43:44], v[109:110], v[73:74], v[55:56]
	v_fma_f64 v[55:56], v[97:98], v[73:74], v[57:58]
	v_fma_f64 v[18:19], v[45:46], v[73:74], v[18:19]
	v_fma_f64 v[20:21], v[113:114], v[73:74], v[20:21]
	s_waitcnt vmcnt(3)
	v_fma_f64 v[35:36], v[35:36], v[67:68], v[43:44]
	v_fma_f64 v[39:40], v[39:40], v[67:68], v[55:56]
	v_fma_f64 v[18:19], v[119:120], v[67:68], v[18:19]
	v_fma_f64 v[20:21], v[47:48], v[67:68], v[20:21]
	v_fma_f64 v[35:36], v[37:38], v[69:70], v[35:36]
	v_fma_f64 v[37:38], v[41:42], v[69:70], v[39:40]
	v_fma_f64 v[18:19], v[121:122], v[69:70], v[18:19]
	v_fma_f64 v[20:21], v[49:50], v[69:70], v[20:21]
	;; [unrolled: 9-line block ×3, first 2 shown]
	s_andn2_b32 exec_lo, exec_lo, s8
	s_cbranch_execnz .LBB49_23
; %bb.24:
	s_or_b32 exec_lo, exec_lo, s8
.LBB49_25:
	s_or_b32 exec_lo, exec_lo, s7
.LBB49_26:
	s_or_b32 exec_lo, exec_lo, s6
	s_cbranch_execz .LBB49_28
	s_branch .LBB49_39
.LBB49_27:
                                        ; implicit-def: $vgpr14_vgpr15
                                        ; implicit-def: $vgpr16_vgpr17
                                        ; implicit-def: $vgpr18_vgpr19
                                        ; implicit-def: $vgpr20_vgpr21
.LBB49_28:
	v_mov_b32_e32 v14, 0
	v_mov_b32_e32 v16, 0
	;; [unrolled: 1-line block ×8, first 2 shown]
	s_and_saveexec_b32 s1, s0
	s_cbranch_execz .LBB49_38
; %bb.29:
	v_or_b32_e32 v14, 64, v34
	v_not_b32_e32 v17, v22
	v_sub_co_u32 v18, s0, v4, v34
	v_not_b32_e32 v16, v23
	v_sub_co_u32 v14, vcc_lo, v14, v4
	v_sub_co_ci_u32_e64 v15, null, 0, v5, vcc_lo
	v_subrev_co_ci_u32_e64 v19, null, 0, v5, s0
	v_add_co_u32 v14, vcc_lo, v14, v22
	v_add_co_ci_u32_e64 v15, null, v15, v23, vcc_lo
	v_cmp_gt_i64_e32 vcc_lo, v[14:15], v[6:7]
	v_cndmask_b32_e32 v20, v7, v15, vcc_lo
	v_cndmask_b32_e32 v14, v6, v14, vcc_lo
	v_add_co_u32 v15, vcc_lo, v18, v17
	v_add_co_ci_u32_e64 v16, null, v19, v16, vcc_lo
	v_mov_b32_e32 v18, 0
	v_add_co_u32 v22, vcc_lo, v15, v14
	v_mov_b32_e32 v15, 0
	v_add_co_ci_u32_e64 v23, null, v16, v20, vcc_lo
	v_and_b32_e32 v14, 0xc0, v22
	v_mov_b32_e32 v20, 0
	v_mov_b32_e32 v16, 0
	;; [unrolled: 1-line block ×4, first 2 shown]
	v_cmp_ne_u64_e32 vcc_lo, 0xc0, v[14:15]
	v_mov_b32_e32 v14, 0
	v_mov_b32_e32 v17, 0
	;; [unrolled: 1-line block ×3, first 2 shown]
	s_and_saveexec_b32 s6, vcc_lo
	s_cbranch_execz .LBB49_33
; %bb.30:
	v_lshrrev_b32_e32 v14, 6, v22
	v_lshlrev_b64 v[24:25], 3, v[0:1]
	v_mov_b32_e32 v16, 0
	v_mov_b32_e32 v18, 0
	;; [unrolled: 1-line block ×3, first 2 shown]
	v_add_nc_u32_e32 v26, 1, v14
	v_mov_b32_e32 v14, 0
	v_add_co_u32 v24, vcc_lo, s12, v24
	v_mov_b32_e32 v15, 0
	v_and_b32_e32 v26, 3, v26
	v_mov_b32_e32 v17, 0
	v_mov_b32_e32 v19, 0
	;; [unrolled: 1-line block ×3, first 2 shown]
	v_add_co_ci_u32_e64 v25, null, s13, v25, vcc_lo
	v_sub_co_u32 v26, s0, 0, v26
	v_sub_co_ci_u32_e64 v27, null, 0, 0, s0
	s_mov_b32 s7, 0
.LBB49_31:                              ; =>This Inner Loop Header: Depth=1
	global_load_dwordx2 v[32:33], v[24:25], off
	global_load_dwordx4 v[28:31], v[12:13], off offset:16
	v_add_co_u32 v24, s0, 0x200, v24
	v_add_co_ci_u32_e64 v25, null, 0, v25, s0
	s_waitcnt vmcnt(1)
	v_sub_co_u32 v32, vcc_lo, v32, v4
	v_sub_co_ci_u32_e64 v33, null, v33, v5, vcc_lo
	v_lshlrev_b64 v[32:33], 5, v[32:33]
	v_add_co_u32 v32, vcc_lo, s2, v32
	v_add_co_ci_u32_e64 v33, null, s3, v33, vcc_lo
	global_load_dwordx4 v[35:38], v[12:13], off
	s_clause 0x1
	global_load_dwordx4 v[39:42], v[32:33], off
	global_load_dwordx4 v[43:46], v[32:33], off offset:16
	s_clause 0x5
	global_load_dwordx4 v[47:50], v[12:13], off offset:32
	global_load_dwordx4 v[51:54], v[12:13], off offset:48
	;; [unrolled: 1-line block ×6, first 2 shown]
	v_add_co_u32 v12, vcc_lo, 0x2000, v12
	v_add_co_ci_u32_e64 v13, null, 0, v13, vcc_lo
	v_add_co_u32 v26, vcc_lo, v26, 1
	v_add_co_ci_u32_e64 v27, null, 0, v27, vcc_lo
	;; [unrolled: 2-line block ×3, first 2 shown]
	v_cmp_eq_u64_e32 vcc_lo, 0, v[26:27]
	s_or_b32 s7, vcc_lo, s7
	s_waitcnt vmcnt(7)
	v_fma_f64 v[20:21], v[35:36], v[39:40], v[20:21]
	v_fma_f64 v[18:19], v[37:38], v[39:40], v[18:19]
	;; [unrolled: 1-line block ×4, first 2 shown]
	s_waitcnt vmcnt(5)
	v_fma_f64 v[20:21], v[47:48], v[41:42], v[20:21]
	v_fma_f64 v[18:19], v[49:50], v[41:42], v[18:19]
	s_waitcnt vmcnt(4)
	v_fma_f64 v[16:17], v[51:52], v[41:42], v[16:17]
	v_fma_f64 v[14:15], v[53:54], v[41:42], v[14:15]
	;; [unrolled: 3-line block ×6, first 2 shown]
	s_andn2_b32 exec_lo, exec_lo, s7
	s_cbranch_execnz .LBB49_31
; %bb.32:
	s_or_b32 exec_lo, exec_lo, s7
.LBB49_33:
	s_or_b32 exec_lo, exec_lo, s6
	s_mov_b32 s6, exec_lo
	v_cmpx_lt_u64_e32 0xbf, v[22:23]
	s_cbranch_execz .LBB49_37
; %bb.34:
	v_lshlrev_b64 v[22:23], 3, v[0:1]
	s_mov_b32 s7, 0
	v_add_co_u32 v22, vcc_lo, s12, v22
	v_add_co_ci_u32_e64 v23, null, s13, v23, vcc_lo
	v_add_co_u32 v22, vcc_lo, 0x400, v22
	v_add_co_ci_u32_e64 v23, null, 0, v23, vcc_lo
.LBB49_35:                              ; =>This Inner Loop Header: Depth=1
	s_clause 0x2
	global_load_dwordx2 v[32:33], v[22:23], off offset:-1024
	global_load_dwordx2 v[91:92], v[22:23], off offset:-512
	global_load_dwordx2 v[106:107], v[22:23], off
	s_clause 0x7
	global_load_dwordx4 v[24:27], v[12:13], off offset:48
	global_load_dwordx4 v[28:31], v[12:13], off offset:32
	global_load_dwordx4 v[35:38], v[12:13], off offset:16
	global_load_dwordx4 v[39:42], v[12:13], off
	global_load_dwordx4 v[43:46], v[12:13], off offset:112
	global_load_dwordx4 v[47:50], v[12:13], off offset:96
	;; [unrolled: 1-line block ×4, first 2 shown]
	v_add_co_u32 v87, vcc_lo, 0x2000, v12
	v_add_co_ci_u32_e64 v88, null, 0, v13, vcc_lo
	v_add_co_u32 v111, vcc_lo, 0x4000, v12
	v_add_co_ci_u32_e64 v112, null, 0, v13, vcc_lo
	global_load_dwordx2 v[113:114], v[22:23], off offset:512
	s_clause 0x7
	global_load_dwordx4 v[59:62], v[87:88], off offset:48
	global_load_dwordx4 v[63:66], v[87:88], off offset:32
	global_load_dwordx4 v[67:70], v[87:88], off
	global_load_dwordx4 v[71:74], v[87:88], off offset:16
	global_load_dwordx4 v[75:78], v[87:88], off offset:112
	;; [unrolled: 1-line block ×5, first 2 shown]
	s_waitcnt vmcnt(19)
	v_sub_co_u32 v32, vcc_lo, v32, v4
	v_sub_co_ci_u32_e64 v33, null, v33, v5, vcc_lo
	s_waitcnt vmcnt(18)
	v_sub_co_u32 v91, vcc_lo, v91, v4
	v_sub_co_ci_u32_e64 v92, null, v92, v5, vcc_lo
	v_lshlrev_b64 v[32:33], 5, v[32:33]
	s_waitcnt vmcnt(17)
	v_sub_co_u32 v108, vcc_lo, v106, v4
	v_lshlrev_b64 v[91:92], 5, v[91:92]
	v_sub_co_ci_u32_e64 v109, null, v107, v5, vcc_lo
	v_add_co_u32 v32, s0, s2, v32
	v_add_co_ci_u32_e64 v33, null, s3, v33, s0
	v_add_co_u32 v103, s0, s2, v91
	v_add_co_ci_u32_e64 v104, null, s3, v92, s0
	s_clause 0x3
	global_load_dwordx4 v[91:94], v[32:33], off
	global_load_dwordx4 v[95:98], v[32:33], off offset:16
	global_load_dwordx4 v[99:102], v[103:104], off
	global_load_dwordx4 v[103:106], v[103:104], off offset:16
	v_lshlrev_b64 v[32:33], 5, v[108:109]
	global_load_dwordx4 v[107:110], v[111:112], off
	v_add_co_u32 v32, vcc_lo, s2, v32
	v_add_co_ci_u32_e64 v33, null, s3, v33, vcc_lo
	v_add_co_u32 v115, vcc_lo, 0x6000, v12
	v_add_co_ci_u32_e64 v116, null, 0, v13, vcc_lo
	v_add_co_u32 v12, s0, 0x8000, v12
	v_add_co_ci_u32_e64 v13, null, 0, v13, s0
	s_waitcnt vmcnt(4)
	v_fma_f64 v[39:40], v[39:40], v[91:92], v[20:21]
	v_fma_f64 v[41:42], v[41:42], v[91:92], v[18:19]
	global_load_dwordx4 v[18:21], v[111:112], off offset:16
	v_fma_f64 v[35:36], v[35:36], v[91:92], v[16:17]
	v_fma_f64 v[37:38], v[37:38], v[91:92], v[14:15]
	global_load_dwordx4 v[14:17], v[32:33], off
	v_fma_f64 v[39:40], v[28:29], v[93:94], v[39:40]
	v_fma_f64 v[41:42], v[30:31], v[93:94], v[41:42]
	;; [unrolled: 1-line block ×4, first 2 shown]
	s_clause 0x2
	global_load_dwordx4 v[24:27], v[111:112], off offset:48
	global_load_dwordx4 v[28:31], v[111:112], off offset:32
	;; [unrolled: 1-line block ×3, first 2 shown]
	s_waitcnt vmcnt(8)
	v_fma_f64 v[55:56], v[55:56], v[95:96], v[39:40]
	v_fma_f64 v[57:58], v[57:58], v[95:96], v[41:42]
	;; [unrolled: 1-line block ×4, first 2 shown]
	global_load_dwordx4 v[39:42], v[111:112], off offset:80
	global_load_dwordx4 v[51:54], v[32:33], off offset:16
	v_fma_f64 v[32:33], v[47:48], v[97:98], v[55:56]
	v_fma_f64 v[95:96], v[49:50], v[97:98], v[57:58]
	global_load_dwordx4 v[47:50], v[111:112], off offset:112
	v_fma_f64 v[91:92], v[43:44], v[97:98], v[91:92]
	v_fma_f64 v[93:94], v[45:46], v[97:98], v[93:94]
	s_clause 0x1
	global_load_dwordx4 v[43:46], v[111:112], off offset:96
	global_load_dwordx4 v[55:58], v[115:116], off
	v_sub_co_u32 v97, vcc_lo, v113, v4
	v_sub_co_ci_u32_e64 v98, null, v114, v5, vcc_lo
	v_lshlrev_b64 v[97:98], 5, v[97:98]
	v_add_co_u32 v97, vcc_lo, s2, v97
	v_add_co_ci_u32_e64 v98, null, s3, v98, vcc_lo
	s_waitcnt vmcnt(12)
	v_fma_f64 v[32:33], v[67:68], v[99:100], v[32:33]
	v_fma_f64 v[95:96], v[69:70], v[99:100], v[95:96]
	global_load_dwordx4 v[67:70], v[115:116], off offset:16
	v_fma_f64 v[91:92], v[71:72], v[99:100], v[91:92]
	v_fma_f64 v[93:94], v[73:74], v[99:100], v[93:94]
	global_load_dwordx4 v[71:74], v[97:98], off
	v_add_co_u32 v0, vcc_lo, 0x100, v0
	v_add_co_ci_u32_e64 v1, null, 0, v1, vcc_lo
	v_add_co_u32 v22, vcc_lo, 0x800, v22
	v_add_co_ci_u32_e64 v23, null, 0, v23, vcc_lo
	v_cmp_ge_i64_e32 vcc_lo, v[0:1], v[6:7]
	s_or_b32 s7, vcc_lo, s7
	v_fma_f64 v[32:33], v[63:64], v[101:102], v[32:33]
	v_fma_f64 v[95:96], v[65:66], v[101:102], v[95:96]
	global_load_dwordx4 v[63:66], v[115:116], off offset:32
	v_fma_f64 v[99:100], v[59:60], v[101:102], v[91:92]
	v_fma_f64 v[101:102], v[61:62], v[101:102], v[93:94]
	s_clause 0x1
	global_load_dwordx4 v[59:62], v[115:116], off offset:48
	global_load_dwordx4 v[91:94], v[115:116], off offset:64
	s_waitcnt vmcnt(16)
	v_fma_f64 v[32:33], v[87:88], v[103:104], v[32:33]
	v_fma_f64 v[111:112], v[89:90], v[103:104], v[95:96]
	global_load_dwordx4 v[87:90], v[115:116], off offset:80
	global_load_dwordx4 v[95:98], v[97:98], off offset:16
	v_fma_f64 v[99:100], v[83:84], v[103:104], v[99:100]
	v_fma_f64 v[101:102], v[85:86], v[103:104], v[101:102]
	global_load_dwordx4 v[83:86], v[115:116], off offset:96
	v_fma_f64 v[32:33], v[79:80], v[105:106], v[32:33]
	v_fma_f64 v[103:104], v[81:82], v[105:106], v[111:112]
	;; [unrolled: 3-line block ×3, first 2 shown]
	s_waitcnt vmcnt(17)
	v_fma_f64 v[32:33], v[107:108], v[14:15], v[32:33]
	v_fma_f64 v[99:100], v[109:110], v[14:15], v[103:104]
	v_fma_f64 v[18:19], v[18:19], v[14:15], v[75:76]
	v_fma_f64 v[14:15], v[20:21], v[14:15], v[77:78]
	s_waitcnt vmcnt(15)
	v_fma_f64 v[20:21], v[28:29], v[16:17], v[32:33]
	v_fma_f64 v[28:29], v[30:31], v[16:17], v[99:100]
	v_fma_f64 v[18:19], v[24:25], v[16:17], v[18:19]
	v_fma_f64 v[14:15], v[26:27], v[16:17], v[14:15]
	;; [unrolled: 5-line block ×5, first 2 shown]
	s_waitcnt vmcnt(6)
	v_fma_f64 v[16:17], v[63:64], v[73:74], v[16:17]
	v_fma_f64 v[20:21], v[65:66], v[73:74], v[20:21]
	s_waitcnt vmcnt(5)
	v_fma_f64 v[18:19], v[59:60], v[73:74], v[18:19]
	v_fma_f64 v[14:15], v[61:62], v[73:74], v[14:15]
	;; [unrolled: 3-line block ×3, first 2 shown]
	v_fma_f64 v[26:27], v[87:88], v[95:96], v[18:19]
	v_fma_f64 v[14:15], v[89:90], v[95:96], v[14:15]
	s_waitcnt vmcnt(1)
	v_fma_f64 v[20:21], v[83:84], v[97:98], v[16:17]
	v_fma_f64 v[18:19], v[85:86], v[97:98], v[24:25]
	s_waitcnt vmcnt(0)
	v_fma_f64 v[16:17], v[79:80], v[97:98], v[26:27]
	v_fma_f64 v[14:15], v[81:82], v[97:98], v[14:15]
	s_andn2_b32 exec_lo, exec_lo, s7
	s_cbranch_execnz .LBB49_35
; %bb.36:
	s_or_b32 exec_lo, exec_lo, s7
.LBB49_37:
	s_or_b32 exec_lo, exec_lo, s6
.LBB49_38:
	s_or_b32 exec_lo, exec_lo, s1
.LBB49_39:
	v_mbcnt_lo_u32_b32 v24, -1, 0
	v_or_b32_e32 v0, 32, v24
	v_cmp_gt_i32_e32 vcc_lo, 32, v0
	v_cndmask_b32_e32 v0, v24, v0, vcc_lo
	v_lshlrev_b32_e32 v13, 2, v0
	ds_bpermute_b32 v0, v13, v20
	ds_bpermute_b32 v1, v13, v21
	;; [unrolled: 1-line block ×8, first 2 shown]
	s_waitcnt lgkmcnt(6)
	v_add_f64 v[0:1], v[20:21], v[0:1]
	s_waitcnt lgkmcnt(4)
	v_add_f64 v[4:5], v[18:19], v[4:5]
	;; [unrolled: 2-line block ×3, first 2 shown]
	v_xor_b32_e32 v16, 16, v24
	s_waitcnt lgkmcnt(0)
	v_add_f64 v[12:13], v[14:15], v[12:13]
	v_cmp_gt_i32_e32 vcc_lo, 32, v16
	v_cndmask_b32_e32 v14, v24, v16, vcc_lo
	v_lshlrev_b32_e32 v21, 2, v14
	ds_bpermute_b32 v14, v21, v0
	ds_bpermute_b32 v15, v21, v1
	;; [unrolled: 1-line block ×8, first 2 shown]
	s_waitcnt lgkmcnt(6)
	v_add_f64 v[0:1], v[0:1], v[14:15]
	v_xor_b32_e32 v14, 8, v24
	s_waitcnt lgkmcnt(4)
	v_add_f64 v[4:5], v[4:5], v[16:17]
	s_waitcnt lgkmcnt(2)
	v_add_f64 v[6:7], v[6:7], v[18:19]
	;; [unrolled: 2-line block ×3, first 2 shown]
	v_cmp_gt_i32_e32 vcc_lo, 32, v14
	v_cndmask_b32_e32 v14, v24, v14, vcc_lo
	v_lshlrev_b32_e32 v21, 2, v14
	ds_bpermute_b32 v14, v21, v0
	ds_bpermute_b32 v15, v21, v1
	;; [unrolled: 1-line block ×8, first 2 shown]
	s_waitcnt lgkmcnt(6)
	v_add_f64 v[0:1], v[0:1], v[14:15]
	v_xor_b32_e32 v14, 4, v24
	s_waitcnt lgkmcnt(4)
	v_add_f64 v[4:5], v[4:5], v[16:17]
	s_waitcnt lgkmcnt(2)
	v_add_f64 v[6:7], v[6:7], v[18:19]
	;; [unrolled: 2-line block ×3, first 2 shown]
	v_cmp_gt_i32_e32 vcc_lo, 32, v14
	v_cndmask_b32_e32 v14, v24, v14, vcc_lo
	v_lshlrev_b32_e32 v21, 2, v14
	ds_bpermute_b32 v14, v21, v0
	ds_bpermute_b32 v15, v21, v1
	;; [unrolled: 1-line block ×8, first 2 shown]
	s_waitcnt lgkmcnt(6)
	v_add_f64 v[0:1], v[0:1], v[14:15]
	s_waitcnt lgkmcnt(4)
	v_add_f64 v[4:5], v[4:5], v[16:17]
	;; [unrolled: 2-line block ×3, first 2 shown]
	v_xor_b32_e32 v6, 2, v24
	s_waitcnt lgkmcnt(0)
	v_add_f64 v[16:17], v[12:13], v[20:21]
	v_cmp_gt_i32_e32 vcc_lo, 32, v6
	v_cndmask_b32_e32 v6, v24, v6, vcc_lo
	v_lshlrev_b32_e32 v12, 2, v6
	ds_bpermute_b32 v6, v12, v0
	ds_bpermute_b32 v7, v12, v1
	;; [unrolled: 1-line block ×8, first 2 shown]
	s_waitcnt lgkmcnt(6)
	v_add_f64 v[12:13], v[0:1], v[6:7]
	s_waitcnt lgkmcnt(4)
	v_add_f64 v[6:7], v[4:5], v[18:19]
	;; [unrolled: 2-line block ×3, first 2 shown]
	v_xor_b32_e32 v14, 1, v24
	s_waitcnt lgkmcnt(0)
	v_add_f64 v[4:5], v[16:17], v[22:23]
	v_cmp_gt_i32_e32 vcc_lo, 32, v14
	v_cndmask_b32_e32 v14, v24, v14, vcc_lo
	v_cmp_eq_u32_e32 vcc_lo, 63, v34
	v_lshlrev_b32_e32 v15, 2, v14
	ds_bpermute_b32 v20, v15, v12
	ds_bpermute_b32 v21, v15, v13
	;; [unrolled: 1-line block ×8, first 2 shown]
	s_and_b32 exec_lo, exec_lo, vcc_lo
	s_cbranch_execz .LBB49_10
; %bb.40:
	s_waitcnt lgkmcnt(6)
	v_add_f64 v[12:13], v[12:13], v[20:21]
	s_waitcnt lgkmcnt(4)
	v_add_f64 v[6:7], v[6:7], v[18:19]
	;; [unrolled: 2-line block ×4, first 2 shown]
	s_load_dwordx2 s[0:1], s[4:5], 0x58
	v_lshlrev_b64 v[10:11], 5, v[10:11]
	s_mov_b32 s2, exec_lo
	v_mul_f64 v[4:5], v[2:3], v[12:13]
	v_mul_f64 v[6:7], v[2:3], v[6:7]
	;; [unrolled: 1-line block ×4, first 2 shown]
	v_cmpx_eq_f64_e32 0, v[8:9]
	s_xor_b32 s2, exec_lo, s2
	s_cbranch_execz .LBB49_42
; %bb.41:
	s_waitcnt lgkmcnt(0)
	v_add_co_u32 v8, vcc_lo, s0, v10
	v_add_co_ci_u32_e64 v9, null, s1, v11, vcc_lo
                                        ; implicit-def: $vgpr10_vgpr11
	global_store_dwordx4 v[8:9], v[4:7], off
	global_store_dwordx4 v[8:9], v[0:3], off offset:16
                                        ; implicit-def: $vgpr8_vgpr9
                                        ; implicit-def: $vgpr4_vgpr5
                                        ; implicit-def: $vgpr0_vgpr1
.LBB49_42:
	s_andn2_saveexec_b32 s2, s2
	s_cbranch_execz .LBB49_10
; %bb.43:
	s_waitcnt lgkmcnt(0)
	v_add_co_u32 v18, vcc_lo, s0, v10
	v_add_co_ci_u32_e64 v19, null, s1, v11, vcc_lo
	s_clause 0x1
	global_load_dwordx4 v[10:13], v[18:19], off
	global_load_dwordx4 v[14:17], v[18:19], off offset:16
	s_waitcnt vmcnt(1)
	v_fma_f64 v[4:5], v[8:9], v[10:11], v[4:5]
	v_fma_f64 v[6:7], v[8:9], v[12:13], v[6:7]
	s_waitcnt vmcnt(0)
	v_fma_f64 v[0:1], v[8:9], v[14:15], v[0:1]
	v_fma_f64 v[2:3], v[8:9], v[16:17], v[2:3]
	global_store_dwordx4 v[18:19], v[4:7], off
	global_store_dwordx4 v[18:19], v[0:3], off offset:16
	s_endpgm
	.section	.rodata,"a",@progbits
	.p2align	6, 0x0
	.amdhsa_kernel _ZN9rocsparseL18bsrxmvn_4x4_kernelILj128ELj64EdlldddEEvT3_20rocsparse_direction_NS_24const_host_device_scalarIT1_EES1_PKS1_PKT2_SA_S7_PKT4_PKT5_S5_PT6_21rocsparse_index_base_b
		.amdhsa_group_segment_fixed_size 0
		.amdhsa_private_segment_fixed_size 0
		.amdhsa_kernarg_size 104
		.amdhsa_user_sgpr_count 6
		.amdhsa_user_sgpr_private_segment_buffer 1
		.amdhsa_user_sgpr_dispatch_ptr 0
		.amdhsa_user_sgpr_queue_ptr 0
		.amdhsa_user_sgpr_kernarg_segment_ptr 1
		.amdhsa_user_sgpr_dispatch_id 0
		.amdhsa_user_sgpr_flat_scratch_init 0
		.amdhsa_user_sgpr_private_segment_size 0
		.amdhsa_wavefront_size32 1
		.amdhsa_uses_dynamic_stack 0
		.amdhsa_system_sgpr_private_segment_wavefront_offset 0
		.amdhsa_system_sgpr_workgroup_id_x 1
		.amdhsa_system_sgpr_workgroup_id_y 0
		.amdhsa_system_sgpr_workgroup_id_z 0
		.amdhsa_system_sgpr_workgroup_info 0
		.amdhsa_system_vgpr_workitem_id 0
		.amdhsa_next_free_vgpr 141
		.amdhsa_next_free_sgpr 16
		.amdhsa_reserve_vcc 1
		.amdhsa_reserve_flat_scratch 0
		.amdhsa_float_round_mode_32 0
		.amdhsa_float_round_mode_16_64 0
		.amdhsa_float_denorm_mode_32 3
		.amdhsa_float_denorm_mode_16_64 3
		.amdhsa_dx10_clamp 1
		.amdhsa_ieee_mode 1
		.amdhsa_fp16_overflow 0
		.amdhsa_workgroup_processor_mode 1
		.amdhsa_memory_ordered 1
		.amdhsa_forward_progress 1
		.amdhsa_shared_vgpr_count 0
		.amdhsa_exception_fp_ieee_invalid_op 0
		.amdhsa_exception_fp_denorm_src 0
		.amdhsa_exception_fp_ieee_div_zero 0
		.amdhsa_exception_fp_ieee_overflow 0
		.amdhsa_exception_fp_ieee_underflow 0
		.amdhsa_exception_fp_ieee_inexact 0
		.amdhsa_exception_int_div_zero 0
	.end_amdhsa_kernel
	.section	.text._ZN9rocsparseL18bsrxmvn_4x4_kernelILj128ELj64EdlldddEEvT3_20rocsparse_direction_NS_24const_host_device_scalarIT1_EES1_PKS1_PKT2_SA_S7_PKT4_PKT5_S5_PT6_21rocsparse_index_base_b,"axG",@progbits,_ZN9rocsparseL18bsrxmvn_4x4_kernelILj128ELj64EdlldddEEvT3_20rocsparse_direction_NS_24const_host_device_scalarIT1_EES1_PKS1_PKT2_SA_S7_PKT4_PKT5_S5_PT6_21rocsparse_index_base_b,comdat
.Lfunc_end49:
	.size	_ZN9rocsparseL18bsrxmvn_4x4_kernelILj128ELj64EdlldddEEvT3_20rocsparse_direction_NS_24const_host_device_scalarIT1_EES1_PKS1_PKT2_SA_S7_PKT4_PKT5_S5_PT6_21rocsparse_index_base_b, .Lfunc_end49-_ZN9rocsparseL18bsrxmvn_4x4_kernelILj128ELj64EdlldddEEvT3_20rocsparse_direction_NS_24const_host_device_scalarIT1_EES1_PKS1_PKT2_SA_S7_PKT4_PKT5_S5_PT6_21rocsparse_index_base_b
                                        ; -- End function
	.set _ZN9rocsparseL18bsrxmvn_4x4_kernelILj128ELj64EdlldddEEvT3_20rocsparse_direction_NS_24const_host_device_scalarIT1_EES1_PKS1_PKT2_SA_S7_PKT4_PKT5_S5_PT6_21rocsparse_index_base_b.num_vgpr, 141
	.set _ZN9rocsparseL18bsrxmvn_4x4_kernelILj128ELj64EdlldddEEvT3_20rocsparse_direction_NS_24const_host_device_scalarIT1_EES1_PKS1_PKT2_SA_S7_PKT4_PKT5_S5_PT6_21rocsparse_index_base_b.num_agpr, 0
	.set _ZN9rocsparseL18bsrxmvn_4x4_kernelILj128ELj64EdlldddEEvT3_20rocsparse_direction_NS_24const_host_device_scalarIT1_EES1_PKS1_PKT2_SA_S7_PKT4_PKT5_S5_PT6_21rocsparse_index_base_b.numbered_sgpr, 16
	.set _ZN9rocsparseL18bsrxmvn_4x4_kernelILj128ELj64EdlldddEEvT3_20rocsparse_direction_NS_24const_host_device_scalarIT1_EES1_PKS1_PKT2_SA_S7_PKT4_PKT5_S5_PT6_21rocsparse_index_base_b.num_named_barrier, 0
	.set _ZN9rocsparseL18bsrxmvn_4x4_kernelILj128ELj64EdlldddEEvT3_20rocsparse_direction_NS_24const_host_device_scalarIT1_EES1_PKS1_PKT2_SA_S7_PKT4_PKT5_S5_PT6_21rocsparse_index_base_b.private_seg_size, 0
	.set _ZN9rocsparseL18bsrxmvn_4x4_kernelILj128ELj64EdlldddEEvT3_20rocsparse_direction_NS_24const_host_device_scalarIT1_EES1_PKS1_PKT2_SA_S7_PKT4_PKT5_S5_PT6_21rocsparse_index_base_b.uses_vcc, 1
	.set _ZN9rocsparseL18bsrxmvn_4x4_kernelILj128ELj64EdlldddEEvT3_20rocsparse_direction_NS_24const_host_device_scalarIT1_EES1_PKS1_PKT2_SA_S7_PKT4_PKT5_S5_PT6_21rocsparse_index_base_b.uses_flat_scratch, 0
	.set _ZN9rocsparseL18bsrxmvn_4x4_kernelILj128ELj64EdlldddEEvT3_20rocsparse_direction_NS_24const_host_device_scalarIT1_EES1_PKS1_PKT2_SA_S7_PKT4_PKT5_S5_PT6_21rocsparse_index_base_b.has_dyn_sized_stack, 0
	.set _ZN9rocsparseL18bsrxmvn_4x4_kernelILj128ELj64EdlldddEEvT3_20rocsparse_direction_NS_24const_host_device_scalarIT1_EES1_PKS1_PKT2_SA_S7_PKT4_PKT5_S5_PT6_21rocsparse_index_base_b.has_recursion, 0
	.set _ZN9rocsparseL18bsrxmvn_4x4_kernelILj128ELj64EdlldddEEvT3_20rocsparse_direction_NS_24const_host_device_scalarIT1_EES1_PKS1_PKT2_SA_S7_PKT4_PKT5_S5_PT6_21rocsparse_index_base_b.has_indirect_call, 0
	.section	.AMDGPU.csdata,"",@progbits
; Kernel info:
; codeLenInByte = 5588
; TotalNumSgprs: 18
; NumVgprs: 141
; ScratchSize: 0
; MemoryBound: 1
; FloatMode: 240
; IeeeMode: 1
; LDSByteSize: 0 bytes/workgroup (compile time only)
; SGPRBlocks: 0
; VGPRBlocks: 17
; NumSGPRsForWavesPerEU: 18
; NumVGPRsForWavesPerEU: 141
; Occupancy: 7
; WaveLimiterHint : 1
; COMPUTE_PGM_RSRC2:SCRATCH_EN: 0
; COMPUTE_PGM_RSRC2:USER_SGPR: 6
; COMPUTE_PGM_RSRC2:TRAP_HANDLER: 0
; COMPUTE_PGM_RSRC2:TGID_X_EN: 1
; COMPUTE_PGM_RSRC2:TGID_Y_EN: 0
; COMPUTE_PGM_RSRC2:TGID_Z_EN: 0
; COMPUTE_PGM_RSRC2:TIDIG_COMP_CNT: 0
	.section	.text._ZN9rocsparseL18bsrxmvn_4x4_kernelILj128ELj4E21rocsparse_complex_numIfEllS2_S2_S2_EEvT3_20rocsparse_direction_NS_24const_host_device_scalarIT1_EES3_PKS3_PKT2_SC_S9_PKT4_PKT5_S7_PT6_21rocsparse_index_base_b,"axG",@progbits,_ZN9rocsparseL18bsrxmvn_4x4_kernelILj128ELj4E21rocsparse_complex_numIfEllS2_S2_S2_EEvT3_20rocsparse_direction_NS_24const_host_device_scalarIT1_EES3_PKS3_PKT2_SC_S9_PKT4_PKT5_S7_PT6_21rocsparse_index_base_b,comdat
	.globl	_ZN9rocsparseL18bsrxmvn_4x4_kernelILj128ELj4E21rocsparse_complex_numIfEllS2_S2_S2_EEvT3_20rocsparse_direction_NS_24const_host_device_scalarIT1_EES3_PKS3_PKT2_SC_S9_PKT4_PKT5_S7_PT6_21rocsparse_index_base_b ; -- Begin function _ZN9rocsparseL18bsrxmvn_4x4_kernelILj128ELj4E21rocsparse_complex_numIfEllS2_S2_S2_EEvT3_20rocsparse_direction_NS_24const_host_device_scalarIT1_EES3_PKS3_PKT2_SC_S9_PKT4_PKT5_S7_PT6_21rocsparse_index_base_b
	.p2align	8
	.type	_ZN9rocsparseL18bsrxmvn_4x4_kernelILj128ELj4E21rocsparse_complex_numIfEllS2_S2_S2_EEvT3_20rocsparse_direction_NS_24const_host_device_scalarIT1_EES3_PKS3_PKT2_SC_S9_PKT4_PKT5_S7_PT6_21rocsparse_index_base_b,@function
_ZN9rocsparseL18bsrxmvn_4x4_kernelILj128ELj4E21rocsparse_complex_numIfEllS2_S2_S2_EEvT3_20rocsparse_direction_NS_24const_host_device_scalarIT1_EES3_PKS3_PKT2_SC_S9_PKT4_PKT5_S7_PT6_21rocsparse_index_base_b: ; @_ZN9rocsparseL18bsrxmvn_4x4_kernelILj128ELj4E21rocsparse_complex_numIfEllS2_S2_S2_EEvT3_20rocsparse_direction_NS_24const_host_device_scalarIT1_EES3_PKS3_PKT2_SC_S9_PKT4_PKT5_S7_PT6_21rocsparse_index_base_b
; %bb.0:
	s_clause 0x2
	s_load_dwordx2 s[8:9], s[4:5], 0x60
	s_load_dwordx4 s[0:3], s[4:5], 0x10
	s_load_dwordx2 s[10:11], s[4:5], 0x50
	s_add_u32 s7, s4, 16
	s_addc_u32 s12, s5, 0
	s_add_u32 s13, s4, 0x50
	s_addc_u32 s14, s5, 0
	s_waitcnt lgkmcnt(0)
	s_bitcmp1_b32 s9, 0
	s_cselect_b32 s0, s7, s0
	s_cselect_b32 s1, s12, s1
	v_mov_b32_e32 v1, s0
	v_mov_b32_e32 v2, s1
	s_cselect_b32 s0, s13, s10
	s_cselect_b32 s1, s14, s11
	flat_load_dwordx2 v[62:63], v[1:2]
	v_mov_b32_e32 v1, s0
	v_mov_b32_e32 v2, s1
	flat_load_dwordx2 v[60:61], v[1:2]
	s_waitcnt vmcnt(1) lgkmcnt(1)
	v_cmp_eq_f32_e32 vcc_lo, 0, v62
	v_cmp_eq_f32_e64 s0, 0, v63
	s_and_b32 s7, vcc_lo, s0
	s_mov_b32 s0, -1
	s_and_saveexec_b32 s1, s7
	s_cbranch_execz .LBB50_2
; %bb.1:
	s_waitcnt vmcnt(0) lgkmcnt(0)
	v_cmp_neq_f32_e32 vcc_lo, 1.0, v60
	v_cmp_neq_f32_e64 s0, 0, v61
	s_or_b32 s0, vcc_lo, s0
	s_orn2_b32 s0, s0, exec_lo
.LBB50_2:
	s_or_b32 exec_lo, exec_lo, s1
	s_and_saveexec_b32 s1, s0
	s_cbranch_execz .LBB50_8
; %bb.3:
	s_load_dwordx2 s[0:1], s[4:5], 0x20
	v_lshrrev_b32_e32 v1, 2, v0
	v_mov_b32_e32 v2, 0
	v_lshl_or_b32 v1, s6, 5, v1
	s_waitcnt lgkmcnt(0)
	s_cmp_lg_u64 s[0:1], 0
	s_cbranch_scc0 .LBB50_9
; %bb.4:
	v_cmp_gt_i64_e32 vcc_lo, s[2:3], v[1:2]
	s_mov_b32 s3, 0
	s_mov_b32 s2, 0
                                        ; implicit-def: $vgpr64_vgpr65
                                        ; implicit-def: $vgpr66_vgpr67
	s_and_saveexec_b32 s6, vcc_lo
	s_xor_b32 s6, exec_lo, s6
	s_cbranch_execz .LBB50_6
; %bb.5:
	v_lshlrev_b64 v[3:4], 3, v[1:2]
	s_mov_b32 s9, 0
	s_mov_b32 s2, exec_lo
	v_mov_b32_e32 v67, s9
	v_mov_b32_e32 v66, s8
	v_add_co_u32 v3, vcc_lo, s0, v3
	v_add_co_ci_u32_e64 v4, null, s1, v4, vcc_lo
	global_load_dwordx2 v[3:4], v[3:4], off
	s_waitcnt vmcnt(0)
	v_sub_co_u32 v64, vcc_lo, v3, s8
	v_subrev_co_ci_u32_e64 v65, null, 0, v4, vcc_lo
.LBB50_6:
	s_or_b32 exec_lo, exec_lo, s6
	s_and_b32 vcc_lo, exec_lo, s3
	s_cbranch_vccnz .LBB50_10
.LBB50_7:
	s_and_b32 exec_lo, exec_lo, s2
	s_cbranch_execnz .LBB50_13
.LBB50_8:
	s_endpgm
.LBB50_9:
	s_mov_b32 s2, 0
                                        ; implicit-def: $vgpr64_vgpr65
                                        ; implicit-def: $vgpr66_vgpr67
	s_cbranch_execz .LBB50_7
.LBB50_10:
	s_load_dwordx2 s[0:1], s[4:5], 0x0
	s_waitcnt lgkmcnt(0)
	v_cmp_gt_i64_e32 vcc_lo, s[0:1], v[1:2]
	s_and_saveexec_b32 s0, vcc_lo
; %bb.11:
	s_mov_b32 s9, 0
	s_or_b32 s2, s2, exec_lo
; %bb.12:
	s_or_b32 exec_lo, exec_lo, s0
	v_mov_b32_e32 v67, s9
	v_mov_b32_e32 v65, v2
	;; [unrolled: 1-line block ×4, first 2 shown]
	s_and_b32 exec_lo, exec_lo, s2
	s_cbranch_execz .LBB50_8
.LBB50_13:
	s_load_dwordx8 s[8:15], s[4:5], 0x28
	v_lshlrev_b64 v[1:2], 3, v[64:65]
	v_and_b32_e32 v84, 3, v0
	s_clause 0x1
	s_load_dword s1, s[4:5], 0x8
	s_load_dwordx2 s[2:3], s[4:5], 0x48
	v_mov_b32_e32 v85, 0
	s_waitcnt lgkmcnt(0)
	v_add_co_u32 v3, vcc_lo, s8, v1
	v_add_co_ci_u32_e64 v4, null, s9, v2, vcc_lo
	v_add_co_u32 v1, vcc_lo, s10, v1
	v_add_co_ci_u32_e64 v2, null, s11, v2, vcc_lo
	v_add_co_u32 v5, vcc_lo, v3, 8
	global_load_dwordx2 v[76:77], v[3:4], off
	v_add_co_ci_u32_e64 v6, null, 0, v4, vcc_lo
	s_cmp_eq_u64 s[10:11], 0
	s_cselect_b32 vcc_lo, -1, 0
	s_cmp_eq_u32 s1, 1
	v_cndmask_b32_e32 v2, v2, v6, vcc_lo
	v_cndmask_b32_e32 v1, v1, v5, vcc_lo
	global_load_dwordx2 v[1:2], v[1:2], off
	s_waitcnt vmcnt(1)
	v_sub_co_u32 v0, vcc_lo, v76, v66
	v_sub_co_ci_u32_e64 v3, null, v77, v67, vcc_lo
	v_add_co_u32 v68, vcc_lo, v0, v84
	v_add_co_ci_u32_e64 v69, null, 0, v3, vcc_lo
	s_waitcnt vmcnt(0)
	v_sub_co_u32 v70, vcc_lo, v1, v66
	v_lshlrev_b64 v[0:1], 7, v[68:69]
	v_sub_co_ci_u32_e64 v71, null, v2, v67, vcc_lo
	v_add_co_u32 v72, vcc_lo, s14, v0
	v_cmp_lt_i64_e64 s0, v[68:69], v[70:71]
	v_add_co_ci_u32_e64 v73, null, s15, v1, vcc_lo
	s_cbranch_scc1 .LBB50_25
; %bb.14:
	v_mov_b32_e32 v91, 0
	v_mov_b32_e32 v88, 0
	;; [unrolled: 1-line block ×7, first 2 shown]
	s_and_saveexec_b32 s6, s0
	s_cbranch_execz .LBB50_24
; %bb.15:
	v_or_b32_e32 v0, 4, v84
	v_not_b32_e32 v3, v76
	v_sub_co_u32 v4, s1, v66, v84
	v_not_b32_e32 v2, v77
	v_sub_co_u32 v0, vcc_lo, v0, v66
	v_sub_co_ci_u32_e64 v1, null, 0, v67, vcc_lo
	v_subrev_co_ci_u32_e64 v5, null, 0, v67, s1
	v_add_co_u32 v0, vcc_lo, v0, v76
	v_add_co_ci_u32_e64 v1, null, v1, v77, vcc_lo
	v_mov_b32_e32 v75, 0
	v_mov_b32_e32 v79, v73
	;; [unrolled: 1-line block ×3, first 2 shown]
	v_cmp_gt_i64_e32 vcc_lo, v[0:1], v[70:71]
	v_mov_b32_e32 v78, v72
	v_mov_b32_e32 v90, v75
	;; [unrolled: 1-line block ×5, first 2 shown]
	v_cndmask_b32_e32 v1, v71, v1, vcc_lo
	v_cndmask_b32_e32 v0, v70, v0, vcc_lo
	v_add_co_u32 v3, vcc_lo, v4, v3
	v_add_co_ci_u32_e64 v2, null, v5, v2, vcc_lo
	v_mov_b32_e32 v88, v75
	v_add_co_u32 v0, vcc_lo, v3, v0
	v_add_co_ci_u32_e64 v1, null, v2, v1, vcc_lo
	v_mov_b32_e32 v91, v75
	v_and_b32_e32 v74, 12, v0
	v_mov_b32_e32 v85, v75
	v_mov_b32_e32 v80, v68
	s_mov_b32 s1, exec_lo
	v_cmpx_ne_u64_e32 12, v[74:75]
	s_cbranch_execz .LBB50_19
; %bb.16:
	v_lshrrev_b32_e32 v2, 2, v0
	v_mov_b32_e32 v81, v69
	v_mov_b32_e32 v79, v73
	;; [unrolled: 1-line block ×4, first 2 shown]
	v_add_nc_u32_e32 v4, 1, v2
	v_lshlrev_b64 v[2:3], 3, v[68:69]
	v_mov_b32_e32 v78, v72
	v_mov_b32_e32 v91, 0
	;; [unrolled: 1-line block ×3, first 2 shown]
	v_and_b32_e32 v4, 3, v4
	v_mov_b32_e32 v86, 0
	v_add_co_u32 v2, vcc_lo, s12, v2
	v_add_co_ci_u32_e64 v3, null, s13, v3, vcc_lo
	v_sub_co_u32 v4, s7, 0, v4
	v_sub_co_ci_u32_e64 v5, null, 0, 0, s7
	v_mov_b32_e32 v89, 0
	v_mov_b32_e32 v87, 0
	;; [unrolled: 1-line block ×4, first 2 shown]
	s_mov_b32 s7, 0
.LBB50_17:                              ; =>This Inner Loop Header: Depth=1
	global_load_dwordx2 v[38:39], v[2:3], off
	s_clause 0x7
	global_load_dwordx4 v[6:9], v[78:79], off offset:48
	global_load_dwordx4 v[10:13], v[78:79], off offset:32
	;; [unrolled: 1-line block ×3, first 2 shown]
	global_load_dwordx4 v[18:21], v[78:79], off
	global_load_dwordx4 v[22:25], v[78:79], off offset:112
	global_load_dwordx4 v[26:29], v[78:79], off offset:96
	;; [unrolled: 1-line block ×4, first 2 shown]
	s_waitcnt vmcnt(8)
	v_sub_co_u32 v38, vcc_lo, v38, v66
	v_sub_co_ci_u32_e64 v39, null, v39, v67, vcc_lo
	v_lshlrev_b64 v[38:39], 5, v[38:39]
	v_add_co_u32 v42, vcc_lo, s2, v38
	v_add_co_ci_u32_e64 v43, null, s3, v39, vcc_lo
	v_add_co_u32 v78, vcc_lo, 0x200, v78
	v_add_co_ci_u32_e64 v79, null, 0, v79, vcc_lo
	s_clause 0x1
	global_load_dwordx4 v[38:41], v[42:43], off
	global_load_dwordx4 v[42:45], v[42:43], off offset:16
	v_add_co_u32 v80, vcc_lo, v80, 4
	v_add_co_ci_u32_e64 v81, null, 0, v81, vcc_lo
	v_add_co_u32 v4, vcc_lo, v4, 1
	v_add_co_ci_u32_e64 v5, null, 0, v5, vcc_lo
	v_add_co_u32 v2, vcc_lo, v2, 32
	v_add_co_ci_u32_e64 v3, null, 0, v3, vcc_lo
	v_cmp_eq_u64_e32 vcc_lo, 0, v[4:5]
	s_or_b32 s7, vcc_lo, s7
	s_waitcnt vmcnt(1)
	v_fmac_f32_e32 v91, v18, v38
	v_fmac_f32_e32 v85, v19, v38
	;; [unrolled: 1-line block ×8, first 2 shown]
	v_fma_f32 v19, -v19, v39, v91
	v_fmac_f32_e32 v85, v18, v39
	v_fma_f32 v11, -v11, v39, v90
	v_fmac_f32_e32 v75, v10, v39
	;; [unrolled: 2-line block ×4, first 2 shown]
	v_fmac_f32_e32 v19, v20, v40
	v_fmac_f32_e32 v85, v21, v40
	;; [unrolled: 1-line block ×8, first 2 shown]
	v_fma_f32 v19, -v21, v41, v19
	v_fmac_f32_e32 v85, v20, v41
	v_fma_f32 v11, -v13, v41, v11
	v_fmac_f32_e32 v75, v12, v41
	;; [unrolled: 2-line block ×4, first 2 shown]
	s_waitcnt vmcnt(0)
	v_fmac_f32_e32 v19, v14, v42
	v_fmac_f32_e32 v85, v15, v42
	;; [unrolled: 1-line block ×8, first 2 shown]
	v_fma_f32 v13, -v15, v43, v19
	v_fmac_f32_e32 v85, v14, v43
	v_fma_f32 v7, -v7, v43, v11
	v_fmac_f32_e32 v75, v6, v43
	;; [unrolled: 2-line block ×4, first 2 shown]
	v_fmac_f32_e32 v13, v16, v44
	v_fmac_f32_e32 v85, v17, v44
	;; [unrolled: 1-line block ×8, first 2 shown]
	v_fma_f32 v91, -v17, v45, v13
	v_fmac_f32_e32 v85, v16, v45
	v_fma_f32 v90, -v9, v45, v7
	v_fmac_f32_e32 v75, v8, v45
	;; [unrolled: 2-line block ×4, first 2 shown]
	s_andn2_b32 exec_lo, exec_lo, s7
	s_cbranch_execnz .LBB50_17
; %bb.18:
	s_or_b32 exec_lo, exec_lo, s7
.LBB50_19:
	s_or_b32 exec_lo, exec_lo, s1
	s_mov_b32 s1, exec_lo
	v_cmpx_lt_u64_e32 11, v[0:1]
	s_cbranch_execz .LBB50_23
; %bb.20:
	v_lshlrev_b64 v[0:1], 3, v[80:81]
	s_mov_b32 s7, 0
	v_add_co_u32 v0, vcc_lo, s12, v0
	v_add_co_ci_u32_e64 v1, null, s13, v1, vcc_lo
	v_add_co_u32 v82, vcc_lo, v0, 64
	v_add_co_ci_u32_e64 v83, null, 0, v1, vcc_lo
.LBB50_21:                              ; =>This Inner Loop Header: Depth=1
	global_load_dwordx2 v[120:121], v[82:83], off offset:-64
	s_clause 0xd
	global_load_dwordx4 v[12:15], v[78:79], off offset:48
	global_load_dwordx4 v[48:51], v[78:79], off offset:32
	;; [unrolled: 1-line block ×3, first 2 shown]
	global_load_dwordx4 v[92:95], v[78:79], off
	global_load_dwordx4 v[16:19], v[78:79], off offset:112
	global_load_dwordx4 v[96:99], v[78:79], off offset:96
	;; [unrolled: 1-line block ×10, first 2 shown]
	s_clause 0x2
	global_load_dwordx2 v[128:129], v[82:83], off offset:-32
	global_load_dwordx2 v[130:131], v[82:83], off
	global_load_dwordx2 v[132:133], v[82:83], off offset:32
	s_clause 0x7
	global_load_dwordx4 v[104:107], v[78:79], off offset:592
	global_load_dwordx4 v[108:111], v[78:79], off offset:576
	;; [unrolled: 1-line block ×8, first 2 shown]
	s_waitcnt vmcnt(25)
	v_sub_co_u32 v120, vcc_lo, v120, v66
	v_sub_co_ci_u32_e64 v121, null, v121, v67, vcc_lo
	v_lshlrev_b64 v[120:121], 5, v[120:121]
	v_add_co_u32 v124, vcc_lo, s2, v120
	v_add_co_ci_u32_e64 v125, null, s3, v121, vcc_lo
	s_clause 0x1
	global_load_dwordx4 v[120:123], v[124:125], off
	global_load_dwordx4 v[124:127], v[124:125], off offset:16
	s_waitcnt vmcnt(1)
	v_fmac_f32_e32 v91, v92, v120
	v_fmac_f32_e32 v85, v93, v120
	;; [unrolled: 1-line block ×8, first 2 shown]
	v_fma_f32 v74, -v93, v121, v91
	v_fmac_f32_e32 v85, v92, v121
	v_fma_f32 v49, -v49, v121, v90
	v_fmac_f32_e32 v75, v48, v121
	;; [unrolled: 2-line block ×4, first 2 shown]
	v_fmac_f32_e32 v74, v94, v122
	v_fmac_f32_e32 v85, v95, v122
	v_fmac_f32_e32 v49, v50, v122
	v_fmac_f32_e32 v75, v51, v122
	v_fmac_f32_e32 v89, v102, v122
	v_fmac_f32_e32 v87, v103, v122
	v_fmac_f32_e32 v88, v98, v122
	v_fmac_f32_e32 v86, v99, v122
	v_fma_f32 v74, -v95, v123, v74
	v_fmac_f32_e32 v85, v94, v123
	v_fma_f32 v90, -v51, v123, v49
	v_fmac_f32_e32 v75, v50, v123
	;; [unrolled: 2-line block ×4, first 2 shown]
	s_waitcnt vmcnt(0)
	v_fmac_f32_e32 v74, v36, v124
	v_fmac_f32_e32 v85, v37, v124
	v_fmac_f32_e32 v90, v12, v124
	v_fmac_f32_e32 v75, v13, v124
	v_fmac_f32_e32 v89, v28, v124
	v_fmac_f32_e32 v87, v29, v124
	v_fmac_f32_e32 v88, v16, v124
	v_fmac_f32_e32 v86, v17, v124
	v_fma_f32 v37, -v37, v125, v74
	v_fmac_f32_e32 v85, v36, v125
	v_fma_f32 v13, -v13, v125, v90
	v_fmac_f32_e32 v75, v12, v125
	;; [unrolled: 2-line block ×4, first 2 shown]
	v_sub_co_u32 v88, vcc_lo, v128, v66
	v_fmac_f32_e32 v37, v38, v126
	v_fmac_f32_e32 v85, v39, v126
	;; [unrolled: 1-line block ×8, first 2 shown]
	v_sub_co_ci_u32_e64 v89, null, v129, v67, vcc_lo
	v_sub_co_u32 v124, vcc_lo, v130, v66
	v_sub_co_ci_u32_e64 v125, null, v131, v67, vcc_lo
	v_sub_co_u32 v126, vcc_lo, v132, v66
	v_fma_f32 v74, -v39, v127, v37
	v_fmac_f32_e32 v85, v38, v127
	v_fma_f32 v90, -v15, v127, v13
	v_fmac_f32_e32 v75, v14, v127
	v_fma_f32 v99, -v31, v127, v29
	v_fmac_f32_e32 v87, v30, v127
	v_fma_f32 v136, -v19, v127, v17
	v_fmac_f32_e32 v86, v18, v127
	v_sub_co_ci_u32_e64 v127, null, v133, v67, vcc_lo
	v_lshlrev_b64 v[88:89], 5, v[88:89]
	v_lshlrev_b64 v[124:125], 5, v[124:125]
	s_clause 0x1
	global_load_dwordx4 v[91:94], v[78:79], off offset:1104
	global_load_dwordx4 v[48:51], v[78:79], off offset:1088
	v_lshlrev_b64 v[126:127], 5, v[126:127]
	global_load_dwordx4 v[100:103], v[78:79], off offset:1584
	v_add_co_u32 v88, vcc_lo, s2, v88
	v_add_co_ci_u32_e64 v89, null, s3, v89, vcc_lo
	v_add_co_u32 v132, vcc_lo, s2, v124
	v_add_co_ci_u32_e64 v133, null, s3, v125, vcc_lo
	v_add_co_u32 v134, vcc_lo, s2, v126
	s_clause 0x5
	global_load_dwordx4 v[95:98], v[78:79], off offset:1568
	global_load_dwordx4 v[120:123], v[78:79], off offset:1552
	;; [unrolled: 1-line block ×6, first 2 shown]
	v_add_co_ci_u32_e64 v135, null, s3, v127, vcc_lo
	s_clause 0x1
	global_load_dwordx4 v[124:127], v[88:89], off
	global_load_dwordx4 v[128:131], v[88:89], off offset:16
	v_add_co_u32 v80, vcc_lo, v80, 16
	v_add_co_ci_u32_e64 v81, null, 0, v81, vcc_lo
	s_waitcnt vmcnt(1)
	v_fmac_f32_e32 v90, v20, v124
	v_fmac_f32_e32 v75, v21, v124
	;; [unrolled: 1-line block ×5, first 2 shown]
	v_fma_f32 v21, -v21, v125, v90
	v_fmac_f32_e32 v75, v20, v125
	v_fma_f32 v89, -v109, v125, v99
	v_fmac_f32_e32 v87, v108, v125
	v_fmac_f32_e32 v85, v25, v124
	;; [unrolled: 1-line block ×7, first 2 shown]
	v_fma_f32 v88, -v23, v127, v21
	v_fmac_f32_e32 v75, v22, v127
	global_load_dwordx4 v[20:23], v[132:133], off
	v_fma_f32 v89, -v111, v127, v89
	v_fmac_f32_e32 v87, v110, v127
	global_load_dwordx4 v[108:111], v[132:133], off offset:16
	v_fmac_f32_e32 v86, v33, v124
	v_fma_f32 v25, -v25, v125, v74
	v_fmac_f32_e32 v85, v24, v125
	v_fma_f32 v33, -v33, v125, v136
	s_waitcnt vmcnt(2)
	v_fmac_f32_e32 v88, v0, v128
	v_fmac_f32_e32 v86, v32, v125
	;; [unrolled: 1-line block ×7, first 2 shown]
	v_fma_f32 v74, -v27, v127, v25
	v_fmac_f32_e32 v85, v26, v127
	global_load_dwordx4 v[24:27], v[78:79], off offset:1600
	v_fma_f32 v90, -v35, v127, v33
	v_fmac_f32_e32 v86, v34, v127
	s_clause 0x1
	global_load_dwordx4 v[32:35], v[134:135], off
	global_load_dwordx4 v[124:127], v[134:135], off offset:16
	v_fmac_f32_e32 v74, v4, v128
	v_fmac_f32_e32 v85, v5, v128
	;; [unrolled: 1-line block ×6, first 2 shown]
	v_fma_f32 v5, -v5, v129, v74
	v_fmac_f32_e32 v85, v4, v129
	v_fma_f32 v1, -v1, v129, v88
	v_fmac_f32_e32 v75, v0, v129
	;; [unrolled: 2-line block ×4, first 2 shown]
	v_fmac_f32_e32 v5, v6, v130
	v_fmac_f32_e32 v85, v7, v130
	;; [unrolled: 1-line block ×8, first 2 shown]
	v_fma_f32 v5, -v7, v131, v5
	v_fmac_f32_e32 v85, v6, v131
	v_fma_f32 v1, -v3, v131, v1
	v_fmac_f32_e32 v75, v2, v131
	;; [unrolled: 2-line block ×4, first 2 shown]
	v_add_co_u32 v78, vcc_lo, 0x800, v78
	v_add_co_ci_u32_e64 v79, null, 0, v79, vcc_lo
	v_add_co_u32 v82, vcc_lo, 0x80, v82
	v_add_co_ci_u32_e64 v83, null, 0, v83, vcc_lo
	v_cmp_ge_i64_e32 vcc_lo, v[80:81], v[70:71]
	s_or_b32 s7, vcc_lo, s7
	s_waitcnt vmcnt(4)
	v_fmac_f32_e32 v5, v112, v20
	v_fmac_f32_e32 v85, v113, v20
	v_fmac_f32_e32 v1, v56, v20
	v_fmac_f32_e32 v75, v57, v20
	v_fmac_f32_e32 v0, v48, v20
	v_fmac_f32_e32 v87, v49, v20
	v_fmac_f32_e32 v2, v116, v20
	v_fmac_f32_e32 v86, v117, v20
	v_fma_f32 v3, -v113, v21, v5
	v_fmac_f32_e32 v85, v112, v21
	v_fma_f32 v1, -v57, v21, v1
	v_fmac_f32_e32 v75, v56, v21
	v_fma_f32 v0, -v49, v21, v0
	v_fmac_f32_e32 v87, v48, v21
	v_fma_f32 v2, -v117, v21, v2
	v_fmac_f32_e32 v86, v116, v21
	v_fmac_f32_e32 v3, v114, v22
	v_fmac_f32_e32 v85, v115, v22
	v_fmac_f32_e32 v1, v58, v22
	v_fmac_f32_e32 v75, v59, v22
	v_fmac_f32_e32 v0, v50, v22
	v_fmac_f32_e32 v87, v51, v22
	v_fmac_f32_e32 v2, v118, v22
	v_fmac_f32_e32 v86, v119, v22
	v_fma_f32 v3, -v115, v23, v3
	v_fmac_f32_e32 v85, v114, v23
	v_fma_f32 v1, -v59, v23, v1
	v_fmac_f32_e32 v75, v58, v23
	v_fma_f32 v0, -v51, v23, v0
	v_fmac_f32_e32 v87, v50, v23
	v_fma_f32 v2, -v119, v23, v2
	v_fmac_f32_e32 v86, v118, v23
	s_waitcnt vmcnt(3)
	v_fmac_f32_e32 v3, v44, v108
	v_fmac_f32_e32 v85, v45, v108
	v_fmac_f32_e32 v1, v40, v108
	v_fmac_f32_e32 v75, v41, v108
	v_fmac_f32_e32 v0, v91, v108
	v_fmac_f32_e32 v87, v92, v108
	v_fmac_f32_e32 v2, v52, v108
	v_fmac_f32_e32 v86, v53, v108
	v_fma_f32 v3, -v45, v109, v3
	v_fmac_f32_e32 v85, v44, v109
	v_fma_f32 v1, -v41, v109, v1
	v_fmac_f32_e32 v75, v40, v109
	v_fma_f32 v0, -v92, v109, v0
	v_fmac_f32_e32 v87, v91, v109
	v_fma_f32 v2, -v53, v109, v2
	v_fmac_f32_e32 v86, v52, v109
	v_fmac_f32_e32 v3, v46, v110
	v_fmac_f32_e32 v85, v47, v110
	v_fmac_f32_e32 v1, v42, v110
	v_fmac_f32_e32 v75, v43, v110
	v_fmac_f32_e32 v0, v93, v110
	v_fmac_f32_e32 v87, v94, v110
	v_fmac_f32_e32 v2, v54, v110
	v_fmac_f32_e32 v86, v55, v110
	v_fma_f32 v3, -v47, v111, v3
	v_fmac_f32_e32 v85, v46, v111
	v_fma_f32 v1, -v43, v111, v1
	v_fmac_f32_e32 v75, v42, v111
	v_fma_f32 v0, -v94, v111, v0
	v_fmac_f32_e32 v87, v93, v111
	v_fma_f32 v2, -v55, v111, v2
	v_fmac_f32_e32 v86, v54, v111
	;; [unrolled: 33-line block ×4, first 2 shown]
	s_andn2_b32 exec_lo, exec_lo, s7
	s_cbranch_execnz .LBB50_21
; %bb.22:
	s_or_b32 exec_lo, exec_lo, s7
.LBB50_23:
	s_or_b32 exec_lo, exec_lo, s1
.LBB50_24:
	s_or_b32 exec_lo, exec_lo, s6
	s_cbranch_execz .LBB50_26
	s_branch .LBB50_37
.LBB50_25:
                                        ; implicit-def: $vgpr85
                                        ; implicit-def: $vgpr91
                                        ; implicit-def: $vgpr88
                                        ; implicit-def: $vgpr86
                                        ; implicit-def: $vgpr89
                                        ; implicit-def: $vgpr87
                                        ; implicit-def: $vgpr90
                                        ; implicit-def: $vgpr75
.LBB50_26:
	v_mov_b32_e32 v85, 0
	v_mov_b32_e32 v91, 0
	;; [unrolled: 1-line block ×8, first 2 shown]
	s_and_saveexec_b32 s1, s0
	s_cbranch_execz .LBB50_36
; %bb.27:
	v_or_b32_e32 v0, 4, v84
	v_not_b32_e32 v3, v76
	v_not_b32_e32 v2, v77
	v_mov_b32_e32 v75, 0
	v_sub_co_u32 v0, vcc_lo, v0, v66
	v_sub_co_ci_u32_e64 v1, null, 0, v67, vcc_lo
	v_mov_b32_e32 v90, v75
	v_add_co_u32 v0, vcc_lo, v0, v76
	v_add_co_ci_u32_e64 v1, null, v1, v77, vcc_lo
	v_sub_co_u32 v4, vcc_lo, v66, v84
	v_subrev_co_ci_u32_e64 v5, null, 0, v67, vcc_lo
	v_cmp_gt_i64_e64 s0, v[0:1], v[70:71]
	v_add_co_u32 v3, vcc_lo, v4, v3
	v_add_co_ci_u32_e64 v2, null, v5, v2, vcc_lo
	v_mov_b32_e32 v87, v75
	v_cndmask_b32_e64 v0, v70, v0, s0
	v_cndmask_b32_e64 v1, v71, v1, s0
	v_mov_b32_e32 v89, v75
	v_mov_b32_e32 v86, v75
	;; [unrolled: 1-line block ×3, first 2 shown]
	v_add_co_u32 v0, vcc_lo, v3, v0
	v_add_co_ci_u32_e64 v1, null, v2, v1, vcc_lo
	v_mov_b32_e32 v91, v75
	v_and_b32_e32 v74, 12, v0
	v_mov_b32_e32 v85, v75
	s_mov_b32 s0, exec_lo
	v_cmpx_ne_u64_e32 12, v[74:75]
	s_cbranch_execz .LBB50_31
; %bb.28:
	v_lshrrev_b32_e32 v2, 2, v0
	v_mov_b32_e32 v85, 0
	v_mov_b32_e32 v91, 0
	;; [unrolled: 1-line block ×4, first 2 shown]
	v_add_nc_u32_e32 v4, 1, v2
	v_lshlrev_b64 v[2:3], 3, v[68:69]
	v_mov_b32_e32 v89, 0
	v_mov_b32_e32 v87, 0
	;; [unrolled: 1-line block ×3, first 2 shown]
	v_and_b32_e32 v4, 3, v4
	v_mov_b32_e32 v75, 0
	v_add_co_u32 v2, vcc_lo, s12, v2
	v_add_co_ci_u32_e64 v3, null, s13, v3, vcc_lo
	v_sub_co_u32 v4, s6, 0, v4
	v_sub_co_ci_u32_e64 v5, null, 0, 0, s6
	s_mov_b32 s6, 0
.LBB50_29:                              ; =>This Inner Loop Header: Depth=1
	global_load_dwordx2 v[18:19], v[2:3], off
	s_clause 0x2
	global_load_dwordx4 v[6:9], v[72:73], off offset:32
	global_load_dwordx4 v[10:13], v[72:73], off offset:16
	global_load_dwordx4 v[14:17], v[72:73], off
	s_waitcnt vmcnt(3)
	v_sub_co_u32 v18, vcc_lo, v18, v66
	v_sub_co_ci_u32_e64 v19, null, v19, v67, vcc_lo
	v_lshlrev_b64 v[18:19], 5, v[18:19]
	v_add_co_u32 v22, vcc_lo, s2, v18
	v_add_co_ci_u32_e64 v23, null, s3, v19, vcc_lo
	s_clause 0x1
	global_load_dwordx4 v[18:21], v[22:23], off
	global_load_dwordx4 v[22:25], v[22:23], off offset:16
	s_clause 0x4
	global_load_dwordx4 v[26:29], v[72:73], off offset:48
	global_load_dwordx4 v[30:33], v[72:73], off offset:64
	;; [unrolled: 1-line block ×5, first 2 shown]
	v_add_co_u32 v72, vcc_lo, 0x200, v72
	v_add_co_ci_u32_e64 v73, null, 0, v73, vcc_lo
	v_add_co_u32 v68, vcc_lo, v68, 4
	v_add_co_ci_u32_e64 v69, null, 0, v69, vcc_lo
	;; [unrolled: 2-line block ×4, first 2 shown]
	v_cmp_eq_u64_e32 vcc_lo, 0, v[4:5]
	s_or_b32 s6, vcc_lo, s6
	s_waitcnt vmcnt(6)
	v_fmac_f32_e32 v91, v14, v18
	v_fmac_f32_e32 v85, v15, v18
	v_fmac_f32_e32 v90, v16, v18
	v_fmac_f32_e32 v75, v17, v18
	v_fmac_f32_e32 v89, v10, v18
	v_fmac_f32_e32 v87, v11, v18
	v_fmac_f32_e32 v88, v12, v18
	v_fmac_f32_e32 v86, v13, v18
	v_fma_f32 v15, -v15, v19, v91
	v_fmac_f32_e32 v85, v14, v19
	v_fma_f32 v14, -v17, v19, v90
	v_fmac_f32_e32 v75, v16, v19
	;; [unrolled: 2-line block ×4, first 2 shown]
	v_fmac_f32_e32 v15, v6, v20
	v_fmac_f32_e32 v85, v7, v20
	;; [unrolled: 1-line block ×4, first 2 shown]
	s_waitcnt vmcnt(4)
	v_fmac_f32_e32 v11, v26, v20
	v_fmac_f32_e32 v87, v27, v20
	v_fmac_f32_e32 v10, v28, v20
	v_fmac_f32_e32 v86, v29, v20
	v_fma_f32 v7, -v7, v21, v15
	v_fmac_f32_e32 v85, v6, v21
	v_fma_f32 v6, -v9, v21, v14
	v_fmac_f32_e32 v75, v8, v21
	;; [unrolled: 2-line block ×4, first 2 shown]
	s_waitcnt vmcnt(3)
	v_fmac_f32_e32 v7, v30, v22
	v_fmac_f32_e32 v85, v31, v22
	;; [unrolled: 1-line block ×4, first 2 shown]
	s_waitcnt vmcnt(2)
	v_fmac_f32_e32 v8, v34, v22
	v_fmac_f32_e32 v87, v35, v22
	v_fmac_f32_e32 v9, v36, v22
	v_fmac_f32_e32 v86, v37, v22
	v_fma_f32 v7, -v31, v23, v7
	v_fmac_f32_e32 v85, v30, v23
	v_fma_f32 v6, -v33, v23, v6
	v_fmac_f32_e32 v75, v32, v23
	;; [unrolled: 2-line block ×4, first 2 shown]
	s_waitcnt vmcnt(1)
	v_fmac_f32_e32 v7, v38, v24
	v_fmac_f32_e32 v85, v39, v24
	;; [unrolled: 1-line block ×4, first 2 shown]
	s_waitcnt vmcnt(0)
	v_fmac_f32_e32 v8, v42, v24
	v_fmac_f32_e32 v87, v43, v24
	v_fmac_f32_e32 v9, v44, v24
	v_fmac_f32_e32 v86, v45, v24
	v_fma_f32 v91, -v39, v25, v7
	v_fmac_f32_e32 v85, v38, v25
	v_fma_f32 v90, -v41, v25, v6
	v_fmac_f32_e32 v75, v40, v25
	;; [unrolled: 2-line block ×4, first 2 shown]
	s_andn2_b32 exec_lo, exec_lo, s6
	s_cbranch_execnz .LBB50_29
; %bb.30:
	s_or_b32 exec_lo, exec_lo, s6
.LBB50_31:
	s_or_b32 exec_lo, exec_lo, s0
	s_mov_b32 s0, exec_lo
	v_cmpx_lt_u64_e32 11, v[0:1]
	s_cbranch_execz .LBB50_35
; %bb.32:
	v_lshlrev_b64 v[0:1], 3, v[68:69]
	s_mov_b32 s6, 0
	v_add_co_u32 v0, vcc_lo, s12, v0
	v_add_co_ci_u32_e64 v1, null, s13, v1, vcc_lo
	v_add_co_u32 v24, vcc_lo, v0, 64
	v_add_co_ci_u32_e64 v25, null, 0, v1, vcc_lo
.LBB50_33:                              ; =>This Inner Loop Header: Depth=1
	global_load_dwordx2 v[58:59], v[24:25], off offset:-64
	s_clause 0x9
	global_load_dwordx4 v[12:15], v[72:73], off offset:48
	global_load_dwordx4 v[20:23], v[72:73], off offset:32
	;; [unrolled: 1-line block ×3, first 2 shown]
	global_load_dwordx4 v[30:33], v[72:73], off
	global_load_dwordx4 v[8:11], v[72:73], off offset:112
	global_load_dwordx4 v[16:19], v[72:73], off offset:96
	;; [unrolled: 1-line block ×6, first 2 shown]
	s_clause 0x2
	global_load_dwordx2 v[108:109], v[24:25], off offset:-32
	global_load_dwordx2 v[110:111], v[24:25], off
	global_load_dwordx2 v[112:113], v[24:25], off offset:32
	s_clause 0x7
	global_load_dwordx4 v[42:45], v[72:73], off offset:528
	global_load_dwordx4 v[46:49], v[72:73], off offset:512
	;; [unrolled: 1-line block ×8, first 2 shown]
	s_waitcnt vmcnt(21)
	v_sub_co_u32 v58, vcc_lo, v58, v66
	v_sub_co_ci_u32_e64 v59, null, v59, v67, vcc_lo
	v_lshlrev_b64 v[58:59], 5, v[58:59]
	v_add_co_u32 v58, vcc_lo, s2, v58
	v_add_co_ci_u32_e64 v59, null, s3, v59, vcc_lo
	s_clause 0x1
	global_load_dwordx4 v[100:103], v[58:59], off
	global_load_dwordx4 v[104:107], v[58:59], off offset:16
	s_waitcnt vmcnt(1)
	v_fmac_f32_e32 v91, v30, v100
	v_fmac_f32_e32 v90, v32, v100
	;; [unrolled: 1-line block ×5, first 2 shown]
	v_fma_f32 v58, -v31, v101, v91
	v_fma_f32 v59, -v33, v101, v90
	;; [unrolled: 1-line block ×3, first 2 shown]
	v_fmac_f32_e32 v89, v26, v100
	v_fmac_f32_e32 v87, v27, v100
	;; [unrolled: 1-line block ×7, first 2 shown]
	v_fma_f32 v58, -v21, v103, v58
	v_fma_f32 v59, -v23, v103, v59
	;; [unrolled: 1-line block ×3, first 2 shown]
	v_fmac_f32_e32 v75, v32, v101
	v_fma_f32 v74, -v27, v101, v89
	s_waitcnt vmcnt(0)
	v_fmac_f32_e32 v58, v38, v104
	v_fmac_f32_e32 v59, v40, v104
	;; [unrolled: 1-line block ×5, first 2 shown]
	v_fma_f32 v58, -v39, v105, v58
	v_fma_f32 v59, -v41, v105, v59
	;; [unrolled: 1-line block ×3, first 2 shown]
	v_fmac_f32_e32 v85, v21, v102
	v_fmac_f32_e32 v75, v23, v102
	;; [unrolled: 1-line block ×10, first 2 shown]
	v_fma_f32 v74, -v13, v103, v74
	v_fmac_f32_e32 v87, v12, v103
	v_fmac_f32_e32 v86, v14, v103
	v_fma_f32 v114, -v17, v107, v58
	v_sub_co_u32 v58, vcc_lo, v108, v66
	v_fma_f32 v115, -v19, v107, v59
	v_sub_co_ci_u32_e64 v59, null, v109, v67, vcc_lo
	v_fma_f32 v116, -v11, v107, v100
	v_sub_co_u32 v100, vcc_lo, v110, v66
	v_fmac_f32_e32 v85, v39, v104
	v_fmac_f32_e32 v75, v41, v104
	;; [unrolled: 1-line block ×5, first 2 shown]
	v_sub_co_ci_u32_e64 v101, null, v111, v67, vcc_lo
	v_sub_co_u32 v102, vcc_lo, v112, v66
	v_sub_co_ci_u32_e64 v103, null, v113, v67, vcc_lo
	v_lshlrev_b64 v[58:59], 5, v[58:59]
	v_fmac_f32_e32 v85, v38, v105
	v_fmac_f32_e32 v75, v40, v105
	v_fma_f32 v74, -v35, v105, v74
	v_fmac_f32_e32 v87, v34, v105
	v_fmac_f32_e32 v86, v36, v105
	v_lshlrev_b64 v[100:101], 5, v[100:101]
	v_lshlrev_b64 v[102:103], 5, v[102:103]
	v_add_co_u32 v58, vcc_lo, s2, v58
	v_fmac_f32_e32 v85, v17, v106
	v_fmac_f32_e32 v75, v19, v106
	;; [unrolled: 1-line block ×5, first 2 shown]
	v_add_co_ci_u32_e64 v59, null, s3, v59, vcc_lo
	v_add_co_u32 v108, vcc_lo, s2, v100
	v_add_co_ci_u32_e64 v109, null, s3, v101, vcc_lo
	v_add_co_u32 v110, vcc_lo, s2, v102
	s_clause 0x6
	global_load_dwordx4 v[30:33], v[72:73], off offset:1040
	global_load_dwordx4 v[26:29], v[72:73], off offset:1024
	;; [unrolled: 1-line block ×7, first 2 shown]
	v_fmac_f32_e32 v85, v16, v107
	v_fmac_f32_e32 v75, v18, v107
	global_load_dwordx4 v[16:19], v[72:73], off offset:1568
	v_fma_f32 v74, -v9, v107, v74
	v_fmac_f32_e32 v87, v8, v107
	v_fmac_f32_e32 v86, v10, v107
	global_load_dwordx4 v[8:11], v[72:73], off offset:1552
	v_add_co_ci_u32_e64 v111, null, s3, v103, vcc_lo
	s_clause 0x1
	global_load_dwordx4 v[100:103], v[58:59], off
	global_load_dwordx4 v[104:107], v[58:59], off offset:16
	s_waitcnt vmcnt(1)
	v_fmac_f32_e32 v114, v46, v100
	v_fmac_f32_e32 v85, v47, v100
	;; [unrolled: 1-line block ×8, first 2 shown]
	v_fma_f32 v58, -v47, v101, v114
	v_fmac_f32_e32 v85, v46, v101
	v_fma_f32 v59, -v49, v101, v115
	v_fmac_f32_e32 v75, v48, v101
	;; [unrolled: 2-line block ×4, first 2 shown]
	v_fmac_f32_e32 v58, v4, v102
	v_fmac_f32_e32 v85, v5, v102
	;; [unrolled: 1-line block ×8, first 2 shown]
	s_clause 0x1
	global_load_dwordx4 v[46:49], v[72:73], off offset:1536
	global_load_dwordx4 v[42:45], v[72:73], off offset:1600
	v_fma_f32 v58, -v5, v103, v58
	v_fmac_f32_e32 v85, v4, v103
	v_fma_f32 v59, -v7, v103, v59
	v_fmac_f32_e32 v75, v6, v103
	global_load_dwordx4 v[4:7], v[72:73], off offset:1616
	v_fma_f32 v74, -v1, v103, v74
	v_fmac_f32_e32 v87, v0, v103
	v_fma_f32 v112, -v3, v103, v100
	v_fmac_f32_e32 v86, v2, v103
	s_clause 0x1
	global_load_dwordx4 v[0:3], v[108:109], off
	global_load_dwordx4 v[100:103], v[108:109], off offset:16
	s_waitcnt vmcnt(5)
	v_fmac_f32_e32 v58, v80, v104
	v_fmac_f32_e32 v85, v81, v104
	;; [unrolled: 1-line block ×5, first 2 shown]
	v_fma_f32 v58, -v81, v105, v58
	v_fmac_f32_e32 v85, v80, v105
	v_fma_f32 v59, -v83, v105, v59
	v_fmac_f32_e32 v75, v82, v105
	global_load_dwordx4 v[80:83], v[110:111], off
	v_fmac_f32_e32 v87, v77, v104
	v_fmac_f32_e32 v112, v78, v104
	;; [unrolled: 1-line block ×3, first 2 shown]
	v_fma_f32 v74, -v77, v105, v74
	v_fmac_f32_e32 v58, v54, v106
	v_fmac_f32_e32 v87, v76, v105
	v_fma_f32 v104, -v79, v105, v112
	v_fmac_f32_e32 v86, v78, v105
	global_load_dwordx4 v[76:79], v[72:73], off offset:1632
	global_load_dwordx4 v[108:111], v[110:111], off offset:16
	v_fmac_f32_e32 v85, v55, v106
	v_fmac_f32_e32 v59, v56, v106
	v_fmac_f32_e32 v75, v57, v106
	v_fma_f32 v58, -v55, v107, v58
	v_fmac_f32_e32 v74, v50, v106
	v_fmac_f32_e32 v85, v54, v107
	v_fma_f32 v59, -v57, v107, v59
	v_fmac_f32_e32 v75, v56, v107
	global_load_dwordx4 v[54:57], v[72:73], off offset:1648
	v_fmac_f32_e32 v87, v51, v106
	v_fmac_f32_e32 v104, v52, v106
	;; [unrolled: 1-line block ×3, first 2 shown]
	v_fma_f32 v51, -v51, v107, v74
	v_add_co_u32 v72, vcc_lo, 0x800, v72
	v_fmac_f32_e32 v87, v50, v107
	v_fma_f32 v50, -v53, v107, v104
	v_fmac_f32_e32 v86, v52, v107
	v_add_co_ci_u32_e64 v73, null, 0, v73, vcc_lo
	v_add_co_u32 v68, vcc_lo, v68, 16
	v_add_co_ci_u32_e64 v69, null, 0, v69, vcc_lo
	v_add_co_u32 v24, vcc_lo, 0x80, v24
	v_add_co_ci_u32_e64 v25, null, 0, v25, vcc_lo
	v_cmp_ge_i64_e32 vcc_lo, v[68:69], v[70:71]
	s_or_b32 s6, vcc_lo, s6
	s_waitcnt vmcnt(5)
	v_fmac_f32_e32 v58, v26, v0
	v_fmac_f32_e32 v85, v27, v0
	v_fmac_f32_e32 v59, v28, v0
	v_fmac_f32_e32 v75, v29, v0
	v_fmac_f32_e32 v51, v30, v0
	v_fmac_f32_e32 v87, v31, v0
	v_fmac_f32_e32 v50, v32, v0
	v_fmac_f32_e32 v86, v33, v0
	v_fma_f32 v0, -v27, v1, v58
	v_fmac_f32_e32 v85, v26, v1
	v_fma_f32 v26, -v29, v1, v59
	v_fmac_f32_e32 v75, v28, v1
	v_fma_f32 v27, -v31, v1, v51
	v_fmac_f32_e32 v87, v30, v1
	v_fma_f32 v28, -v33, v1, v50
	v_fmac_f32_e32 v86, v32, v1
	v_fmac_f32_e32 v0, v96, v2
	v_fmac_f32_e32 v85, v97, v2
	v_fmac_f32_e32 v26, v98, v2
	v_fmac_f32_e32 v75, v99, v2
	v_fmac_f32_e32 v27, v92, v2
	v_fmac_f32_e32 v87, v93, v2
	v_fmac_f32_e32 v28, v94, v2
	v_fmac_f32_e32 v86, v95, v2
	v_fma_f32 v0, -v97, v3, v0
	v_fmac_f32_e32 v85, v96, v3
	v_fma_f32 v1, -v99, v3, v26
	v_fmac_f32_e32 v75, v98, v3
	v_fma_f32 v2, -v93, v3, v27
	v_fmac_f32_e32 v87, v92, v3
	v_fma_f32 v26, -v95, v3, v28
	v_fmac_f32_e32 v86, v94, v3
	s_waitcnt vmcnt(4)
	v_fmac_f32_e32 v0, v38, v100
	v_fmac_f32_e32 v85, v39, v100
	v_fmac_f32_e32 v1, v40, v100
	v_fmac_f32_e32 v75, v41, v100
	v_fmac_f32_e32 v2, v88, v100
	v_fmac_f32_e32 v87, v89, v100
	v_fmac_f32_e32 v26, v90, v100
	v_fmac_f32_e32 v86, v91, v100
	v_fma_f32 v0, -v39, v101, v0
	v_fmac_f32_e32 v85, v38, v101
	v_fma_f32 v1, -v41, v101, v1
	v_fmac_f32_e32 v75, v40, v101
	v_fma_f32 v2, -v89, v101, v2
	v_fmac_f32_e32 v87, v88, v101
	v_fma_f32 v3, -v91, v101, v26
	v_fmac_f32_e32 v86, v90, v101
	v_fmac_f32_e32 v0, v12, v102
	v_fmac_f32_e32 v85, v13, v102
	v_fmac_f32_e32 v1, v14, v102
	v_fmac_f32_e32 v75, v15, v102
	v_fmac_f32_e32 v2, v20, v102
	v_fmac_f32_e32 v87, v21, v102
	v_fmac_f32_e32 v3, v22, v102
	v_fmac_f32_e32 v86, v23, v102
	v_fma_f32 v0, -v13, v103, v0
	v_fmac_f32_e32 v85, v12, v103
	v_fma_f32 v1, -v15, v103, v1
	v_fmac_f32_e32 v75, v14, v103
	v_fma_f32 v2, -v21, v103, v2
	v_fmac_f32_e32 v87, v20, v103
	v_fma_f32 v3, -v23, v103, v3
	v_fmac_f32_e32 v86, v22, v103
	;; [unrolled: 33-line block ×3, first 2 shown]
	s_waitcnt vmcnt(1)
	v_fmac_f32_e32 v0, v42, v108
	v_fmac_f32_e32 v85, v43, v108
	;; [unrolled: 1-line block ×8, first 2 shown]
	v_fma_f32 v0, -v43, v109, v0
	v_fmac_f32_e32 v85, v42, v109
	v_fma_f32 v1, -v45, v109, v1
	v_fmac_f32_e32 v75, v44, v109
	;; [unrolled: 2-line block ×4, first 2 shown]
	v_fmac_f32_e32 v0, v76, v110
	v_fmac_f32_e32 v85, v77, v110
	;; [unrolled: 1-line block ×4, first 2 shown]
	s_waitcnt vmcnt(0)
	v_fmac_f32_e32 v2, v54, v110
	v_fmac_f32_e32 v87, v55, v110
	v_fmac_f32_e32 v3, v56, v110
	v_fmac_f32_e32 v86, v57, v110
	v_fma_f32 v91, -v77, v111, v0
	v_fmac_f32_e32 v85, v76, v111
	v_fma_f32 v90, -v79, v111, v1
	v_fmac_f32_e32 v75, v78, v111
	;; [unrolled: 2-line block ×4, first 2 shown]
	s_andn2_b32 exec_lo, exec_lo, s6
	s_cbranch_execnz .LBB50_33
; %bb.34:
	s_or_b32 exec_lo, exec_lo, s6
.LBB50_35:
	s_or_b32 exec_lo, exec_lo, s0
.LBB50_36:
	s_or_b32 exec_lo, exec_lo, s1
.LBB50_37:
	v_mbcnt_lo_u32_b32 v0, -1, 0
	v_xor_b32_e32 v1, 2, v0
	v_cmp_gt_i32_e32 vcc_lo, 32, v1
	v_cndmask_b32_e32 v1, v0, v1, vcc_lo
	v_lshlrev_b32_e32 v1, 2, v1
	ds_bpermute_b32 v2, v1, v91
	ds_bpermute_b32 v3, v1, v85
	;; [unrolled: 1-line block ×8, first 2 shown]
	v_xor_b32_e32 v1, 1, v0
	v_cmp_gt_i32_e32 vcc_lo, 32, v1
	v_cndmask_b32_e32 v0, v0, v1, vcc_lo
	v_cmp_eq_u32_e32 vcc_lo, 3, v84
	s_waitcnt lgkmcnt(6)
	v_add_f32_e32 v1, v85, v3
	v_lshlrev_b32_e32 v15, 2, v0
	v_add_f32_e32 v0, v91, v2
	s_waitcnt lgkmcnt(5)
	v_add_f32_e32 v2, v90, v4
	s_waitcnt lgkmcnt(4)
	;; [unrolled: 2-line block ×6, first 2 shown]
	v_add_f32_e32 v7, v86, v9
	ds_bpermute_b32 v8, v15, v0
	ds_bpermute_b32 v9, v15, v1
	;; [unrolled: 1-line block ×8, first 2 shown]
	s_and_b32 exec_lo, exec_lo, vcc_lo
	s_cbranch_execz .LBB50_8
; %bb.38:
	s_load_dwordx2 s[2:3], s[4:5], 0x58
	s_waitcnt lgkmcnt(0)
	v_add_f32_e32 v8, v0, v8
	v_add_f32_e32 v0, v1, v9
	;; [unrolled: 1-line block ×7, first 2 shown]
	v_mul_f32_e64 v4, v0, -v63
	v_mul_f32_e32 v5, v62, v0
	v_add_f32_e32 v12, v6, v14
	v_mul_f32_e64 v6, v1, -v63
	v_mul_f32_e32 v7, v62, v1
	v_mul_f32_e64 v0, v2, -v63
	v_mul_f32_e32 v1, v62, v2
	;; [unrolled: 2-line block ×3, first 2 shown]
	v_cmp_eq_f32_e32 vcc_lo, 0, v60
	v_cmp_eq_f32_e64 s0, 0, v61
	v_fmac_f32_e32 v4, v62, v8
	v_fmac_f32_e32 v5, v63, v8
	v_lshlrev_b64 v[8:9], 5, v[64:65]
	v_fmac_f32_e32 v6, v62, v10
	v_fmac_f32_e32 v7, v63, v10
	;; [unrolled: 1-line block ×6, first 2 shown]
	s_and_b32 s0, vcc_lo, s0
	s_and_saveexec_b32 s1, s0
	s_xor_b32 s0, exec_lo, s1
	s_cbranch_execz .LBB50_40
; %bb.39:
	v_add_co_u32 v8, vcc_lo, s2, v8
	v_add_co_ci_u32_e64 v9, null, s3, v9, vcc_lo
                                        ; implicit-def: $vgpr60_vgpr61
	global_store_dwordx4 v[8:9], v[4:7], off
	global_store_dwordx4 v[8:9], v[0:3], off offset:16
                                        ; implicit-def: $vgpr4
                                        ; implicit-def: $vgpr8_vgpr9
                                        ; implicit-def: $vgpr0
.LBB50_40:
	s_andn2_saveexec_b32 s0, s0
	s_cbranch_execz .LBB50_8
; %bb.41:
	v_add_co_u32 v16, vcc_lo, s2, v8
	v_add_co_ci_u32_e64 v17, null, s3, v9, vcc_lo
	s_clause 0x1
	global_load_dwordx4 v[8:11], v[16:17], off
	global_load_dwordx4 v[12:15], v[16:17], off offset:16
	s_waitcnt vmcnt(1)
	v_fmac_f32_e32 v4, v60, v8
	v_fmac_f32_e32 v5, v61, v8
	;; [unrolled: 1-line block ×4, first 2 shown]
	s_waitcnt vmcnt(0)
	v_fmac_f32_e32 v0, v60, v12
	v_fmac_f32_e32 v1, v61, v12
	;; [unrolled: 1-line block ×4, first 2 shown]
	v_fma_f32 v4, -v61, v9, v4
	v_fmac_f32_e32 v5, v60, v9
	v_fma_f32 v6, -v61, v11, v6
	v_fmac_f32_e32 v7, v60, v11
	;; [unrolled: 2-line block ×4, first 2 shown]
	global_store_dwordx4 v[16:17], v[4:7], off
	global_store_dwordx4 v[16:17], v[0:3], off offset:16
	s_endpgm
	.section	.rodata,"a",@progbits
	.p2align	6, 0x0
	.amdhsa_kernel _ZN9rocsparseL18bsrxmvn_4x4_kernelILj128ELj4E21rocsparse_complex_numIfEllS2_S2_S2_EEvT3_20rocsparse_direction_NS_24const_host_device_scalarIT1_EES3_PKS3_PKT2_SC_S9_PKT4_PKT5_S7_PT6_21rocsparse_index_base_b
		.amdhsa_group_segment_fixed_size 0
		.amdhsa_private_segment_fixed_size 0
		.amdhsa_kernarg_size 104
		.amdhsa_user_sgpr_count 6
		.amdhsa_user_sgpr_private_segment_buffer 1
		.amdhsa_user_sgpr_dispatch_ptr 0
		.amdhsa_user_sgpr_queue_ptr 0
		.amdhsa_user_sgpr_kernarg_segment_ptr 1
		.amdhsa_user_sgpr_dispatch_id 0
		.amdhsa_user_sgpr_flat_scratch_init 0
		.amdhsa_user_sgpr_private_segment_size 0
		.amdhsa_wavefront_size32 1
		.amdhsa_uses_dynamic_stack 0
		.amdhsa_system_sgpr_private_segment_wavefront_offset 0
		.amdhsa_system_sgpr_workgroup_id_x 1
		.amdhsa_system_sgpr_workgroup_id_y 0
		.amdhsa_system_sgpr_workgroup_id_z 0
		.amdhsa_system_sgpr_workgroup_info 0
		.amdhsa_system_vgpr_workitem_id 0
		.amdhsa_next_free_vgpr 137
		.amdhsa_next_free_sgpr 16
		.amdhsa_reserve_vcc 1
		.amdhsa_reserve_flat_scratch 0
		.amdhsa_float_round_mode_32 0
		.amdhsa_float_round_mode_16_64 0
		.amdhsa_float_denorm_mode_32 3
		.amdhsa_float_denorm_mode_16_64 3
		.amdhsa_dx10_clamp 1
		.amdhsa_ieee_mode 1
		.amdhsa_fp16_overflow 0
		.amdhsa_workgroup_processor_mode 1
		.amdhsa_memory_ordered 1
		.amdhsa_forward_progress 1
		.amdhsa_shared_vgpr_count 0
		.amdhsa_exception_fp_ieee_invalid_op 0
		.amdhsa_exception_fp_denorm_src 0
		.amdhsa_exception_fp_ieee_div_zero 0
		.amdhsa_exception_fp_ieee_overflow 0
		.amdhsa_exception_fp_ieee_underflow 0
		.amdhsa_exception_fp_ieee_inexact 0
		.amdhsa_exception_int_div_zero 0
	.end_amdhsa_kernel
	.section	.text._ZN9rocsparseL18bsrxmvn_4x4_kernelILj128ELj4E21rocsparse_complex_numIfEllS2_S2_S2_EEvT3_20rocsparse_direction_NS_24const_host_device_scalarIT1_EES3_PKS3_PKT2_SC_S9_PKT4_PKT5_S7_PT6_21rocsparse_index_base_b,"axG",@progbits,_ZN9rocsparseL18bsrxmvn_4x4_kernelILj128ELj4E21rocsparse_complex_numIfEllS2_S2_S2_EEvT3_20rocsparse_direction_NS_24const_host_device_scalarIT1_EES3_PKS3_PKT2_SC_S9_PKT4_PKT5_S7_PT6_21rocsparse_index_base_b,comdat
.Lfunc_end50:
	.size	_ZN9rocsparseL18bsrxmvn_4x4_kernelILj128ELj4E21rocsparse_complex_numIfEllS2_S2_S2_EEvT3_20rocsparse_direction_NS_24const_host_device_scalarIT1_EES3_PKS3_PKT2_SC_S9_PKT4_PKT5_S7_PT6_21rocsparse_index_base_b, .Lfunc_end50-_ZN9rocsparseL18bsrxmvn_4x4_kernelILj128ELj4E21rocsparse_complex_numIfEllS2_S2_S2_EEvT3_20rocsparse_direction_NS_24const_host_device_scalarIT1_EES3_PKS3_PKT2_SC_S9_PKT4_PKT5_S7_PT6_21rocsparse_index_base_b
                                        ; -- End function
	.set _ZN9rocsparseL18bsrxmvn_4x4_kernelILj128ELj4E21rocsparse_complex_numIfEllS2_S2_S2_EEvT3_20rocsparse_direction_NS_24const_host_device_scalarIT1_EES3_PKS3_PKT2_SC_S9_PKT4_PKT5_S7_PT6_21rocsparse_index_base_b.num_vgpr, 137
	.set _ZN9rocsparseL18bsrxmvn_4x4_kernelILj128ELj4E21rocsparse_complex_numIfEllS2_S2_S2_EEvT3_20rocsparse_direction_NS_24const_host_device_scalarIT1_EES3_PKS3_PKT2_SC_S9_PKT4_PKT5_S7_PT6_21rocsparse_index_base_b.num_agpr, 0
	.set _ZN9rocsparseL18bsrxmvn_4x4_kernelILj128ELj4E21rocsparse_complex_numIfEllS2_S2_S2_EEvT3_20rocsparse_direction_NS_24const_host_device_scalarIT1_EES3_PKS3_PKT2_SC_S9_PKT4_PKT5_S7_PT6_21rocsparse_index_base_b.numbered_sgpr, 16
	.set _ZN9rocsparseL18bsrxmvn_4x4_kernelILj128ELj4E21rocsparse_complex_numIfEllS2_S2_S2_EEvT3_20rocsparse_direction_NS_24const_host_device_scalarIT1_EES3_PKS3_PKT2_SC_S9_PKT4_PKT5_S7_PT6_21rocsparse_index_base_b.num_named_barrier, 0
	.set _ZN9rocsparseL18bsrxmvn_4x4_kernelILj128ELj4E21rocsparse_complex_numIfEllS2_S2_S2_EEvT3_20rocsparse_direction_NS_24const_host_device_scalarIT1_EES3_PKS3_PKT2_SC_S9_PKT4_PKT5_S7_PT6_21rocsparse_index_base_b.private_seg_size, 0
	.set _ZN9rocsparseL18bsrxmvn_4x4_kernelILj128ELj4E21rocsparse_complex_numIfEllS2_S2_S2_EEvT3_20rocsparse_direction_NS_24const_host_device_scalarIT1_EES3_PKS3_PKT2_SC_S9_PKT4_PKT5_S7_PT6_21rocsparse_index_base_b.uses_vcc, 1
	.set _ZN9rocsparseL18bsrxmvn_4x4_kernelILj128ELj4E21rocsparse_complex_numIfEllS2_S2_S2_EEvT3_20rocsparse_direction_NS_24const_host_device_scalarIT1_EES3_PKS3_PKT2_SC_S9_PKT4_PKT5_S7_PT6_21rocsparse_index_base_b.uses_flat_scratch, 0
	.set _ZN9rocsparseL18bsrxmvn_4x4_kernelILj128ELj4E21rocsparse_complex_numIfEllS2_S2_S2_EEvT3_20rocsparse_direction_NS_24const_host_device_scalarIT1_EES3_PKS3_PKT2_SC_S9_PKT4_PKT5_S7_PT6_21rocsparse_index_base_b.has_dyn_sized_stack, 0
	.set _ZN9rocsparseL18bsrxmvn_4x4_kernelILj128ELj4E21rocsparse_complex_numIfEllS2_S2_S2_EEvT3_20rocsparse_direction_NS_24const_host_device_scalarIT1_EES3_PKS3_PKT2_SC_S9_PKT4_PKT5_S7_PT6_21rocsparse_index_base_b.has_recursion, 0
	.set _ZN9rocsparseL18bsrxmvn_4x4_kernelILj128ELj4E21rocsparse_complex_numIfEllS2_S2_S2_EEvT3_20rocsparse_direction_NS_24const_host_device_scalarIT1_EES3_PKS3_PKT2_SC_S9_PKT4_PKT5_S7_PT6_21rocsparse_index_base_b.has_indirect_call, 0
	.section	.AMDGPU.csdata,"",@progbits
; Kernel info:
; codeLenInByte = 6948
; TotalNumSgprs: 18
; NumVgprs: 137
; ScratchSize: 0
; MemoryBound: 0
; FloatMode: 240
; IeeeMode: 1
; LDSByteSize: 0 bytes/workgroup (compile time only)
; SGPRBlocks: 0
; VGPRBlocks: 17
; NumSGPRsForWavesPerEU: 18
; NumVGPRsForWavesPerEU: 137
; Occupancy: 7
; WaveLimiterHint : 1
; COMPUTE_PGM_RSRC2:SCRATCH_EN: 0
; COMPUTE_PGM_RSRC2:USER_SGPR: 6
; COMPUTE_PGM_RSRC2:TRAP_HANDLER: 0
; COMPUTE_PGM_RSRC2:TGID_X_EN: 1
; COMPUTE_PGM_RSRC2:TGID_Y_EN: 0
; COMPUTE_PGM_RSRC2:TGID_Z_EN: 0
; COMPUTE_PGM_RSRC2:TIDIG_COMP_CNT: 0
	.section	.text._ZN9rocsparseL18bsrxmvn_4x4_kernelILj128ELj8E21rocsparse_complex_numIfEllS2_S2_S2_EEvT3_20rocsparse_direction_NS_24const_host_device_scalarIT1_EES3_PKS3_PKT2_SC_S9_PKT4_PKT5_S7_PT6_21rocsparse_index_base_b,"axG",@progbits,_ZN9rocsparseL18bsrxmvn_4x4_kernelILj128ELj8E21rocsparse_complex_numIfEllS2_S2_S2_EEvT3_20rocsparse_direction_NS_24const_host_device_scalarIT1_EES3_PKS3_PKT2_SC_S9_PKT4_PKT5_S7_PT6_21rocsparse_index_base_b,comdat
	.globl	_ZN9rocsparseL18bsrxmvn_4x4_kernelILj128ELj8E21rocsparse_complex_numIfEllS2_S2_S2_EEvT3_20rocsparse_direction_NS_24const_host_device_scalarIT1_EES3_PKS3_PKT2_SC_S9_PKT4_PKT5_S7_PT6_21rocsparse_index_base_b ; -- Begin function _ZN9rocsparseL18bsrxmvn_4x4_kernelILj128ELj8E21rocsparse_complex_numIfEllS2_S2_S2_EEvT3_20rocsparse_direction_NS_24const_host_device_scalarIT1_EES3_PKS3_PKT2_SC_S9_PKT4_PKT5_S7_PT6_21rocsparse_index_base_b
	.p2align	8
	.type	_ZN9rocsparseL18bsrxmvn_4x4_kernelILj128ELj8E21rocsparse_complex_numIfEllS2_S2_S2_EEvT3_20rocsparse_direction_NS_24const_host_device_scalarIT1_EES3_PKS3_PKT2_SC_S9_PKT4_PKT5_S7_PT6_21rocsparse_index_base_b,@function
_ZN9rocsparseL18bsrxmvn_4x4_kernelILj128ELj8E21rocsparse_complex_numIfEllS2_S2_S2_EEvT3_20rocsparse_direction_NS_24const_host_device_scalarIT1_EES3_PKS3_PKT2_SC_S9_PKT4_PKT5_S7_PT6_21rocsparse_index_base_b: ; @_ZN9rocsparseL18bsrxmvn_4x4_kernelILj128ELj8E21rocsparse_complex_numIfEllS2_S2_S2_EEvT3_20rocsparse_direction_NS_24const_host_device_scalarIT1_EES3_PKS3_PKT2_SC_S9_PKT4_PKT5_S7_PT6_21rocsparse_index_base_b
; %bb.0:
	s_clause 0x2
	s_load_dwordx2 s[8:9], s[4:5], 0x60
	s_load_dwordx4 s[0:3], s[4:5], 0x10
	s_load_dwordx2 s[10:11], s[4:5], 0x50
	s_add_u32 s7, s4, 16
	s_addc_u32 s12, s5, 0
	s_add_u32 s13, s4, 0x50
	s_addc_u32 s14, s5, 0
	s_waitcnt lgkmcnt(0)
	s_bitcmp1_b32 s9, 0
	s_cselect_b32 s0, s7, s0
	s_cselect_b32 s1, s12, s1
	v_mov_b32_e32 v1, s0
	v_mov_b32_e32 v2, s1
	s_cselect_b32 s0, s13, s10
	s_cselect_b32 s1, s14, s11
	flat_load_dwordx2 v[66:67], v[1:2]
	v_mov_b32_e32 v1, s0
	v_mov_b32_e32 v2, s1
	flat_load_dwordx2 v[64:65], v[1:2]
	s_waitcnt vmcnt(1) lgkmcnt(1)
	v_cmp_eq_f32_e32 vcc_lo, 0, v66
	v_cmp_eq_f32_e64 s0, 0, v67
	s_and_b32 s7, vcc_lo, s0
	s_mov_b32 s0, -1
	s_and_saveexec_b32 s1, s7
	s_cbranch_execz .LBB51_2
; %bb.1:
	s_waitcnt vmcnt(0) lgkmcnt(0)
	v_cmp_neq_f32_e32 vcc_lo, 1.0, v64
	v_cmp_neq_f32_e64 s0, 0, v65
	s_or_b32 s0, vcc_lo, s0
	s_orn2_b32 s0, s0, exec_lo
.LBB51_2:
	s_or_b32 exec_lo, exec_lo, s1
	s_and_saveexec_b32 s1, s0
	s_cbranch_execz .LBB51_8
; %bb.3:
	s_load_dwordx2 s[0:1], s[4:5], 0x20
	v_lshrrev_b32_e32 v1, 3, v0
	v_mov_b32_e32 v2, 0
	v_lshl_or_b32 v1, s6, 4, v1
	s_waitcnt lgkmcnt(0)
	s_cmp_lg_u64 s[0:1], 0
	s_cbranch_scc0 .LBB51_9
; %bb.4:
	v_cmp_gt_i64_e32 vcc_lo, s[2:3], v[1:2]
	s_mov_b32 s3, 0
	s_mov_b32 s2, 0
                                        ; implicit-def: $vgpr68_vgpr69
                                        ; implicit-def: $vgpr70_vgpr71
	s_and_saveexec_b32 s6, vcc_lo
	s_xor_b32 s6, exec_lo, s6
	s_cbranch_execz .LBB51_6
; %bb.5:
	v_lshlrev_b64 v[3:4], 3, v[1:2]
	s_mov_b32 s9, 0
	s_mov_b32 s2, exec_lo
	v_mov_b32_e32 v71, s9
	v_mov_b32_e32 v70, s8
	v_add_co_u32 v3, vcc_lo, s0, v3
	v_add_co_ci_u32_e64 v4, null, s1, v4, vcc_lo
	global_load_dwordx2 v[3:4], v[3:4], off
	s_waitcnt vmcnt(0)
	v_sub_co_u32 v68, vcc_lo, v3, s8
	v_subrev_co_ci_u32_e64 v69, null, 0, v4, vcc_lo
.LBB51_6:
	s_or_b32 exec_lo, exec_lo, s6
	s_and_b32 vcc_lo, exec_lo, s3
	s_cbranch_vccnz .LBB51_10
.LBB51_7:
	s_and_b32 exec_lo, exec_lo, s2
	s_cbranch_execnz .LBB51_13
.LBB51_8:
	s_endpgm
.LBB51_9:
	s_mov_b32 s2, 0
                                        ; implicit-def: $vgpr68_vgpr69
                                        ; implicit-def: $vgpr70_vgpr71
	s_cbranch_execz .LBB51_7
.LBB51_10:
	s_load_dwordx2 s[0:1], s[4:5], 0x0
	s_waitcnt lgkmcnt(0)
	v_cmp_gt_i64_e32 vcc_lo, s[0:1], v[1:2]
	s_and_saveexec_b32 s0, vcc_lo
; %bb.11:
	s_mov_b32 s9, 0
	s_or_b32 s2, s2, exec_lo
; %bb.12:
	s_or_b32 exec_lo, exec_lo, s0
	v_mov_b32_e32 v71, s9
	v_mov_b32_e32 v69, v2
	;; [unrolled: 1-line block ×4, first 2 shown]
	s_and_b32 exec_lo, exec_lo, s2
	s_cbranch_execz .LBB51_8
.LBB51_13:
	s_load_dwordx8 s[8:15], s[4:5], 0x28
	v_lshlrev_b64 v[1:2], 3, v[68:69]
	v_and_b32_e32 v90, 7, v0
	s_clause 0x1
	s_load_dword s1, s[4:5], 0x8
	s_load_dwordx2 s[2:3], s[4:5], 0x48
	v_mov_b32_e32 v91, 0
	s_waitcnt lgkmcnt(0)
	v_add_co_u32 v3, vcc_lo, s8, v1
	v_add_co_ci_u32_e64 v4, null, s9, v2, vcc_lo
	v_add_co_u32 v1, vcc_lo, s10, v1
	v_add_co_ci_u32_e64 v2, null, s11, v2, vcc_lo
	v_add_co_u32 v5, vcc_lo, v3, 8
	global_load_dwordx2 v[80:81], v[3:4], off
	v_add_co_ci_u32_e64 v6, null, 0, v4, vcc_lo
	s_cmp_eq_u64 s[10:11], 0
	s_cselect_b32 vcc_lo, -1, 0
	s_cmp_eq_u32 s1, 1
	v_cndmask_b32_e32 v2, v2, v6, vcc_lo
	v_cndmask_b32_e32 v1, v1, v5, vcc_lo
	global_load_dwordx2 v[1:2], v[1:2], off
	s_waitcnt vmcnt(1)
	v_sub_co_u32 v0, vcc_lo, v80, v70
	v_sub_co_ci_u32_e64 v3, null, v81, v71, vcc_lo
	v_add_co_u32 v72, vcc_lo, v0, v90
	v_add_co_ci_u32_e64 v73, null, 0, v3, vcc_lo
	s_waitcnt vmcnt(0)
	v_sub_co_u32 v74, vcc_lo, v1, v70
	v_lshlrev_b64 v[0:1], 7, v[72:73]
	v_sub_co_ci_u32_e64 v75, null, v2, v71, vcc_lo
	v_add_co_u32 v76, vcc_lo, s14, v0
	v_cmp_lt_i64_e64 s0, v[72:73], v[74:75]
	v_add_co_ci_u32_e64 v77, null, s15, v1, vcc_lo
	s_cbranch_scc1 .LBB51_25
; %bb.14:
	v_mov_b32_e32 v96, 0
	v_mov_b32_e32 v94, 0
	;; [unrolled: 1-line block ×7, first 2 shown]
	s_and_saveexec_b32 s6, s0
	s_cbranch_execz .LBB51_24
; %bb.15:
	v_or_b32_e32 v0, 8, v90
	v_not_b32_e32 v3, v80
	v_sub_co_u32 v4, s1, v70, v90
	v_not_b32_e32 v2, v81
	v_sub_co_u32 v0, vcc_lo, v0, v70
	v_sub_co_ci_u32_e64 v1, null, 0, v71, vcc_lo
	v_subrev_co_ci_u32_e64 v5, null, 0, v71, s1
	v_add_co_u32 v0, vcc_lo, v0, v80
	v_add_co_ci_u32_e64 v1, null, v1, v81, vcc_lo
	v_mov_b32_e32 v79, 0
	v_mov_b32_e32 v83, v77
	;; [unrolled: 1-line block ×3, first 2 shown]
	v_cmp_gt_i64_e32 vcc_lo, v[0:1], v[74:75]
	v_mov_b32_e32 v82, v76
	v_mov_b32_e32 v97, v79
	;; [unrolled: 1-line block ×5, first 2 shown]
	v_cndmask_b32_e32 v1, v75, v1, vcc_lo
	v_cndmask_b32_e32 v0, v74, v0, vcc_lo
	v_add_co_u32 v3, vcc_lo, v4, v3
	v_add_co_ci_u32_e64 v2, null, v5, v2, vcc_lo
	v_mov_b32_e32 v94, v79
	v_add_co_u32 v0, vcc_lo, v3, v0
	v_add_co_ci_u32_e64 v1, null, v2, v1, vcc_lo
	v_mov_b32_e32 v96, v79
	v_and_b32_e32 v78, 24, v0
	v_mov_b32_e32 v91, v79
	v_mov_b32_e32 v84, v72
	s_mov_b32 s1, exec_lo
	v_cmpx_ne_u64_e32 24, v[78:79]
	s_cbranch_execz .LBB51_19
; %bb.16:
	v_lshrrev_b32_e32 v2, 3, v0
	v_mov_b32_e32 v85, v73
	v_mov_b32_e32 v83, v77
	v_mov_b32_e32 v91, 0
	v_mov_b32_e32 v84, v72
	v_add_nc_u32_e32 v4, 1, v2
	v_lshlrev_b64 v[2:3], 3, v[72:73]
	v_mov_b32_e32 v82, v76
	v_mov_b32_e32 v96, 0
	;; [unrolled: 1-line block ×3, first 2 shown]
	v_and_b32_e32 v4, 3, v4
	v_mov_b32_e32 v92, 0
	v_add_co_u32 v2, vcc_lo, s12, v2
	v_add_co_ci_u32_e64 v3, null, s13, v3, vcc_lo
	v_sub_co_u32 v4, s7, 0, v4
	v_sub_co_ci_u32_e64 v5, null, 0, 0, s7
	v_mov_b32_e32 v95, 0
	v_mov_b32_e32 v93, 0
	;; [unrolled: 1-line block ×4, first 2 shown]
	s_mov_b32 s7, 0
.LBB51_17:                              ; =>This Inner Loop Header: Depth=1
	global_load_dwordx2 v[38:39], v[2:3], off
	s_clause 0x7
	global_load_dwordx4 v[6:9], v[82:83], off offset:48
	global_load_dwordx4 v[10:13], v[82:83], off offset:32
	;; [unrolled: 1-line block ×3, first 2 shown]
	global_load_dwordx4 v[18:21], v[82:83], off
	global_load_dwordx4 v[22:25], v[82:83], off offset:112
	global_load_dwordx4 v[26:29], v[82:83], off offset:96
	;; [unrolled: 1-line block ×4, first 2 shown]
	s_waitcnt vmcnt(8)
	v_sub_co_u32 v38, vcc_lo, v38, v70
	v_sub_co_ci_u32_e64 v39, null, v39, v71, vcc_lo
	v_lshlrev_b64 v[38:39], 5, v[38:39]
	v_add_co_u32 v42, vcc_lo, s2, v38
	v_add_co_ci_u32_e64 v43, null, s3, v39, vcc_lo
	v_add_co_u32 v82, vcc_lo, 0x400, v82
	v_add_co_ci_u32_e64 v83, null, 0, v83, vcc_lo
	s_clause 0x1
	global_load_dwordx4 v[38:41], v[42:43], off
	global_load_dwordx4 v[42:45], v[42:43], off offset:16
	v_add_co_u32 v84, vcc_lo, v84, 8
	v_add_co_ci_u32_e64 v85, null, 0, v85, vcc_lo
	v_add_co_u32 v4, vcc_lo, v4, 1
	v_add_co_ci_u32_e64 v5, null, 0, v5, vcc_lo
	;; [unrolled: 2-line block ×3, first 2 shown]
	v_cmp_eq_u64_e32 vcc_lo, 0, v[4:5]
	s_or_b32 s7, vcc_lo, s7
	s_waitcnt vmcnt(1)
	v_fmac_f32_e32 v96, v18, v38
	v_fmac_f32_e32 v91, v19, v38
	;; [unrolled: 1-line block ×8, first 2 shown]
	v_fma_f32 v19, -v19, v39, v96
	v_fmac_f32_e32 v91, v18, v39
	v_fma_f32 v11, -v11, v39, v97
	v_fmac_f32_e32 v79, v10, v39
	;; [unrolled: 2-line block ×4, first 2 shown]
	v_fmac_f32_e32 v19, v20, v40
	v_fmac_f32_e32 v91, v21, v40
	;; [unrolled: 1-line block ×8, first 2 shown]
	v_fma_f32 v19, -v21, v41, v19
	v_fmac_f32_e32 v91, v20, v41
	v_fma_f32 v11, -v13, v41, v11
	v_fmac_f32_e32 v79, v12, v41
	v_fma_f32 v10, -v37, v41, v10
	v_fmac_f32_e32 v93, v36, v41
	v_fma_f32 v12, -v29, v41, v18
	v_fmac_f32_e32 v92, v28, v41
	s_waitcnt vmcnt(0)
	v_fmac_f32_e32 v19, v14, v42
	v_fmac_f32_e32 v91, v15, v42
	;; [unrolled: 1-line block ×8, first 2 shown]
	v_fma_f32 v13, -v15, v43, v19
	v_fmac_f32_e32 v91, v14, v43
	v_fma_f32 v7, -v7, v43, v11
	v_fmac_f32_e32 v79, v6, v43
	;; [unrolled: 2-line block ×4, first 2 shown]
	v_fmac_f32_e32 v13, v16, v44
	v_fmac_f32_e32 v91, v17, v44
	;; [unrolled: 1-line block ×8, first 2 shown]
	v_fma_f32 v96, -v17, v45, v13
	v_fmac_f32_e32 v91, v16, v45
	v_fma_f32 v97, -v9, v45, v7
	v_fmac_f32_e32 v79, v8, v45
	;; [unrolled: 2-line block ×4, first 2 shown]
	s_andn2_b32 exec_lo, exec_lo, s7
	s_cbranch_execnz .LBB51_17
; %bb.18:
	s_or_b32 exec_lo, exec_lo, s7
.LBB51_19:
	s_or_b32 exec_lo, exec_lo, s1
	s_mov_b32 s1, exec_lo
	v_cmpx_lt_u64_e32 23, v[0:1]
	s_cbranch_execz .LBB51_23
; %bb.20:
	v_lshlrev_b64 v[0:1], 3, v[84:85]
	s_mov_b32 s7, 0
	v_add_co_u32 v0, vcc_lo, s12, v0
	v_add_co_ci_u32_e64 v1, null, s13, v1, vcc_lo
	v_add_co_u32 v86, vcc_lo, 0x80, v0
	v_add_co_ci_u32_e64 v87, null, 0, v1, vcc_lo
.LBB51_21:                              ; =>This Inner Loop Header: Depth=1
	global_load_dwordx2 v[88:89], v[86:87], off offset:-128
	s_clause 0xd
	global_load_dwordx4 v[24:27], v[82:83], off offset:48
	global_load_dwordx4 v[40:43], v[82:83], off offset:32
	global_load_dwordx4 v[28:31], v[82:83], off offset:16
	global_load_dwordx4 v[48:51], v[82:83], off
	global_load_dwordx4 v[12:15], v[82:83], off offset:112
	global_load_dwordx4 v[52:55], v[82:83], off offset:96
	;; [unrolled: 1-line block ×10, first 2 shown]
	v_add_co_u32 v130, vcc_lo, 0x800, v82
	v_add_co_ci_u32_e64 v131, null, 0, v83, vcc_lo
	s_clause 0x2
	global_load_dwordx2 v[132:133], v[86:87], off offset:-64
	global_load_dwordx2 v[134:135], v[86:87], off
	global_load_dwordx2 v[136:137], v[86:87], off offset:64
	s_clause 0x7
	global_load_dwordx4 v[102:105], v[82:83], off offset:1104
	global_load_dwordx4 v[106:109], v[82:83], off offset:1088
	;; [unrolled: 1-line block ×4, first 2 shown]
	global_load_dwordx4 v[114:117], v[130:131], off
	global_load_dwordx4 v[56:59], v[130:131], off offset:16
	global_load_dwordx4 v[60:63], v[130:131], off offset:112
	;; [unrolled: 1-line block ×3, first 2 shown]
	s_waitcnt vmcnt(25)
	v_sub_co_u32 v88, vcc_lo, v88, v70
	v_sub_co_ci_u32_e64 v89, null, v89, v71, vcc_lo
	v_lshlrev_b64 v[88:89], 5, v[88:89]
	v_add_co_u32 v88, vcc_lo, s2, v88
	v_add_co_ci_u32_e64 v89, null, s3, v89, vcc_lo
	s_clause 0x1
	global_load_dwordx4 v[122:125], v[88:89], off
	global_load_dwordx4 v[126:129], v[88:89], off offset:16
	s_waitcnt vmcnt(1)
	v_fmac_f32_e32 v96, v48, v122
	v_fmac_f32_e32 v91, v49, v122
	;; [unrolled: 1-line block ×8, first 2 shown]
	v_fma_f32 v49, -v49, v123, v96
	v_fmac_f32_e32 v91, v48, v123
	v_fma_f32 v41, -v41, v123, v97
	v_fmac_f32_e32 v79, v40, v123
	;; [unrolled: 2-line block ×4, first 2 shown]
	v_fmac_f32_e32 v49, v50, v124
	v_fmac_f32_e32 v91, v51, v124
	;; [unrolled: 1-line block ×8, first 2 shown]
	v_fma_f32 v78, -v51, v125, v49
	v_fmac_f32_e32 v91, v50, v125
	v_fma_f32 v138, -v43, v125, v41
	v_fmac_f32_e32 v79, v42, v125
	;; [unrolled: 2-line block ×4, first 2 shown]
	v_sub_co_u32 v88, vcc_lo, v132, v70
	v_sub_co_ci_u32_e64 v89, null, v133, v71, vcc_lo
	s_waitcnt vmcnt(0)
	v_fmac_f32_e32 v78, v28, v126
	v_fmac_f32_e32 v91, v29, v126
	;; [unrolled: 1-line block ×8, first 2 shown]
	v_lshlrev_b64 v[88:89], 5, v[88:89]
	v_fma_f32 v29, -v29, v127, v78
	v_fmac_f32_e32 v91, v28, v127
	v_fma_f32 v25, -v25, v127, v138
	v_fmac_f32_e32 v79, v24, v127
	;; [unrolled: 2-line block ×4, first 2 shown]
	v_add_co_u32 v88, vcc_lo, s2, v88
	v_add_co_ci_u32_e64 v89, null, s3, v89, vcc_lo
	v_fmac_f32_e32 v29, v30, v128
	v_fmac_f32_e32 v91, v31, v128
	;; [unrolled: 1-line block ×8, first 2 shown]
	s_clause 0x4
	global_load_dwordx4 v[48:51], v[130:131], off offset:80
	global_load_dwordx4 v[40:43], v[130:131], off offset:64
	;; [unrolled: 1-line block ×5, first 2 shown]
	v_fma_f32 v78, -v31, v129, v29
	v_fmac_f32_e32 v91, v30, v129
	global_load_dwordx4 v[28:31], v[130:131], off offset:1024
	v_fma_f32 v100, -v27, v129, v25
	v_fmac_f32_e32 v79, v26, v129
	global_load_dwordx4 v[24:27], v[130:131], off offset:1136
	;; [unrolled: 3-line block ×3, first 2 shown]
	v_fma_f32 v138, -v15, v129, v13
	v_fmac_f32_e32 v92, v14, v129
	s_clause 0x1
	global_load_dwordx4 v[12:15], v[88:89], off
	global_load_dwordx4 v[126:129], v[88:89], off offset:16
	v_sub_co_u32 v88, vcc_lo, v134, v70
	v_sub_co_ci_u32_e64 v89, null, v135, v71, vcc_lo
	v_sub_co_u32 v94, vcc_lo, v136, v70
	v_sub_co_ci_u32_e64 v95, null, v137, v71, vcc_lo
	v_lshlrev_b64 v[88:89], 5, v[88:89]
	v_lshlrev_b64 v[94:95], 5, v[94:95]
	v_add_co_u32 v88, vcc_lo, s2, v88
	v_add_co_ci_u32_e64 v89, null, s3, v89, vcc_lo
	v_add_co_u32 v94, vcc_lo, s2, v94
	v_add_co_ci_u32_e64 v95, null, s3, v95, vcc_lo
	;; [unrolled: 2-line block ×5, first 2 shown]
	v_cmp_ge_i64_e32 vcc_lo, v[84:85], v[74:75]
	s_or_b32 s7, vcc_lo, s7
	s_waitcnt vmcnt(1)
	v_fmac_f32_e32 v100, v16, v12
	v_fmac_f32_e32 v79, v17, v12
	;; [unrolled: 1-line block ×5, first 2 shown]
	v_fma_f32 v17, -v17, v13, v100
	v_fmac_f32_e32 v79, v16, v13
	v_fma_f32 v101, -v107, v13, v101
	v_fmac_f32_e32 v93, v106, v13
	v_fmac_f32_e32 v91, v37, v12
	;; [unrolled: 1-line block ×7, first 2 shown]
	v_fma_f32 v100, -v19, v15, v17
	v_fmac_f32_e32 v79, v18, v15
	global_load_dwordx4 v[16:19], v[88:89], off
	v_fma_f32 v101, -v109, v15, v101
	v_fmac_f32_e32 v93, v108, v15
	global_load_dwordx4 v[106:109], v[88:89], off offset:16
	v_fmac_f32_e32 v92, v33, v12
	v_fma_f32 v37, -v37, v13, v78
	v_fmac_f32_e32 v91, v36, v13
	v_fma_f32 v12, -v33, v13, v138
	s_waitcnt vmcnt(2)
	v_fmac_f32_e32 v100, v0, v126
	v_fmac_f32_e32 v92, v32, v13
	;; [unrolled: 1-line block ×7, first 2 shown]
	v_fma_f32 v78, -v39, v15, v37
	v_fmac_f32_e32 v91, v38, v15
	s_clause 0x1
	global_load_dwordx4 v[36:39], v[130:131], off offset:1104
	global_load_dwordx4 v[130:133], v[130:131], off offset:1088
	v_fma_f32 v88, -v35, v15, v12
	v_fmac_f32_e32 v92, v34, v15
	s_clause 0x1
	global_load_dwordx4 v[12:15], v[94:95], off
	global_load_dwordx4 v[32:35], v[94:95], off offset:16
	v_fmac_f32_e32 v78, v4, v126
	v_fmac_f32_e32 v91, v5, v126
	v_fmac_f32_e32 v101, v102, v126
	v_fmac_f32_e32 v93, v103, v126
	v_fmac_f32_e32 v88, v8, v126
	v_fmac_f32_e32 v92, v9, v126
	v_fma_f32 v5, -v5, v127, v78
	v_fmac_f32_e32 v91, v4, v127
	v_fma_f32 v1, -v1, v127, v100
	v_fmac_f32_e32 v79, v0, v127
	v_fma_f32 v0, -v103, v127, v101
	v_fmac_f32_e32 v93, v102, v127
	v_fma_f32 v4, -v9, v127, v88
	v_fmac_f32_e32 v92, v8, v127
	v_fmac_f32_e32 v5, v6, v128
	v_fmac_f32_e32 v91, v7, v128
	v_fmac_f32_e32 v1, v2, v128
	v_fmac_f32_e32 v79, v3, v128
	v_fmac_f32_e32 v0, v104, v128
	v_fmac_f32_e32 v93, v105, v128
	v_fmac_f32_e32 v4, v10, v128
	v_fmac_f32_e32 v92, v11, v128
	v_fma_f32 v5, -v7, v129, v5
	v_fmac_f32_e32 v91, v6, v129
	v_fma_f32 v1, -v3, v129, v1
	v_fmac_f32_e32 v79, v2, v129
	v_fma_f32 v0, -v105, v129, v0
	v_fmac_f32_e32 v93, v104, v129
	v_fma_f32 v2, -v11, v129, v4
	v_fmac_f32_e32 v92, v10, v129
	s_waitcnt vmcnt(5)
	v_fmac_f32_e32 v5, v114, v16
	v_fmac_f32_e32 v91, v115, v16
	v_fmac_f32_e32 v1, v110, v16
	v_fmac_f32_e32 v79, v111, v16
	v_fmac_f32_e32 v0, v40, v16
	v_fmac_f32_e32 v93, v41, v16
	v_fmac_f32_e32 v2, v118, v16
	v_fmac_f32_e32 v92, v119, v16
	v_fma_f32 v3, -v115, v17, v5
	v_fmac_f32_e32 v91, v114, v17
	v_fma_f32 v1, -v111, v17, v1
	v_fmac_f32_e32 v79, v110, v17
	v_fma_f32 v0, -v41, v17, v0
	v_fmac_f32_e32 v93, v40, v17
	v_fma_f32 v2, -v119, v17, v2
	v_fmac_f32_e32 v92, v118, v17
	v_fmac_f32_e32 v3, v116, v18
	v_fmac_f32_e32 v91, v117, v18
	v_fmac_f32_e32 v1, v112, v18
	v_fmac_f32_e32 v79, v113, v18
	v_fmac_f32_e32 v0, v42, v18
	v_fmac_f32_e32 v93, v43, v18
	v_fmac_f32_e32 v2, v120, v18
	v_fmac_f32_e32 v92, v121, v18
	v_fma_f32 v3, -v117, v19, v3
	v_fmac_f32_e32 v91, v116, v19
	v_fma_f32 v1, -v113, v19, v1
	v_fmac_f32_e32 v79, v112, v19
	v_fma_f32 v0, -v43, v19, v0
	v_fmac_f32_e32 v93, v42, v19
	v_fma_f32 v2, -v121, v19, v2
	v_fmac_f32_e32 v92, v120, v19
	s_waitcnt vmcnt(4)
	v_fmac_f32_e32 v3, v56, v106
	v_fmac_f32_e32 v91, v57, v106
	;; [unrolled: 33-line block ×4, first 2 shown]
	v_fmac_f32_e32 v1, v96, v32
	v_fmac_f32_e32 v79, v97, v32
	;; [unrolled: 1-line block ×6, first 2 shown]
	v_fma_f32 v3, -v123, v33, v3
	v_fmac_f32_e32 v91, v122, v33
	v_fma_f32 v1, -v97, v33, v1
	v_fmac_f32_e32 v79, v96, v33
	v_fma_f32 v0, -v37, v33, v0
	v_fmac_f32_e32 v93, v36, v33
	v_fma_f32 v2, -v25, v33, v2
	v_fmac_f32_e32 v92, v24, v33
	v_fmac_f32_e32 v3, v124, v34
	v_fmac_f32_e32 v91, v125, v34
	;; [unrolled: 1-line block ×8, first 2 shown]
	v_fma_f32 v96, -v125, v35, v3
	v_fmac_f32_e32 v91, v124, v35
	v_fma_f32 v97, -v99, v35, v1
	v_fmac_f32_e32 v79, v98, v35
	;; [unrolled: 2-line block ×4, first 2 shown]
	s_andn2_b32 exec_lo, exec_lo, s7
	s_cbranch_execnz .LBB51_21
; %bb.22:
	s_or_b32 exec_lo, exec_lo, s7
.LBB51_23:
	s_or_b32 exec_lo, exec_lo, s1
.LBB51_24:
	s_or_b32 exec_lo, exec_lo, s6
	s_cbranch_execz .LBB51_26
	s_branch .LBB51_37
.LBB51_25:
                                        ; implicit-def: $vgpr91
                                        ; implicit-def: $vgpr96
                                        ; implicit-def: $vgpr94
                                        ; implicit-def: $vgpr92
                                        ; implicit-def: $vgpr95
                                        ; implicit-def: $vgpr93
                                        ; implicit-def: $vgpr97
                                        ; implicit-def: $vgpr79
.LBB51_26:
	v_mov_b32_e32 v91, 0
	v_mov_b32_e32 v96, 0
	;; [unrolled: 1-line block ×8, first 2 shown]
	s_and_saveexec_b32 s1, s0
	s_cbranch_execz .LBB51_36
; %bb.27:
	v_or_b32_e32 v0, 8, v90
	v_not_b32_e32 v3, v80
	v_not_b32_e32 v2, v81
	v_mov_b32_e32 v79, 0
	v_sub_co_u32 v0, vcc_lo, v0, v70
	v_sub_co_ci_u32_e64 v1, null, 0, v71, vcc_lo
	v_mov_b32_e32 v97, v79
	v_add_co_u32 v0, vcc_lo, v0, v80
	v_add_co_ci_u32_e64 v1, null, v1, v81, vcc_lo
	v_sub_co_u32 v4, vcc_lo, v70, v90
	v_subrev_co_ci_u32_e64 v5, null, 0, v71, vcc_lo
	v_cmp_gt_i64_e64 s0, v[0:1], v[74:75]
	v_add_co_u32 v3, vcc_lo, v4, v3
	v_add_co_ci_u32_e64 v2, null, v5, v2, vcc_lo
	v_mov_b32_e32 v93, v79
	v_cndmask_b32_e64 v0, v74, v0, s0
	v_cndmask_b32_e64 v1, v75, v1, s0
	v_mov_b32_e32 v95, v79
	v_mov_b32_e32 v92, v79
	v_mov_b32_e32 v94, v79
	v_add_co_u32 v0, vcc_lo, v3, v0
	v_add_co_ci_u32_e64 v1, null, v2, v1, vcc_lo
	v_mov_b32_e32 v96, v79
	v_and_b32_e32 v78, 24, v0
	v_mov_b32_e32 v91, v79
	s_mov_b32 s0, exec_lo
	v_cmpx_ne_u64_e32 24, v[78:79]
	s_cbranch_execz .LBB51_31
; %bb.28:
	v_lshrrev_b32_e32 v2, 3, v0
	v_mov_b32_e32 v91, 0
	v_mov_b32_e32 v96, 0
	;; [unrolled: 1-line block ×4, first 2 shown]
	v_add_nc_u32_e32 v4, 1, v2
	v_lshlrev_b64 v[2:3], 3, v[72:73]
	v_mov_b32_e32 v95, 0
	v_mov_b32_e32 v93, 0
	;; [unrolled: 1-line block ×3, first 2 shown]
	v_and_b32_e32 v4, 3, v4
	v_mov_b32_e32 v79, 0
	v_add_co_u32 v2, vcc_lo, s12, v2
	v_add_co_ci_u32_e64 v3, null, s13, v3, vcc_lo
	v_sub_co_u32 v4, s6, 0, v4
	v_sub_co_ci_u32_e64 v5, null, 0, 0, s6
	s_mov_b32 s6, 0
.LBB51_29:                              ; =>This Inner Loop Header: Depth=1
	global_load_dwordx2 v[18:19], v[2:3], off
	s_clause 0x2
	global_load_dwordx4 v[6:9], v[76:77], off offset:32
	global_load_dwordx4 v[10:13], v[76:77], off offset:16
	global_load_dwordx4 v[14:17], v[76:77], off
	s_waitcnt vmcnt(3)
	v_sub_co_u32 v18, vcc_lo, v18, v70
	v_sub_co_ci_u32_e64 v19, null, v19, v71, vcc_lo
	v_lshlrev_b64 v[18:19], 5, v[18:19]
	v_add_co_u32 v22, vcc_lo, s2, v18
	v_add_co_ci_u32_e64 v23, null, s3, v19, vcc_lo
	s_clause 0x1
	global_load_dwordx4 v[18:21], v[22:23], off
	global_load_dwordx4 v[22:25], v[22:23], off offset:16
	s_clause 0x4
	global_load_dwordx4 v[26:29], v[76:77], off offset:48
	global_load_dwordx4 v[30:33], v[76:77], off offset:64
	;; [unrolled: 1-line block ×5, first 2 shown]
	v_add_co_u32 v76, vcc_lo, 0x400, v76
	v_add_co_ci_u32_e64 v77, null, 0, v77, vcc_lo
	v_add_co_u32 v72, vcc_lo, v72, 8
	v_add_co_ci_u32_e64 v73, null, 0, v73, vcc_lo
	;; [unrolled: 2-line block ×4, first 2 shown]
	v_cmp_eq_u64_e32 vcc_lo, 0, v[4:5]
	s_or_b32 s6, vcc_lo, s6
	s_waitcnt vmcnt(6)
	v_fmac_f32_e32 v96, v14, v18
	v_fmac_f32_e32 v91, v15, v18
	;; [unrolled: 1-line block ×8, first 2 shown]
	v_fma_f32 v15, -v15, v19, v96
	v_fmac_f32_e32 v91, v14, v19
	v_fma_f32 v14, -v17, v19, v97
	v_fmac_f32_e32 v79, v16, v19
	;; [unrolled: 2-line block ×4, first 2 shown]
	v_fmac_f32_e32 v15, v6, v20
	v_fmac_f32_e32 v91, v7, v20
	;; [unrolled: 1-line block ×4, first 2 shown]
	s_waitcnt vmcnt(4)
	v_fmac_f32_e32 v11, v26, v20
	v_fmac_f32_e32 v93, v27, v20
	;; [unrolled: 1-line block ×4, first 2 shown]
	v_fma_f32 v7, -v7, v21, v15
	v_fmac_f32_e32 v91, v6, v21
	v_fma_f32 v6, -v9, v21, v14
	v_fmac_f32_e32 v79, v8, v21
	;; [unrolled: 2-line block ×4, first 2 shown]
	s_waitcnt vmcnt(3)
	v_fmac_f32_e32 v7, v30, v22
	v_fmac_f32_e32 v91, v31, v22
	;; [unrolled: 1-line block ×4, first 2 shown]
	s_waitcnt vmcnt(2)
	v_fmac_f32_e32 v8, v34, v22
	v_fmac_f32_e32 v93, v35, v22
	v_fmac_f32_e32 v9, v36, v22
	v_fmac_f32_e32 v92, v37, v22
	v_fma_f32 v7, -v31, v23, v7
	v_fmac_f32_e32 v91, v30, v23
	v_fma_f32 v6, -v33, v23, v6
	v_fmac_f32_e32 v79, v32, v23
	;; [unrolled: 2-line block ×4, first 2 shown]
	s_waitcnt vmcnt(1)
	v_fmac_f32_e32 v7, v38, v24
	v_fmac_f32_e32 v91, v39, v24
	;; [unrolled: 1-line block ×4, first 2 shown]
	s_waitcnt vmcnt(0)
	v_fmac_f32_e32 v8, v42, v24
	v_fmac_f32_e32 v93, v43, v24
	;; [unrolled: 1-line block ×4, first 2 shown]
	v_fma_f32 v96, -v39, v25, v7
	v_fmac_f32_e32 v91, v38, v25
	v_fma_f32 v97, -v41, v25, v6
	v_fmac_f32_e32 v79, v40, v25
	;; [unrolled: 2-line block ×4, first 2 shown]
	s_andn2_b32 exec_lo, exec_lo, s6
	s_cbranch_execnz .LBB51_29
; %bb.30:
	s_or_b32 exec_lo, exec_lo, s6
.LBB51_31:
	s_or_b32 exec_lo, exec_lo, s0
	s_mov_b32 s0, exec_lo
	v_cmpx_lt_u64_e32 23, v[0:1]
	s_cbranch_execz .LBB51_35
; %bb.32:
	v_lshlrev_b64 v[0:1], 3, v[72:73]
	s_mov_b32 s6, 0
	v_add_co_u32 v0, vcc_lo, s12, v0
	v_add_co_ci_u32_e64 v1, null, s13, v1, vcc_lo
	v_add_co_u32 v28, vcc_lo, 0x80, v0
	v_add_co_ci_u32_e64 v29, null, 0, v1, vcc_lo
.LBB51_33:                              ; =>This Inner Loop Header: Depth=1
	global_load_dwordx2 v[88:89], v[28:29], off offset:-128
	s_clause 0x9
	global_load_dwordx4 v[16:19], v[76:77], off offset:48
	global_load_dwordx4 v[20:23], v[76:77], off offset:32
	;; [unrolled: 1-line block ×3, first 2 shown]
	global_load_dwordx4 v[36:39], v[76:77], off
	global_load_dwordx4 v[4:7], v[76:77], off offset:112
	global_load_dwordx4 v[12:15], v[76:77], off offset:96
	;; [unrolled: 1-line block ×6, first 2 shown]
	s_clause 0x2
	global_load_dwordx2 v[110:111], v[28:29], off offset:-64
	global_load_dwordx2 v[30:31], v[28:29], off
	global_load_dwordx2 v[112:113], v[28:29], off offset:64
	s_clause 0x1
	global_load_dwordx4 v[44:47], v[76:77], off offset:1040
	global_load_dwordx4 v[48:51], v[76:77], off offset:1024
	v_add_co_u32 v114, vcc_lo, 0x800, v76
	v_add_co_ci_u32_e64 v115, null, 0, v77, vcc_lo
	s_clause 0x5
	global_load_dwordx4 v[52:55], v[76:77], off offset:1136
	global_load_dwordx4 v[56:59], v[76:77], off offset:1120
	global_load_dwordx4 v[60:63], v[76:77], off offset:1104
	global_load_dwordx4 v[80:83], v[76:77], off offset:1088
	global_load_dwordx4 v[84:87], v[114:115], off
	global_load_dwordx4 v[98:101], v[114:115], off offset:48
	s_waitcnt vmcnt(21)
	v_sub_co_u32 v88, vcc_lo, v88, v70
	v_sub_co_ci_u32_e64 v89, null, v89, v71, vcc_lo
	v_lshlrev_b64 v[88:89], 5, v[88:89]
	v_add_co_u32 v88, vcc_lo, s2, v88
	v_add_co_ci_u32_e64 v89, null, s3, v89, vcc_lo
	s_clause 0x1
	global_load_dwordx4 v[102:105], v[88:89], off
	global_load_dwordx4 v[106:109], v[88:89], off offset:16
	s_waitcnt vmcnt(1)
	v_fmac_f32_e32 v96, v36, v102
	v_fmac_f32_e32 v91, v37, v102
	;; [unrolled: 1-line block ×8, first 2 shown]
	v_fma_f32 v78, -v37, v103, v96
	v_fmac_f32_e32 v91, v36, v103
	v_fma_f32 v88, -v39, v103, v97
	v_fmac_f32_e32 v79, v38, v103
	;; [unrolled: 2-line block ×4, first 2 shown]
	v_fmac_f32_e32 v78, v20, v104
	v_fmac_f32_e32 v91, v21, v104
	;; [unrolled: 1-line block ×8, first 2 shown]
	v_fma_f32 v78, -v21, v105, v78
	v_fmac_f32_e32 v91, v20, v105
	v_fma_f32 v102, -v23, v105, v88
	v_fmac_f32_e32 v79, v22, v105
	;; [unrolled: 2-line block ×4, first 2 shown]
	v_sub_co_u32 v88, vcc_lo, v110, v70
	v_sub_co_ci_u32_e64 v89, null, v111, v71, vcc_lo
	s_waitcnt vmcnt(0)
	v_fmac_f32_e32 v78, v40, v106
	v_fmac_f32_e32 v91, v41, v106
	;; [unrolled: 1-line block ×8, first 2 shown]
	v_lshlrev_b64 v[88:89], 5, v[88:89]
	v_fma_f32 v78, -v41, v107, v78
	v_fmac_f32_e32 v91, v40, v107
	v_fma_f32 v102, -v43, v107, v102
	v_fmac_f32_e32 v79, v42, v107
	;; [unrolled: 2-line block ×4, first 2 shown]
	v_add_co_u32 v88, vcc_lo, s2, v88
	v_add_co_ci_u32_e64 v89, null, s3, v89, vcc_lo
	v_fmac_f32_e32 v78, v12, v108
	v_fmac_f32_e32 v91, v13, v108
	;; [unrolled: 1-line block ×8, first 2 shown]
	s_clause 0x6
	global_load_dwordx4 v[36:39], v[114:115], off offset:32
	global_load_dwordx4 v[32:35], v[114:115], off offset:16
	;; [unrolled: 1-line block ×7, first 2 shown]
	v_fma_f32 v78, -v13, v109, v78
	v_fmac_f32_e32 v91, v12, v109
	v_fma_f32 v106, -v15, v109, v102
	v_fmac_f32_e32 v79, v14, v109
	global_load_dwordx4 v[12:15], v[114:115], off offset:1056
	v_fma_f32 v107, -v5, v109, v103
	v_fmac_f32_e32 v93, v4, v109
	v_fma_f32 v108, -v7, v109, v104
	v_fmac_f32_e32 v92, v6, v109
	s_clause 0x1
	global_load_dwordx4 v[4:7], v[88:89], off
	global_load_dwordx4 v[102:105], v[88:89], off offset:16
	s_waitcnt vmcnt(1)
	v_fmac_f32_e32 v107, v44, v4
	v_fmac_f32_e32 v78, v48, v4
	;; [unrolled: 1-line block ×8, first 2 shown]
	v_fma_f32 v4, -v45, v5, v107
	v_fma_f32 v78, -v49, v5, v78
	v_fmac_f32_e32 v91, v48, v5
	v_fma_f32 v88, -v51, v5, v106
	v_fmac_f32_e32 v79, v50, v5
	v_fmac_f32_e32 v4, v0, v6
	;; [unrolled: 1-line block ×3, first 2 shown]
	v_fma_f32 v89, -v47, v5, v108
	v_fmac_f32_e32 v92, v46, v5
	v_fmac_f32_e32 v78, v8, v6
	v_fma_f32 v111, -v1, v7, v4
	v_sub_co_u32 v4, vcc_lo, v30, v70
	v_fmac_f32_e32 v91, v9, v6
	v_fmac_f32_e32 v88, v10, v6
	;; [unrolled: 1-line block ×6, first 2 shown]
	v_sub_co_ci_u32_e64 v5, null, v31, v71, vcc_lo
	v_sub_co_u32 v6, vcc_lo, v112, v70
	v_fma_f32 v78, -v9, v7, v78
	v_fmac_f32_e32 v91, v8, v7
	v_fma_f32 v110, -v11, v7, v88
	v_fmac_f32_e32 v79, v10, v7
	v_fmac_f32_e32 v93, v0, v7
	v_fma_f32 v116, -v3, v7, v89
	v_fmac_f32_e32 v92, v2, v7
	v_sub_co_ci_u32_e64 v7, null, v113, v71, vcc_lo
	v_lshlrev_b64 v[4:5], 5, v[4:5]
	s_clause 0x1
	global_load_dwordx4 v[48:51], v[114:115], off offset:1040
	global_load_dwordx4 v[44:47], v[114:115], off offset:1024
	v_lshlrev_b64 v[6:7], 5, v[6:7]
	s_clause 0x1
	global_load_dwordx4 v[8:11], v[114:115], off offset:1088
	global_load_dwordx4 v[0:3], v[114:115], off offset:1104
	v_add_co_u32 v30, vcc_lo, s2, v4
	v_add_co_ci_u32_e64 v31, null, s3, v5, vcc_lo
	v_add_co_u32 v88, vcc_lo, s2, v6
	v_add_co_ci_u32_e64 v89, null, s3, v7, vcc_lo
	s_clause 0x1
	global_load_dwordx4 v[4:7], v[30:31], off
	global_load_dwordx4 v[106:109], v[30:31], off offset:16
	s_waitcnt vmcnt(6)
	v_fmac_f32_e32 v78, v80, v102
	v_fmac_f32_e32 v91, v81, v102
	;; [unrolled: 1-line block ×5, first 2 shown]
	v_fma_f32 v30, -v81, v103, v78
	v_fmac_f32_e32 v91, v80, v103
	v_fma_f32 v31, -v83, v103, v110
	v_fmac_f32_e32 v79, v82, v103
	global_load_dwordx4 v[80:83], v[88:89], off
	v_fmac_f32_e32 v93, v61, v102
	v_fmac_f32_e32 v116, v62, v102
	;; [unrolled: 1-line block ×3, first 2 shown]
	v_fma_f32 v78, -v61, v103, v111
	v_fmac_f32_e32 v30, v56, v104
	v_fmac_f32_e32 v93, v60, v103
	v_fma_f32 v102, -v63, v103, v116
	v_fmac_f32_e32 v92, v62, v103
	global_load_dwordx4 v[60:63], v[88:89], off offset:16
	v_fmac_f32_e32 v91, v57, v104
	v_fmac_f32_e32 v31, v58, v104
	;; [unrolled: 1-line block ×3, first 2 shown]
	v_fma_f32 v30, -v57, v105, v30
	v_fmac_f32_e32 v78, v52, v104
	v_fmac_f32_e32 v91, v56, v105
	v_fma_f32 v31, -v59, v105, v31
	v_fmac_f32_e32 v79, v58, v105
	s_clause 0x1
	global_load_dwordx4 v[56:59], v[114:115], off offset:1120
	global_load_dwordx4 v[110:113], v[114:115], off offset:1136
	v_fmac_f32_e32 v93, v53, v104
	v_fmac_f32_e32 v102, v54, v104
	v_fmac_f32_e32 v92, v55, v104
	v_fma_f32 v53, -v53, v105, v78
	v_add_co_u32 v72, vcc_lo, v72, 32
	v_fmac_f32_e32 v93, v52, v105
	v_fma_f32 v52, -v55, v105, v102
	v_fmac_f32_e32 v92, v54, v105
	v_add_co_ci_u32_e64 v73, null, 0, v73, vcc_lo
	v_add_co_u32 v28, vcc_lo, 0x100, v28
	v_add_co_ci_u32_e64 v29, null, 0, v29, vcc_lo
	v_add_co_u32 v76, vcc_lo, 0x1000, v76
	v_add_co_ci_u32_e64 v77, null, 0, v77, vcc_lo
	v_cmp_ge_i64_e32 vcc_lo, v[72:73], v[74:75]
	s_or_b32 s6, vcc_lo, s6
	s_waitcnt vmcnt(5)
	v_fmac_f32_e32 v30, v84, v4
	v_fmac_f32_e32 v91, v85, v4
	v_fmac_f32_e32 v31, v86, v4
	v_fmac_f32_e32 v79, v87, v4
	v_fmac_f32_e32 v53, v32, v4
	v_fmac_f32_e32 v93, v33, v4
	v_fmac_f32_e32 v52, v34, v4
	v_fmac_f32_e32 v92, v35, v4
	v_fma_f32 v4, -v85, v5, v30
	v_fmac_f32_e32 v91, v84, v5
	v_fma_f32 v30, -v87, v5, v31
	v_fmac_f32_e32 v79, v86, v5
	v_fma_f32 v31, -v33, v5, v53
	v_fmac_f32_e32 v93, v32, v5
	v_fma_f32 v32, -v35, v5, v52
	v_fmac_f32_e32 v92, v34, v5
	v_fmac_f32_e32 v4, v36, v6
	v_fmac_f32_e32 v91, v37, v6
	v_fmac_f32_e32 v30, v38, v6
	v_fmac_f32_e32 v79, v39, v6
	v_fmac_f32_e32 v31, v98, v6
	v_fmac_f32_e32 v93, v99, v6
	v_fmac_f32_e32 v32, v100, v6
	v_fmac_f32_e32 v92, v101, v6
	v_fma_f32 v4, -v37, v7, v4
	v_fmac_f32_e32 v91, v36, v7
	v_fma_f32 v5, -v39, v7, v30
	v_fmac_f32_e32 v79, v38, v7
	v_fma_f32 v6, -v99, v7, v31
	v_fmac_f32_e32 v93, v98, v7
	v_fma_f32 v30, -v101, v7, v32
	v_fmac_f32_e32 v92, v100, v7
	s_waitcnt vmcnt(4)
	v_fmac_f32_e32 v4, v40, v106
	v_fmac_f32_e32 v91, v41, v106
	v_fmac_f32_e32 v5, v42, v106
	v_fmac_f32_e32 v79, v43, v106
	v_fmac_f32_e32 v6, v94, v106
	v_fmac_f32_e32 v93, v95, v106
	v_fmac_f32_e32 v30, v96, v106
	v_fmac_f32_e32 v92, v97, v106
	v_fma_f32 v4, -v41, v107, v4
	v_fmac_f32_e32 v91, v40, v107
	v_fma_f32 v5, -v43, v107, v5
	v_fmac_f32_e32 v79, v42, v107
	v_fma_f32 v6, -v95, v107, v6
	v_fmac_f32_e32 v93, v94, v107
	v_fma_f32 v7, -v97, v107, v30
	v_fmac_f32_e32 v92, v96, v107
	v_fmac_f32_e32 v4, v16, v108
	v_fmac_f32_e32 v91, v17, v108
	v_fmac_f32_e32 v5, v18, v108
	v_fmac_f32_e32 v79, v19, v108
	v_fmac_f32_e32 v6, v20, v108
	v_fmac_f32_e32 v93, v21, v108
	v_fmac_f32_e32 v7, v22, v108
	v_fmac_f32_e32 v92, v23, v108
	v_fma_f32 v4, -v17, v109, v4
	v_fmac_f32_e32 v91, v16, v109
	v_fma_f32 v5, -v19, v109, v5
	v_fmac_f32_e32 v79, v18, v109
	v_fma_f32 v6, -v21, v109, v6
	v_fmac_f32_e32 v93, v20, v109
	v_fma_f32 v7, -v23, v109, v7
	v_fmac_f32_e32 v92, v22, v109
	;; [unrolled: 33-line block ×3, first 2 shown]
	s_waitcnt vmcnt(2)
	v_fmac_f32_e32 v4, v8, v60
	v_fmac_f32_e32 v91, v9, v60
	v_fmac_f32_e32 v5, v10, v60
	v_fmac_f32_e32 v79, v11, v60
	v_fmac_f32_e32 v6, v0, v60
	v_fmac_f32_e32 v93, v1, v60
	v_fmac_f32_e32 v7, v2, v60
	v_fmac_f32_e32 v92, v3, v60
	v_fma_f32 v4, -v9, v61, v4
	v_fmac_f32_e32 v91, v8, v61
	v_fma_f32 v5, -v11, v61, v5
	v_fmac_f32_e32 v79, v10, v61
	;; [unrolled: 2-line block ×4, first 2 shown]
	s_waitcnt vmcnt(1)
	v_fmac_f32_e32 v4, v56, v62
	v_fmac_f32_e32 v91, v57, v62
	;; [unrolled: 1-line block ×4, first 2 shown]
	s_waitcnt vmcnt(0)
	v_fmac_f32_e32 v1, v110, v62
	v_fmac_f32_e32 v93, v111, v62
	;; [unrolled: 1-line block ×4, first 2 shown]
	v_fma_f32 v96, -v57, v63, v4
	v_fmac_f32_e32 v91, v56, v63
	v_fma_f32 v97, -v59, v63, v5
	v_fmac_f32_e32 v79, v58, v63
	;; [unrolled: 2-line block ×4, first 2 shown]
	s_andn2_b32 exec_lo, exec_lo, s6
	s_cbranch_execnz .LBB51_33
; %bb.34:
	s_or_b32 exec_lo, exec_lo, s6
.LBB51_35:
	s_or_b32 exec_lo, exec_lo, s0
.LBB51_36:
	s_or_b32 exec_lo, exec_lo, s1
.LBB51_37:
	v_mbcnt_lo_u32_b32 v0, -1, 0
	v_xor_b32_e32 v1, 4, v0
	v_xor_b32_e32 v9, 2, v0
	;; [unrolled: 1-line block ×3, first 2 shown]
	v_cmp_gt_i32_e32 vcc_lo, 32, v1
	v_cndmask_b32_e32 v1, v0, v1, vcc_lo
	v_cmp_gt_i32_e32 vcc_lo, 32, v9
	v_lshlrev_b32_e32 v1, 2, v1
	v_cndmask_b32_e32 v9, v0, v9, vcc_lo
	v_cmp_gt_i32_e32 vcc_lo, 32, v17
	ds_bpermute_b32 v2, v1, v96
	ds_bpermute_b32 v3, v1, v91
	;; [unrolled: 1-line block ×8, first 2 shown]
	v_lshlrev_b32_e32 v9, 2, v9
	v_cndmask_b32_e32 v0, v0, v17, vcc_lo
	v_cmp_eq_u32_e32 vcc_lo, 7, v90
	v_lshlrev_b32_e32 v17, 2, v0
	s_waitcnt lgkmcnt(7)
	v_add_f32_e32 v2, v96, v2
	s_waitcnt lgkmcnt(6)
	v_add_f32_e32 v3, v91, v3
	;; [unrolled: 2-line block ×8, first 2 shown]
	ds_bpermute_b32 v1, v9, v2
	ds_bpermute_b32 v11, v9, v3
	;; [unrolled: 1-line block ×8, first 2 shown]
	s_waitcnt lgkmcnt(7)
	v_add_f32_e32 v0, v2, v1
	s_waitcnt lgkmcnt(6)
	v_add_f32_e32 v1, v3, v11
	;; [unrolled: 2-line block ×8, first 2 shown]
	ds_bpermute_b32 v8, v17, v0
	ds_bpermute_b32 v9, v17, v1
	;; [unrolled: 1-line block ×8, first 2 shown]
	s_and_b32 exec_lo, exec_lo, vcc_lo
	s_cbranch_execz .LBB51_8
; %bb.38:
	s_load_dwordx2 s[2:3], s[4:5], 0x58
	s_waitcnt lgkmcnt(0)
	v_add_f32_e32 v8, v0, v8
	v_add_f32_e32 v0, v1, v9
	;; [unrolled: 1-line block ×7, first 2 shown]
	v_mul_f32_e64 v4, v0, -v67
	v_mul_f32_e32 v5, v66, v0
	v_add_f32_e32 v12, v6, v14
	v_mul_f32_e64 v6, v1, -v67
	v_mul_f32_e32 v7, v66, v1
	v_mul_f32_e64 v0, v2, -v67
	v_mul_f32_e32 v1, v66, v2
	;; [unrolled: 2-line block ×3, first 2 shown]
	v_cmp_eq_f32_e32 vcc_lo, 0, v64
	v_cmp_eq_f32_e64 s0, 0, v65
	v_fmac_f32_e32 v4, v66, v8
	v_fmac_f32_e32 v5, v67, v8
	v_lshlrev_b64 v[8:9], 5, v[68:69]
	v_fmac_f32_e32 v6, v66, v10
	v_fmac_f32_e32 v7, v67, v10
	;; [unrolled: 1-line block ×6, first 2 shown]
	s_and_b32 s0, vcc_lo, s0
	s_and_saveexec_b32 s1, s0
	s_xor_b32 s0, exec_lo, s1
	s_cbranch_execz .LBB51_40
; %bb.39:
	v_add_co_u32 v8, vcc_lo, s2, v8
	v_add_co_ci_u32_e64 v9, null, s3, v9, vcc_lo
                                        ; implicit-def: $vgpr64_vgpr65
	global_store_dwordx4 v[8:9], v[4:7], off
	global_store_dwordx4 v[8:9], v[0:3], off offset:16
                                        ; implicit-def: $vgpr4
                                        ; implicit-def: $vgpr8_vgpr9
                                        ; implicit-def: $vgpr0
.LBB51_40:
	s_andn2_saveexec_b32 s0, s0
	s_cbranch_execz .LBB51_8
; %bb.41:
	v_add_co_u32 v16, vcc_lo, s2, v8
	v_add_co_ci_u32_e64 v17, null, s3, v9, vcc_lo
	s_clause 0x1
	global_load_dwordx4 v[8:11], v[16:17], off
	global_load_dwordx4 v[12:15], v[16:17], off offset:16
	s_waitcnt vmcnt(1)
	v_fmac_f32_e32 v4, v64, v8
	v_fmac_f32_e32 v5, v65, v8
	;; [unrolled: 1-line block ×4, first 2 shown]
	s_waitcnt vmcnt(0)
	v_fmac_f32_e32 v0, v64, v12
	v_fmac_f32_e32 v1, v65, v12
	v_fmac_f32_e32 v2, v64, v14
	v_fmac_f32_e32 v3, v65, v14
	v_fma_f32 v4, -v65, v9, v4
	v_fmac_f32_e32 v5, v64, v9
	v_fma_f32 v6, -v65, v11, v6
	v_fmac_f32_e32 v7, v64, v11
	;; [unrolled: 2-line block ×4, first 2 shown]
	global_store_dwordx4 v[16:17], v[4:7], off
	global_store_dwordx4 v[16:17], v[0:3], off offset:16
	s_endpgm
	.section	.rodata,"a",@progbits
	.p2align	6, 0x0
	.amdhsa_kernel _ZN9rocsparseL18bsrxmvn_4x4_kernelILj128ELj8E21rocsparse_complex_numIfEllS2_S2_S2_EEvT3_20rocsparse_direction_NS_24const_host_device_scalarIT1_EES3_PKS3_PKT2_SC_S9_PKT4_PKT5_S7_PT6_21rocsparse_index_base_b
		.amdhsa_group_segment_fixed_size 0
		.amdhsa_private_segment_fixed_size 0
		.amdhsa_kernarg_size 104
		.amdhsa_user_sgpr_count 6
		.amdhsa_user_sgpr_private_segment_buffer 1
		.amdhsa_user_sgpr_dispatch_ptr 0
		.amdhsa_user_sgpr_queue_ptr 0
		.amdhsa_user_sgpr_kernarg_segment_ptr 1
		.amdhsa_user_sgpr_dispatch_id 0
		.amdhsa_user_sgpr_flat_scratch_init 0
		.amdhsa_user_sgpr_private_segment_size 0
		.amdhsa_wavefront_size32 1
		.amdhsa_uses_dynamic_stack 0
		.amdhsa_system_sgpr_private_segment_wavefront_offset 0
		.amdhsa_system_sgpr_workgroup_id_x 1
		.amdhsa_system_sgpr_workgroup_id_y 0
		.amdhsa_system_sgpr_workgroup_id_z 0
		.amdhsa_system_sgpr_workgroup_info 0
		.amdhsa_system_vgpr_workitem_id 0
		.amdhsa_next_free_vgpr 139
		.amdhsa_next_free_sgpr 16
		.amdhsa_reserve_vcc 1
		.amdhsa_reserve_flat_scratch 0
		.amdhsa_float_round_mode_32 0
		.amdhsa_float_round_mode_16_64 0
		.amdhsa_float_denorm_mode_32 3
		.amdhsa_float_denorm_mode_16_64 3
		.amdhsa_dx10_clamp 1
		.amdhsa_ieee_mode 1
		.amdhsa_fp16_overflow 0
		.amdhsa_workgroup_processor_mode 1
		.amdhsa_memory_ordered 1
		.amdhsa_forward_progress 1
		.amdhsa_shared_vgpr_count 0
		.amdhsa_exception_fp_ieee_invalid_op 0
		.amdhsa_exception_fp_denorm_src 0
		.amdhsa_exception_fp_ieee_div_zero 0
		.amdhsa_exception_fp_ieee_overflow 0
		.amdhsa_exception_fp_ieee_underflow 0
		.amdhsa_exception_fp_ieee_inexact 0
		.amdhsa_exception_int_div_zero 0
	.end_amdhsa_kernel
	.section	.text._ZN9rocsparseL18bsrxmvn_4x4_kernelILj128ELj8E21rocsparse_complex_numIfEllS2_S2_S2_EEvT3_20rocsparse_direction_NS_24const_host_device_scalarIT1_EES3_PKS3_PKT2_SC_S9_PKT4_PKT5_S7_PT6_21rocsparse_index_base_b,"axG",@progbits,_ZN9rocsparseL18bsrxmvn_4x4_kernelILj128ELj8E21rocsparse_complex_numIfEllS2_S2_S2_EEvT3_20rocsparse_direction_NS_24const_host_device_scalarIT1_EES3_PKS3_PKT2_SC_S9_PKT4_PKT5_S7_PT6_21rocsparse_index_base_b,comdat
.Lfunc_end51:
	.size	_ZN9rocsparseL18bsrxmvn_4x4_kernelILj128ELj8E21rocsparse_complex_numIfEllS2_S2_S2_EEvT3_20rocsparse_direction_NS_24const_host_device_scalarIT1_EES3_PKS3_PKT2_SC_S9_PKT4_PKT5_S7_PT6_21rocsparse_index_base_b, .Lfunc_end51-_ZN9rocsparseL18bsrxmvn_4x4_kernelILj128ELj8E21rocsparse_complex_numIfEllS2_S2_S2_EEvT3_20rocsparse_direction_NS_24const_host_device_scalarIT1_EES3_PKS3_PKT2_SC_S9_PKT4_PKT5_S7_PT6_21rocsparse_index_base_b
                                        ; -- End function
	.set _ZN9rocsparseL18bsrxmvn_4x4_kernelILj128ELj8E21rocsparse_complex_numIfEllS2_S2_S2_EEvT3_20rocsparse_direction_NS_24const_host_device_scalarIT1_EES3_PKS3_PKT2_SC_S9_PKT4_PKT5_S7_PT6_21rocsparse_index_base_b.num_vgpr, 139
	.set _ZN9rocsparseL18bsrxmvn_4x4_kernelILj128ELj8E21rocsparse_complex_numIfEllS2_S2_S2_EEvT3_20rocsparse_direction_NS_24const_host_device_scalarIT1_EES3_PKS3_PKT2_SC_S9_PKT4_PKT5_S7_PT6_21rocsparse_index_base_b.num_agpr, 0
	.set _ZN9rocsparseL18bsrxmvn_4x4_kernelILj128ELj8E21rocsparse_complex_numIfEllS2_S2_S2_EEvT3_20rocsparse_direction_NS_24const_host_device_scalarIT1_EES3_PKS3_PKT2_SC_S9_PKT4_PKT5_S7_PT6_21rocsparse_index_base_b.numbered_sgpr, 16
	.set _ZN9rocsparseL18bsrxmvn_4x4_kernelILj128ELj8E21rocsparse_complex_numIfEllS2_S2_S2_EEvT3_20rocsparse_direction_NS_24const_host_device_scalarIT1_EES3_PKS3_PKT2_SC_S9_PKT4_PKT5_S7_PT6_21rocsparse_index_base_b.num_named_barrier, 0
	.set _ZN9rocsparseL18bsrxmvn_4x4_kernelILj128ELj8E21rocsparse_complex_numIfEllS2_S2_S2_EEvT3_20rocsparse_direction_NS_24const_host_device_scalarIT1_EES3_PKS3_PKT2_SC_S9_PKT4_PKT5_S7_PT6_21rocsparse_index_base_b.private_seg_size, 0
	.set _ZN9rocsparseL18bsrxmvn_4x4_kernelILj128ELj8E21rocsparse_complex_numIfEllS2_S2_S2_EEvT3_20rocsparse_direction_NS_24const_host_device_scalarIT1_EES3_PKS3_PKT2_SC_S9_PKT4_PKT5_S7_PT6_21rocsparse_index_base_b.uses_vcc, 1
	.set _ZN9rocsparseL18bsrxmvn_4x4_kernelILj128ELj8E21rocsparse_complex_numIfEllS2_S2_S2_EEvT3_20rocsparse_direction_NS_24const_host_device_scalarIT1_EES3_PKS3_PKT2_SC_S9_PKT4_PKT5_S7_PT6_21rocsparse_index_base_b.uses_flat_scratch, 0
	.set _ZN9rocsparseL18bsrxmvn_4x4_kernelILj128ELj8E21rocsparse_complex_numIfEllS2_S2_S2_EEvT3_20rocsparse_direction_NS_24const_host_device_scalarIT1_EES3_PKS3_PKT2_SC_S9_PKT4_PKT5_S7_PT6_21rocsparse_index_base_b.has_dyn_sized_stack, 0
	.set _ZN9rocsparseL18bsrxmvn_4x4_kernelILj128ELj8E21rocsparse_complex_numIfEllS2_S2_S2_EEvT3_20rocsparse_direction_NS_24const_host_device_scalarIT1_EES3_PKS3_PKT2_SC_S9_PKT4_PKT5_S7_PT6_21rocsparse_index_base_b.has_recursion, 0
	.set _ZN9rocsparseL18bsrxmvn_4x4_kernelILj128ELj8E21rocsparse_complex_numIfEllS2_S2_S2_EEvT3_20rocsparse_direction_NS_24const_host_device_scalarIT1_EES3_PKS3_PKT2_SC_S9_PKT4_PKT5_S7_PT6_21rocsparse_index_base_b.has_indirect_call, 0
	.section	.AMDGPU.csdata,"",@progbits
; Kernel info:
; codeLenInByte = 7160
; TotalNumSgprs: 18
; NumVgprs: 139
; ScratchSize: 0
; MemoryBound: 0
; FloatMode: 240
; IeeeMode: 1
; LDSByteSize: 0 bytes/workgroup (compile time only)
; SGPRBlocks: 0
; VGPRBlocks: 17
; NumSGPRsForWavesPerEU: 18
; NumVGPRsForWavesPerEU: 139
; Occupancy: 7
; WaveLimiterHint : 1
; COMPUTE_PGM_RSRC2:SCRATCH_EN: 0
; COMPUTE_PGM_RSRC2:USER_SGPR: 6
; COMPUTE_PGM_RSRC2:TRAP_HANDLER: 0
; COMPUTE_PGM_RSRC2:TGID_X_EN: 1
; COMPUTE_PGM_RSRC2:TGID_Y_EN: 0
; COMPUTE_PGM_RSRC2:TGID_Z_EN: 0
; COMPUTE_PGM_RSRC2:TIDIG_COMP_CNT: 0
	.section	.text._ZN9rocsparseL18bsrxmvn_4x4_kernelILj128ELj16E21rocsparse_complex_numIfEllS2_S2_S2_EEvT3_20rocsparse_direction_NS_24const_host_device_scalarIT1_EES3_PKS3_PKT2_SC_S9_PKT4_PKT5_S7_PT6_21rocsparse_index_base_b,"axG",@progbits,_ZN9rocsparseL18bsrxmvn_4x4_kernelILj128ELj16E21rocsparse_complex_numIfEllS2_S2_S2_EEvT3_20rocsparse_direction_NS_24const_host_device_scalarIT1_EES3_PKS3_PKT2_SC_S9_PKT4_PKT5_S7_PT6_21rocsparse_index_base_b,comdat
	.globl	_ZN9rocsparseL18bsrxmvn_4x4_kernelILj128ELj16E21rocsparse_complex_numIfEllS2_S2_S2_EEvT3_20rocsparse_direction_NS_24const_host_device_scalarIT1_EES3_PKS3_PKT2_SC_S9_PKT4_PKT5_S7_PT6_21rocsparse_index_base_b ; -- Begin function _ZN9rocsparseL18bsrxmvn_4x4_kernelILj128ELj16E21rocsparse_complex_numIfEllS2_S2_S2_EEvT3_20rocsparse_direction_NS_24const_host_device_scalarIT1_EES3_PKS3_PKT2_SC_S9_PKT4_PKT5_S7_PT6_21rocsparse_index_base_b
	.p2align	8
	.type	_ZN9rocsparseL18bsrxmvn_4x4_kernelILj128ELj16E21rocsparse_complex_numIfEllS2_S2_S2_EEvT3_20rocsparse_direction_NS_24const_host_device_scalarIT1_EES3_PKS3_PKT2_SC_S9_PKT4_PKT5_S7_PT6_21rocsparse_index_base_b,@function
_ZN9rocsparseL18bsrxmvn_4x4_kernelILj128ELj16E21rocsparse_complex_numIfEllS2_S2_S2_EEvT3_20rocsparse_direction_NS_24const_host_device_scalarIT1_EES3_PKS3_PKT2_SC_S9_PKT4_PKT5_S7_PT6_21rocsparse_index_base_b: ; @_ZN9rocsparseL18bsrxmvn_4x4_kernelILj128ELj16E21rocsparse_complex_numIfEllS2_S2_S2_EEvT3_20rocsparse_direction_NS_24const_host_device_scalarIT1_EES3_PKS3_PKT2_SC_S9_PKT4_PKT5_S7_PT6_21rocsparse_index_base_b
; %bb.0:
	s_clause 0x2
	s_load_dwordx2 s[8:9], s[4:5], 0x60
	s_load_dwordx4 s[0:3], s[4:5], 0x10
	s_load_dwordx2 s[10:11], s[4:5], 0x50
	s_add_u32 s7, s4, 16
	s_addc_u32 s12, s5, 0
	s_add_u32 s13, s4, 0x50
	s_addc_u32 s14, s5, 0
	s_waitcnt lgkmcnt(0)
	s_bitcmp1_b32 s9, 0
	s_cselect_b32 s0, s7, s0
	s_cselect_b32 s1, s12, s1
	v_mov_b32_e32 v1, s0
	v_mov_b32_e32 v2, s1
	s_cselect_b32 s0, s13, s10
	s_cselect_b32 s1, s14, s11
	flat_load_dwordx2 v[54:55], v[1:2]
	v_mov_b32_e32 v1, s0
	v_mov_b32_e32 v2, s1
	flat_load_dwordx2 v[52:53], v[1:2]
	s_waitcnt vmcnt(1) lgkmcnt(1)
	v_cmp_eq_f32_e32 vcc_lo, 0, v54
	v_cmp_eq_f32_e64 s0, 0, v55
	s_and_b32 s7, vcc_lo, s0
	s_mov_b32 s0, -1
	s_and_saveexec_b32 s1, s7
	s_cbranch_execz .LBB52_2
; %bb.1:
	s_waitcnt vmcnt(0) lgkmcnt(0)
	v_cmp_neq_f32_e32 vcc_lo, 1.0, v52
	v_cmp_neq_f32_e64 s0, 0, v53
	s_or_b32 s0, vcc_lo, s0
	s_orn2_b32 s0, s0, exec_lo
.LBB52_2:
	s_or_b32 exec_lo, exec_lo, s1
	s_and_saveexec_b32 s1, s0
	s_cbranch_execz .LBB52_8
; %bb.3:
	s_load_dwordx2 s[0:1], s[4:5], 0x20
	v_lshrrev_b32_e32 v1, 4, v0
	v_mov_b32_e32 v2, 0
	v_lshl_or_b32 v1, s6, 3, v1
	s_waitcnt lgkmcnt(0)
	s_cmp_lg_u64 s[0:1], 0
	s_cbranch_scc0 .LBB52_9
; %bb.4:
	v_cmp_gt_i64_e32 vcc_lo, s[2:3], v[1:2]
	s_mov_b32 s3, 0
	s_mov_b32 s2, 0
                                        ; implicit-def: $vgpr56_vgpr57
                                        ; implicit-def: $vgpr58_vgpr59
	s_and_saveexec_b32 s6, vcc_lo
	s_xor_b32 s6, exec_lo, s6
	s_cbranch_execz .LBB52_6
; %bb.5:
	v_lshlrev_b64 v[3:4], 3, v[1:2]
	s_mov_b32 s9, 0
	s_mov_b32 s2, exec_lo
	v_mov_b32_e32 v59, s9
	v_mov_b32_e32 v58, s8
	v_add_co_u32 v3, vcc_lo, s0, v3
	v_add_co_ci_u32_e64 v4, null, s1, v4, vcc_lo
	global_load_dwordx2 v[3:4], v[3:4], off
	s_waitcnt vmcnt(0)
	v_sub_co_u32 v56, vcc_lo, v3, s8
	v_subrev_co_ci_u32_e64 v57, null, 0, v4, vcc_lo
.LBB52_6:
	s_or_b32 exec_lo, exec_lo, s6
	s_and_b32 vcc_lo, exec_lo, s3
	s_cbranch_vccnz .LBB52_10
.LBB52_7:
	s_and_b32 exec_lo, exec_lo, s2
	s_cbranch_execnz .LBB52_13
.LBB52_8:
	s_endpgm
.LBB52_9:
	s_mov_b32 s2, 0
                                        ; implicit-def: $vgpr56_vgpr57
                                        ; implicit-def: $vgpr58_vgpr59
	s_cbranch_execz .LBB52_7
.LBB52_10:
	s_load_dwordx2 s[0:1], s[4:5], 0x0
	s_waitcnt lgkmcnt(0)
	v_cmp_gt_i64_e32 vcc_lo, s[0:1], v[1:2]
	s_and_saveexec_b32 s0, vcc_lo
; %bb.11:
	s_mov_b32 s9, 0
	s_or_b32 s2, s2, exec_lo
; %bb.12:
	s_or_b32 exec_lo, exec_lo, s0
	v_mov_b32_e32 v59, s9
	v_mov_b32_e32 v57, v2
	;; [unrolled: 1-line block ×4, first 2 shown]
	s_and_b32 exec_lo, exec_lo, s2
	s_cbranch_execz .LBB52_8
.LBB52_13:
	s_load_dwordx8 s[8:15], s[4:5], 0x28
	v_lshlrev_b64 v[1:2], 3, v[56:57]
	v_and_b32_e32 v78, 15, v0
	s_clause 0x1
	s_load_dword s1, s[4:5], 0x8
	s_load_dwordx2 s[2:3], s[4:5], 0x48
	v_mov_b32_e32 v79, 0
	s_waitcnt lgkmcnt(0)
	v_add_co_u32 v3, vcc_lo, s8, v1
	v_add_co_ci_u32_e64 v4, null, s9, v2, vcc_lo
	v_add_co_u32 v1, vcc_lo, s10, v1
	v_add_co_ci_u32_e64 v2, null, s11, v2, vcc_lo
	v_add_co_u32 v5, vcc_lo, v3, 8
	global_load_dwordx2 v[68:69], v[3:4], off
	v_add_co_ci_u32_e64 v6, null, 0, v4, vcc_lo
	s_cmp_eq_u64 s[10:11], 0
	s_cselect_b32 vcc_lo, -1, 0
	s_cmp_eq_u32 s1, 1
	v_cndmask_b32_e32 v2, v2, v6, vcc_lo
	v_cndmask_b32_e32 v1, v1, v5, vcc_lo
	global_load_dwordx2 v[1:2], v[1:2], off
	s_waitcnt vmcnt(1)
	v_sub_co_u32 v0, vcc_lo, v68, v58
	v_sub_co_ci_u32_e64 v3, null, v69, v59, vcc_lo
	v_add_co_u32 v60, vcc_lo, v0, v78
	v_add_co_ci_u32_e64 v61, null, 0, v3, vcc_lo
	s_waitcnt vmcnt(0)
	v_sub_co_u32 v62, vcc_lo, v1, v58
	v_lshlrev_b64 v[0:1], 7, v[60:61]
	v_sub_co_ci_u32_e64 v63, null, v2, v59, vcc_lo
	v_add_co_u32 v64, vcc_lo, s14, v0
	v_cmp_lt_i64_e64 s0, v[60:61], v[62:63]
	v_add_co_ci_u32_e64 v65, null, s15, v1, vcc_lo
	s_cbranch_scc1 .LBB52_25
; %bb.14:
	v_mov_b32_e32 v85, 0
	v_mov_b32_e32 v82, 0
	;; [unrolled: 1-line block ×7, first 2 shown]
	s_and_saveexec_b32 s6, s0
	s_cbranch_execz .LBB52_24
; %bb.15:
	v_or_b32_e32 v0, 16, v78
	v_not_b32_e32 v3, v68
	v_sub_co_u32 v4, s1, v58, v78
	v_not_b32_e32 v2, v69
	v_sub_co_u32 v0, vcc_lo, v0, v58
	v_sub_co_ci_u32_e64 v1, null, 0, v59, vcc_lo
	v_subrev_co_ci_u32_e64 v5, null, 0, v59, s1
	v_add_co_u32 v0, vcc_lo, v0, v68
	v_add_co_ci_u32_e64 v1, null, v1, v69, vcc_lo
	v_mov_b32_e32 v67, 0
	v_mov_b32_e32 v71, v65
	;; [unrolled: 1-line block ×3, first 2 shown]
	v_cmp_gt_i64_e32 vcc_lo, v[0:1], v[62:63]
	v_mov_b32_e32 v70, v64
	v_mov_b32_e32 v84, v67
	;; [unrolled: 1-line block ×5, first 2 shown]
	v_cndmask_b32_e32 v1, v63, v1, vcc_lo
	v_cndmask_b32_e32 v0, v62, v0, vcc_lo
	v_add_co_u32 v3, vcc_lo, v4, v3
	v_add_co_ci_u32_e64 v2, null, v5, v2, vcc_lo
	v_mov_b32_e32 v82, v67
	v_add_co_u32 v0, vcc_lo, v3, v0
	v_add_co_ci_u32_e64 v1, null, v2, v1, vcc_lo
	v_mov_b32_e32 v85, v67
	v_and_b32_e32 v66, 48, v0
	v_mov_b32_e32 v79, v67
	v_mov_b32_e32 v72, v60
	s_mov_b32 s1, exec_lo
	v_cmpx_ne_u64_e32 48, v[66:67]
	s_cbranch_execz .LBB52_19
; %bb.16:
	v_lshrrev_b32_e32 v2, 4, v0
	v_mov_b32_e32 v73, v61
	v_mov_b32_e32 v71, v65
	;; [unrolled: 1-line block ×4, first 2 shown]
	v_add_nc_u32_e32 v4, 1, v2
	v_lshlrev_b64 v[2:3], 3, v[60:61]
	v_mov_b32_e32 v70, v64
	v_mov_b32_e32 v85, 0
	;; [unrolled: 1-line block ×3, first 2 shown]
	v_and_b32_e32 v4, 3, v4
	v_mov_b32_e32 v80, 0
	v_add_co_u32 v2, vcc_lo, s12, v2
	v_add_co_ci_u32_e64 v3, null, s13, v3, vcc_lo
	v_sub_co_u32 v4, s7, 0, v4
	v_sub_co_ci_u32_e64 v5, null, 0, 0, s7
	v_mov_b32_e32 v83, 0
	v_mov_b32_e32 v81, 0
	v_mov_b32_e32 v84, 0
	v_mov_b32_e32 v67, 0
	s_mov_b32 s7, 0
.LBB52_17:                              ; =>This Inner Loop Header: Depth=1
	global_load_dwordx2 v[38:39], v[2:3], off
	s_clause 0x7
	global_load_dwordx4 v[6:9], v[70:71], off offset:48
	global_load_dwordx4 v[10:13], v[70:71], off offset:32
	;; [unrolled: 1-line block ×3, first 2 shown]
	global_load_dwordx4 v[18:21], v[70:71], off
	global_load_dwordx4 v[22:25], v[70:71], off offset:112
	global_load_dwordx4 v[26:29], v[70:71], off offset:96
	;; [unrolled: 1-line block ×4, first 2 shown]
	s_waitcnt vmcnt(8)
	v_sub_co_u32 v38, vcc_lo, v38, v58
	v_sub_co_ci_u32_e64 v39, null, v39, v59, vcc_lo
	v_lshlrev_b64 v[38:39], 5, v[38:39]
	v_add_co_u32 v42, vcc_lo, s2, v38
	v_add_co_ci_u32_e64 v43, null, s3, v39, vcc_lo
	v_add_co_u32 v70, vcc_lo, 0x800, v70
	v_add_co_ci_u32_e64 v71, null, 0, v71, vcc_lo
	s_clause 0x1
	global_load_dwordx4 v[38:41], v[42:43], off
	global_load_dwordx4 v[42:45], v[42:43], off offset:16
	v_add_co_u32 v72, vcc_lo, v72, 16
	v_add_co_ci_u32_e64 v73, null, 0, v73, vcc_lo
	v_add_co_u32 v4, vcc_lo, v4, 1
	v_add_co_ci_u32_e64 v5, null, 0, v5, vcc_lo
	;; [unrolled: 2-line block ×3, first 2 shown]
	v_cmp_eq_u64_e32 vcc_lo, 0, v[4:5]
	s_or_b32 s7, vcc_lo, s7
	s_waitcnt vmcnt(1)
	v_fmac_f32_e32 v85, v18, v38
	v_fmac_f32_e32 v79, v19, v38
	;; [unrolled: 1-line block ×8, first 2 shown]
	v_fma_f32 v19, -v19, v39, v85
	v_fmac_f32_e32 v79, v18, v39
	v_fma_f32 v11, -v11, v39, v84
	v_fmac_f32_e32 v67, v10, v39
	;; [unrolled: 2-line block ×4, first 2 shown]
	v_fmac_f32_e32 v19, v20, v40
	v_fmac_f32_e32 v79, v21, v40
	v_fmac_f32_e32 v11, v12, v40
	v_fmac_f32_e32 v67, v13, v40
	v_fmac_f32_e32 v10, v36, v40
	v_fmac_f32_e32 v81, v37, v40
	v_fmac_f32_e32 v18, v28, v40
	v_fmac_f32_e32 v80, v29, v40
	v_fma_f32 v19, -v21, v41, v19
	v_fmac_f32_e32 v79, v20, v41
	v_fma_f32 v11, -v13, v41, v11
	v_fmac_f32_e32 v67, v12, v41
	;; [unrolled: 2-line block ×4, first 2 shown]
	s_waitcnt vmcnt(0)
	v_fmac_f32_e32 v19, v14, v42
	v_fmac_f32_e32 v79, v15, v42
	v_fmac_f32_e32 v11, v6, v42
	v_fmac_f32_e32 v67, v7, v42
	v_fmac_f32_e32 v10, v30, v42
	v_fmac_f32_e32 v81, v31, v42
	v_fmac_f32_e32 v12, v22, v42
	v_fmac_f32_e32 v80, v23, v42
	v_fma_f32 v13, -v15, v43, v19
	v_fmac_f32_e32 v79, v14, v43
	v_fma_f32 v7, -v7, v43, v11
	v_fmac_f32_e32 v67, v6, v43
	;; [unrolled: 2-line block ×4, first 2 shown]
	v_fmac_f32_e32 v13, v16, v44
	v_fmac_f32_e32 v79, v17, v44
	;; [unrolled: 1-line block ×8, first 2 shown]
	v_fma_f32 v85, -v17, v45, v13
	v_fmac_f32_e32 v79, v16, v45
	v_fma_f32 v84, -v9, v45, v7
	v_fmac_f32_e32 v67, v8, v45
	v_fma_f32 v83, -v33, v45, v6
	v_fmac_f32_e32 v81, v32, v45
	v_fma_f32 v82, -v25, v45, v10
	v_fmac_f32_e32 v80, v24, v45
	s_andn2_b32 exec_lo, exec_lo, s7
	s_cbranch_execnz .LBB52_17
; %bb.18:
	s_or_b32 exec_lo, exec_lo, s7
.LBB52_19:
	s_or_b32 exec_lo, exec_lo, s1
	s_mov_b32 s1, exec_lo
	v_cmpx_lt_u64_e32 47, v[0:1]
	s_cbranch_execz .LBB52_23
; %bb.20:
	v_lshlrev_b64 v[0:1], 3, v[72:73]
	s_mov_b32 s7, 0
	v_add_co_u32 v0, vcc_lo, s12, v0
	v_add_co_ci_u32_e64 v1, null, s13, v1, vcc_lo
	v_add_co_u32 v74, vcc_lo, 0x100, v0
	v_add_co_ci_u32_e64 v75, null, 0, v1, vcc_lo
.LBB52_21:                              ; =>This Inner Loop Header: Depth=1
	global_load_dwordx2 v[76:77], v[74:75], off offset:-256
	s_clause 0x7
	global_load_dwordx4 v[0:3], v[70:71], off offset:48
	global_load_dwordx4 v[16:19], v[70:71], off offset:32
	;; [unrolled: 1-line block ×3, first 2 shown]
	global_load_dwordx4 v[28:31], v[70:71], off
	global_load_dwordx4 v[4:7], v[70:71], off offset:112
	global_load_dwordx4 v[20:23], v[70:71], off offset:96
	;; [unrolled: 1-line block ×4, first 2 shown]
	s_clause 0x2
	global_load_dwordx2 v[130:131], v[74:75], off offset:-128
	global_load_dwordx2 v[132:133], v[74:75], off
	global_load_dwordx2 v[134:135], v[74:75], off offset:128
	v_add_co_u32 v32, vcc_lo, 0x800, v70
	v_add_co_ci_u32_e64 v33, null, 0, v71, vcc_lo
	v_add_co_u32 v34, vcc_lo, v70, 0x1000
	v_add_co_ci_u32_e64 v35, null, 0, v71, vcc_lo
	;; [unrolled: 2-line block ×4, first 2 shown]
	s_clause 0xc
	global_load_dwordx4 v[86:89], v[32:33], off offset:32
	global_load_dwordx4 v[24:27], v[32:33], off offset:16
	;; [unrolled: 1-line block ×7, first 2 shown]
	global_load_dwordx4 v[106:109], v[34:35], off offset:-2048
	global_load_dwordx4 v[48:51], v[34:35], off
	global_load_dwordx4 v[110:113], v[126:127], off offset:32
	global_load_dwordx4 v[32:35], v[126:127], off offset:16
	;; [unrolled: 1-line block ×4, first 2 shown]
	s_waitcnt vmcnt(24)
	v_sub_co_u32 v76, vcc_lo, v76, v58
	v_sub_co_ci_u32_e64 v77, null, v77, v59, vcc_lo
	v_lshlrev_b64 v[76:77], 5, v[76:77]
	v_add_co_u32 v76, vcc_lo, s2, v76
	v_add_co_ci_u32_e64 v77, null, s3, v77, vcc_lo
	s_clause 0x1
	global_load_dwordx4 v[118:121], v[76:77], off
	global_load_dwordx4 v[122:125], v[76:77], off offset:16
	s_waitcnt vmcnt(17)
	v_sub_co_u32 v76, vcc_lo, v130, v58
	v_sub_co_ci_u32_e64 v77, null, v131, v59, vcc_lo
	v_lshlrev_b64 v[76:77], 5, v[76:77]
	v_add_co_u32 v76, vcc_lo, s2, v76
	v_add_co_ci_u32_e64 v77, null, s3, v77, vcc_lo
	s_waitcnt vmcnt(1)
	v_fmac_f32_e32 v85, v28, v118
	v_fmac_f32_e32 v79, v29, v118
	;; [unrolled: 1-line block ×8, first 2 shown]
	v_fma_f32 v29, -v29, v119, v85
	v_fmac_f32_e32 v79, v28, v119
	v_fma_f32 v17, -v17, v119, v84
	v_fmac_f32_e32 v67, v16, v119
	;; [unrolled: 2-line block ×4, first 2 shown]
	v_fmac_f32_e32 v29, v30, v120
	v_fmac_f32_e32 v79, v31, v120
	;; [unrolled: 1-line block ×8, first 2 shown]
	v_fma_f32 v66, -v31, v121, v29
	v_fmac_f32_e32 v79, v30, v121
	v_fma_f32 v138, -v19, v121, v17
	v_fmac_f32_e32 v67, v18, v121
	;; [unrolled: 2-line block ×4, first 2 shown]
	s_waitcnt vmcnt(0)
	v_fmac_f32_e32 v66, v12, v122
	v_fmac_f32_e32 v79, v13, v122
	;; [unrolled: 1-line block ×8, first 2 shown]
	v_fma_f32 v13, -v13, v123, v66
	v_fmac_f32_e32 v79, v12, v123
	v_fma_f32 v1, -v1, v123, v138
	v_fmac_f32_e32 v67, v0, v123
	;; [unrolled: 2-line block ×4, first 2 shown]
	v_fmac_f32_e32 v13, v14, v124
	v_fmac_f32_e32 v79, v15, v124
	;; [unrolled: 1-line block ×8, first 2 shown]
	s_clause 0x5
	global_load_dwordx4 v[28:31], v[126:127], off offset:80
	global_load_dwordx4 v[16:19], v[126:127], off offset:48
	global_load_dwordx4 v[126:129], v[126:127], off offset:64
	global_load_dwordx4 v[44:47], v[136:137], off
	global_load_dwordx4 v[82:85], v[136:137], off offset:32
	global_load_dwordx4 v[20:23], v[136:137], off offset:48
	v_fma_f32 v66, -v15, v125, v13
	v_fmac_f32_e32 v79, v14, v125
	global_load_dwordx4 v[12:15], v[136:137], off offset:112
	v_fma_f32 v138, -v3, v125, v1
	v_fmac_f32_e32 v67, v2, v125
	;; [unrolled: 3-line block ×4, first 2 shown]
	s_clause 0x1
	global_load_dwordx4 v[4:7], v[76:77], off
	global_load_dwordx4 v[118:121], v[76:77], off offset:16
	v_sub_co_u32 v76, vcc_lo, v132, v58
	v_sub_co_ci_u32_e64 v77, null, v133, v59, vcc_lo
	v_sub_co_u32 v122, vcc_lo, v134, v58
	v_sub_co_ci_u32_e64 v123, null, v135, v59, vcc_lo
	v_lshlrev_b64 v[76:77], 5, v[76:77]
	v_lshlrev_b64 v[122:123], 5, v[122:123]
	v_add_co_u32 v76, vcc_lo, s2, v76
	v_add_co_ci_u32_e64 v77, null, s3, v77, vcc_lo
	v_add_co_u32 v130, vcc_lo, s2, v122
	v_add_co_ci_u32_e64 v131, null, s3, v123, vcc_lo
	;; [unrolled: 2-line block ×5, first 2 shown]
	v_cmp_ge_i64_e32 vcc_lo, v[72:73], v[62:63]
	s_or_b32 s7, vcc_lo, s7
	s_waitcnt vmcnt(1)
	v_fmac_f32_e32 v66, v106, v4
	v_fmac_f32_e32 v79, v107, v4
	;; [unrolled: 1-line block ×5, first 2 shown]
	v_fma_f32 v66, -v107, v5, v66
	v_fmac_f32_e32 v79, v106, v5
	v_fma_f32 v87, -v87, v5, v138
	v_fmac_f32_e32 v67, v86, v5
	v_fmac_f32_e32 v81, v103, v4
	;; [unrolled: 1-line block ×7, first 2 shown]
	v_fma_f32 v66, -v109, v7, v66
	v_fmac_f32_e32 v79, v108, v7
	global_load_dwordx4 v[106:109], v[136:137], off offset:64
	v_fma_f32 v132, -v89, v7, v87
	v_fmac_f32_e32 v67, v88, v7
	s_clause 0x1
	global_load_dwordx4 v[86:89], v[76:77], off
	global_load_dwordx4 v[122:125], v[76:77], off offset:16
	v_fma_f32 v76, -v103, v5, v139
	v_fmac_f32_e32 v81, v105, v6
	v_fmac_f32_e32 v140, v90, v4
	;; [unrolled: 1-line block ×3, first 2 shown]
	s_waitcnt vmcnt(3)
	v_fmac_f32_e32 v66, v24, v118
	v_fmac_f32_e32 v76, v104, v6
	v_fmac_f32_e32 v81, v104, v7
	v_fma_f32 v4, -v91, v5, v140
	v_fmac_f32_e32 v80, v90, v5
	v_fmac_f32_e32 v79, v25, v118
	v_fma_f32 v76, -v105, v7, v76
	global_load_dwordx4 v[102:105], v[130:131], off
	v_fmac_f32_e32 v4, v92, v6
	v_fmac_f32_e32 v80, v93, v6
	;; [unrolled: 1-line block ×5, first 2 shown]
	v_fma_f32 v77, -v93, v7, v4
	v_fmac_f32_e32 v80, v92, v7
	global_load_dwordx4 v[4:7], v[136:137], off offset:16
	global_load_dwordx4 v[90:93], v[130:131], off offset:16
	v_fmac_f32_e32 v81, v95, v118
	v_fma_f32 v25, -v25, v119, v66
	v_fmac_f32_e32 v77, v36, v118
	v_fmac_f32_e32 v80, v37, v118
	;; [unrolled: 1-line block ×3, first 2 shown]
	v_fma_f32 v24, -v99, v119, v132
	v_fmac_f32_e32 v67, v98, v119
	v_fma_f32 v66, -v95, v119, v76
	v_fmac_f32_e32 v81, v94, v119
	v_fma_f32 v37, -v37, v119, v77
	v_fmac_f32_e32 v80, v36, v119
	v_fmac_f32_e32 v25, v26, v120
	v_fmac_f32_e32 v79, v27, v120
	v_fmac_f32_e32 v24, v100, v120
	v_fmac_f32_e32 v67, v101, v120
	v_fmac_f32_e32 v66, v96, v120
	v_fmac_f32_e32 v81, v97, v120
	v_fmac_f32_e32 v37, v38, v120
	v_fmac_f32_e32 v80, v39, v120
	v_fma_f32 v25, -v27, v121, v25
	v_fmac_f32_e32 v79, v26, v121
	v_fma_f32 v24, -v101, v121, v24
	v_fmac_f32_e32 v67, v100, v121
	v_fma_f32 v26, -v97, v121, v66
	v_fmac_f32_e32 v81, v96, v121
	v_fma_f32 v27, -v39, v121, v37
	v_fmac_f32_e32 v80, v38, v121
	s_waitcnt vmcnt(4)
	v_fmac_f32_e32 v25, v48, v86
	v_fmac_f32_e32 v79, v49, v86
	v_fmac_f32_e32 v24, v110, v86
	v_fmac_f32_e32 v67, v111, v86
	v_fmac_f32_e32 v26, v126, v86
	v_fmac_f32_e32 v81, v127, v86
	v_fmac_f32_e32 v27, v114, v86
	v_fmac_f32_e32 v80, v115, v86
	v_fma_f32 v25, -v49, v87, v25
	v_fmac_f32_e32 v79, v48, v87
	v_fma_f32 v24, -v111, v87, v24
	v_fmac_f32_e32 v67, v110, v87
	v_fma_f32 v26, -v127, v87, v26
	v_fmac_f32_e32 v81, v126, v87
	v_fma_f32 v27, -v115, v87, v27
	v_fmac_f32_e32 v80, v114, v87
	v_fmac_f32_e32 v25, v50, v88
	v_fmac_f32_e32 v79, v51, v88
	v_fmac_f32_e32 v24, v112, v88
	v_fmac_f32_e32 v67, v113, v88
	v_fmac_f32_e32 v26, v128, v88
	v_fmac_f32_e32 v81, v129, v88
	v_fmac_f32_e32 v27, v116, v88
	v_fmac_f32_e32 v80, v117, v88
	v_fma_f32 v25, -v51, v89, v25
	v_fmac_f32_e32 v79, v50, v89
	v_fma_f32 v24, -v113, v89, v24
	v_fmac_f32_e32 v67, v112, v89
	v_fma_f32 v26, -v129, v89, v26
	v_fmac_f32_e32 v81, v128, v89
	v_fma_f32 v27, -v117, v89, v27
	v_fmac_f32_e32 v80, v116, v89
	s_waitcnt vmcnt(3)
	v_fmac_f32_e32 v25, v32, v122
	v_fmac_f32_e32 v79, v33, v122
	v_fmac_f32_e32 v24, v16, v122
	v_fmac_f32_e32 v67, v17, v122
	v_fmac_f32_e32 v26, v28, v122
	v_fmac_f32_e32 v81, v29, v122
	v_fmac_f32_e32 v27, v40, v122
	v_fmac_f32_e32 v80, v41, v122
	v_fma_f32 v25, -v33, v123, v25
	v_fmac_f32_e32 v79, v32, v123
	;; [unrolled: 33-line block ×4, first 2 shown]
	v_fma_f32 v2, -v21, v91, v17
	v_fmac_f32_e32 v67, v20, v91
	v_fma_f32 v3, -v9, v91, v16
	v_fmac_f32_e32 v81, v8, v91
	;; [unrolled: 2-line block ×3, first 2 shown]
	v_fmac_f32_e32 v0, v6, v92
	v_fmac_f32_e32 v79, v7, v92
	;; [unrolled: 1-line block ×8, first 2 shown]
	v_fma_f32 v85, -v7, v93, v0
	v_fmac_f32_e32 v79, v6, v93
	v_fma_f32 v84, -v23, v93, v2
	v_fmac_f32_e32 v67, v22, v93
	;; [unrolled: 2-line block ×4, first 2 shown]
	s_andn2_b32 exec_lo, exec_lo, s7
	s_cbranch_execnz .LBB52_21
; %bb.22:
	s_or_b32 exec_lo, exec_lo, s7
.LBB52_23:
	s_or_b32 exec_lo, exec_lo, s1
.LBB52_24:
	s_or_b32 exec_lo, exec_lo, s6
	s_cbranch_execz .LBB52_26
	s_branch .LBB52_37
.LBB52_25:
                                        ; implicit-def: $vgpr79
                                        ; implicit-def: $vgpr85
                                        ; implicit-def: $vgpr82
                                        ; implicit-def: $vgpr80
                                        ; implicit-def: $vgpr83
                                        ; implicit-def: $vgpr81
                                        ; implicit-def: $vgpr84
                                        ; implicit-def: $vgpr67
.LBB52_26:
	v_mov_b32_e32 v79, 0
	v_mov_b32_e32 v85, 0
	;; [unrolled: 1-line block ×8, first 2 shown]
	s_and_saveexec_b32 s1, s0
	s_cbranch_execz .LBB52_36
; %bb.27:
	v_or_b32_e32 v0, 16, v78
	v_not_b32_e32 v3, v68
	v_not_b32_e32 v2, v69
	v_mov_b32_e32 v67, 0
	v_sub_co_u32 v0, vcc_lo, v0, v58
	v_sub_co_ci_u32_e64 v1, null, 0, v59, vcc_lo
	v_mov_b32_e32 v84, v67
	v_add_co_u32 v0, vcc_lo, v0, v68
	v_add_co_ci_u32_e64 v1, null, v1, v69, vcc_lo
	v_sub_co_u32 v4, vcc_lo, v58, v78
	v_subrev_co_ci_u32_e64 v5, null, 0, v59, vcc_lo
	v_cmp_gt_i64_e64 s0, v[0:1], v[62:63]
	v_add_co_u32 v3, vcc_lo, v4, v3
	v_add_co_ci_u32_e64 v2, null, v5, v2, vcc_lo
	v_mov_b32_e32 v81, v67
	v_cndmask_b32_e64 v0, v62, v0, s0
	v_cndmask_b32_e64 v1, v63, v1, s0
	v_mov_b32_e32 v83, v67
	v_mov_b32_e32 v80, v67
	;; [unrolled: 1-line block ×3, first 2 shown]
	v_add_co_u32 v0, vcc_lo, v3, v0
	v_add_co_ci_u32_e64 v1, null, v2, v1, vcc_lo
	v_mov_b32_e32 v85, v67
	v_and_b32_e32 v66, 48, v0
	v_mov_b32_e32 v79, v67
	s_mov_b32 s0, exec_lo
	v_cmpx_ne_u64_e32 48, v[66:67]
	s_cbranch_execz .LBB52_31
; %bb.28:
	v_lshrrev_b32_e32 v2, 4, v0
	v_mov_b32_e32 v79, 0
	v_mov_b32_e32 v85, 0
	;; [unrolled: 1-line block ×4, first 2 shown]
	v_add_nc_u32_e32 v4, 1, v2
	v_lshlrev_b64 v[2:3], 3, v[60:61]
	v_mov_b32_e32 v83, 0
	v_mov_b32_e32 v81, 0
	;; [unrolled: 1-line block ×3, first 2 shown]
	v_and_b32_e32 v4, 3, v4
	v_mov_b32_e32 v67, 0
	v_add_co_u32 v2, vcc_lo, s12, v2
	v_add_co_ci_u32_e64 v3, null, s13, v3, vcc_lo
	v_sub_co_u32 v4, s6, 0, v4
	v_sub_co_ci_u32_e64 v5, null, 0, 0, s6
	s_mov_b32 s6, 0
.LBB52_29:                              ; =>This Inner Loop Header: Depth=1
	global_load_dwordx2 v[18:19], v[2:3], off
	s_clause 0x2
	global_load_dwordx4 v[6:9], v[64:65], off offset:32
	global_load_dwordx4 v[10:13], v[64:65], off offset:16
	global_load_dwordx4 v[14:17], v[64:65], off
	s_waitcnt vmcnt(3)
	v_sub_co_u32 v18, vcc_lo, v18, v58
	v_sub_co_ci_u32_e64 v19, null, v19, v59, vcc_lo
	v_lshlrev_b64 v[18:19], 5, v[18:19]
	v_add_co_u32 v22, vcc_lo, s2, v18
	v_add_co_ci_u32_e64 v23, null, s3, v19, vcc_lo
	s_clause 0x1
	global_load_dwordx4 v[18:21], v[22:23], off
	global_load_dwordx4 v[22:25], v[22:23], off offset:16
	s_clause 0x4
	global_load_dwordx4 v[26:29], v[64:65], off offset:48
	global_load_dwordx4 v[30:33], v[64:65], off offset:64
	;; [unrolled: 1-line block ×5, first 2 shown]
	v_add_co_u32 v64, vcc_lo, 0x800, v64
	v_add_co_ci_u32_e64 v65, null, 0, v65, vcc_lo
	v_add_co_u32 v60, vcc_lo, v60, 16
	v_add_co_ci_u32_e64 v61, null, 0, v61, vcc_lo
	v_add_co_u32 v4, vcc_lo, v4, 1
	v_add_co_ci_u32_e64 v5, null, 0, v5, vcc_lo
	v_add_co_u32 v2, vcc_lo, 0x80, v2
	v_add_co_ci_u32_e64 v3, null, 0, v3, vcc_lo
	v_cmp_eq_u64_e32 vcc_lo, 0, v[4:5]
	s_or_b32 s6, vcc_lo, s6
	s_waitcnt vmcnt(6)
	v_fmac_f32_e32 v85, v14, v18
	v_fmac_f32_e32 v79, v15, v18
	;; [unrolled: 1-line block ×8, first 2 shown]
	v_fma_f32 v15, -v15, v19, v85
	v_fmac_f32_e32 v79, v14, v19
	v_fma_f32 v14, -v17, v19, v84
	v_fmac_f32_e32 v67, v16, v19
	;; [unrolled: 2-line block ×4, first 2 shown]
	v_fmac_f32_e32 v15, v6, v20
	v_fmac_f32_e32 v79, v7, v20
	;; [unrolled: 1-line block ×4, first 2 shown]
	s_waitcnt vmcnt(4)
	v_fmac_f32_e32 v11, v26, v20
	v_fmac_f32_e32 v81, v27, v20
	;; [unrolled: 1-line block ×4, first 2 shown]
	v_fma_f32 v7, -v7, v21, v15
	v_fmac_f32_e32 v79, v6, v21
	v_fma_f32 v6, -v9, v21, v14
	v_fmac_f32_e32 v67, v8, v21
	;; [unrolled: 2-line block ×4, first 2 shown]
	s_waitcnt vmcnt(3)
	v_fmac_f32_e32 v7, v30, v22
	v_fmac_f32_e32 v79, v31, v22
	;; [unrolled: 1-line block ×4, first 2 shown]
	s_waitcnt vmcnt(2)
	v_fmac_f32_e32 v8, v34, v22
	v_fmac_f32_e32 v81, v35, v22
	v_fmac_f32_e32 v9, v36, v22
	v_fmac_f32_e32 v80, v37, v22
	v_fma_f32 v7, -v31, v23, v7
	v_fmac_f32_e32 v79, v30, v23
	v_fma_f32 v6, -v33, v23, v6
	v_fmac_f32_e32 v67, v32, v23
	v_fma_f32 v8, -v35, v23, v8
	v_fmac_f32_e32 v81, v34, v23
	v_fma_f32 v9, -v37, v23, v9
	v_fmac_f32_e32 v80, v36, v23
	s_waitcnt vmcnt(1)
	v_fmac_f32_e32 v7, v38, v24
	v_fmac_f32_e32 v79, v39, v24
	v_fmac_f32_e32 v6, v40, v24
	v_fmac_f32_e32 v67, v41, v24
	s_waitcnt vmcnt(0)
	v_fmac_f32_e32 v8, v42, v24
	v_fmac_f32_e32 v81, v43, v24
	;; [unrolled: 1-line block ×4, first 2 shown]
	v_fma_f32 v85, -v39, v25, v7
	v_fmac_f32_e32 v79, v38, v25
	v_fma_f32 v84, -v41, v25, v6
	v_fmac_f32_e32 v67, v40, v25
	;; [unrolled: 2-line block ×4, first 2 shown]
	s_andn2_b32 exec_lo, exec_lo, s6
	s_cbranch_execnz .LBB52_29
; %bb.30:
	s_or_b32 exec_lo, exec_lo, s6
.LBB52_31:
	s_or_b32 exec_lo, exec_lo, s0
	s_mov_b32 s0, exec_lo
	v_cmpx_lt_u64_e32 47, v[0:1]
	s_cbranch_execz .LBB52_35
; %bb.32:
	v_lshlrev_b64 v[0:1], 3, v[60:61]
	s_mov_b32 s6, 0
	v_add_co_u32 v0, vcc_lo, s12, v0
	v_add_co_ci_u32_e64 v1, null, s13, v1, vcc_lo
	v_add_co_u32 v28, vcc_lo, 0x100, v0
	v_add_co_ci_u32_e64 v29, null, 0, v1, vcc_lo
.LBB52_33:                              ; =>This Inner Loop Header: Depth=1
	global_load_dwordx2 v[76:77], v[28:29], off offset:-256
	s_clause 0x7
	global_load_dwordx4 v[4:7], v[64:65], off offset:48
	global_load_dwordx4 v[12:15], v[64:65], off offset:32
	;; [unrolled: 1-line block ×3, first 2 shown]
	global_load_dwordx4 v[32:35], v[64:65], off
	global_load_dwordx4 v[0:3], v[64:65], off offset:112
	global_load_dwordx4 v[8:11], v[64:65], off offset:96
	;; [unrolled: 1-line block ×4, first 2 shown]
	v_add_co_u32 v86, vcc_lo, 0x800, v64
	v_add_co_ci_u32_e64 v87, null, 0, v65, vcc_lo
	v_add_co_u32 v94, vcc_lo, v64, 0x1000
	v_add_co_ci_u32_e64 v95, null, 0, v65, vcc_lo
	;; [unrolled: 2-line block ×4, first 2 shown]
	s_clause 0x2
	global_load_dwordx2 v[108:109], v[28:29], off offset:-128
	global_load_dwordx2 v[30:31], v[28:29], off
	global_load_dwordx2 v[110:111], v[28:29], off offset:128
	s_clause 0x8
	global_load_dwordx4 v[36:39], v[86:87], off offset:32
	global_load_dwordx4 v[40:43], v[86:87], off offset:16
	;; [unrolled: 1-line block ×7, first 2 shown]
	global_load_dwordx4 v[90:93], v[94:95], off offset:-2048
	global_load_dwordx4 v[94:97], v[94:95], off
	s_waitcnt vmcnt(20)
	v_sub_co_u32 v76, vcc_lo, v76, v58
	v_sub_co_ci_u32_e64 v77, null, v77, v59, vcc_lo
	v_lshlrev_b64 v[76:77], 5, v[76:77]
	v_add_co_u32 v76, vcc_lo, s2, v76
	v_add_co_ci_u32_e64 v77, null, s3, v77, vcc_lo
	s_clause 0x1
	global_load_dwordx4 v[98:101], v[76:77], off
	global_load_dwordx4 v[102:105], v[76:77], off offset:16
	s_waitcnt vmcnt(1)
	v_fmac_f32_e32 v84, v34, v98
	v_fmac_f32_e32 v85, v32, v98
	;; [unrolled: 1-line block ×5, first 2 shown]
	v_fma_f32 v76, -v35, v99, v84
	v_fmac_f32_e32 v81, v21, v98
	v_fmac_f32_e32 v82, v22, v98
	;; [unrolled: 1-line block ×3, first 2 shown]
	v_fma_f32 v66, -v33, v99, v85
	v_fmac_f32_e32 v76, v14, v100
	v_fmac_f32_e32 v79, v32, v99
	;; [unrolled: 1-line block ×3, first 2 shown]
	v_fma_f32 v77, -v21, v99, v83
	v_fmac_f32_e32 v81, v20, v99
	v_fma_f32 v82, -v23, v99, v82
	v_fmac_f32_e32 v80, v22, v99
	;; [unrolled: 2-line block ×3, first 2 shown]
	v_fmac_f32_e32 v79, v13, v100
	v_fmac_f32_e32 v67, v15, v100
	;; [unrolled: 1-line block ×6, first 2 shown]
	s_waitcnt vmcnt(0)
	v_fmac_f32_e32 v76, v26, v102
	v_fma_f32 v66, -v13, v101, v66
	v_fmac_f32_e32 v79, v12, v101
	v_fmac_f32_e32 v67, v14, v101
	v_fma_f32 v114, -v5, v101, v77
	v_fmac_f32_e32 v81, v4, v101
	v_fma_f32 v115, -v7, v101, v82
	;; [unrolled: 2-line block ×3, first 2 shown]
	v_sub_co_u32 v76, vcc_lo, v108, v58
	v_sub_co_ci_u32_e64 v77, null, v109, v59, vcc_lo
	v_fmac_f32_e32 v66, v24, v102
	v_fmac_f32_e32 v79, v25, v102
	;; [unrolled: 1-line block ×7, first 2 shown]
	v_lshlrev_b64 v[76:77], 5, v[76:77]
	s_clause 0x4
	global_load_dwordx4 v[32:35], v[106:107], off offset:48
	global_load_dwordx4 v[20:23], v[106:107], off offset:32
	;; [unrolled: 1-line block ×5, first 2 shown]
	v_fma_f32 v66, -v25, v103, v66
	v_fmac_f32_e32 v79, v24, v103
	v_fmac_f32_e32 v67, v26, v103
	s_clause 0x1
	global_load_dwordx4 v[24:27], v[106:107], off offset:80
	global_load_dwordx4 v[98:101], v[106:107], off offset:64
	v_fma_f32 v102, -v17, v103, v114
	v_fmac_f32_e32 v81, v16, v103
	v_fma_f32 v106, -v19, v103, v115
	v_fmac_f32_e32 v80, v18, v103
	v_add_co_u32 v76, vcc_lo, s2, v76
	v_add_co_ci_u32_e64 v77, null, s3, v77, vcc_lo
	v_fmac_f32_e32 v66, v8, v104
	v_fmac_f32_e32 v79, v9, v104
	v_fmac_f32_e32 v116, v10, v104
	v_fmac_f32_e32 v67, v11, v104
	v_fmac_f32_e32 v102, v0, v104
	v_fmac_f32_e32 v81, v1, v104
	v_fmac_f32_e32 v106, v2, v104
	v_fmac_f32_e32 v80, v3, v104
	global_load_dwordx4 v[16:19], v[112:113], off
	v_fma_f32 v66, -v9, v105, v66
	v_fmac_f32_e32 v79, v8, v105
	v_fma_f32 v107, -v11, v105, v116
	v_fmac_f32_e32 v67, v10, v105
	global_load_dwordx4 v[8:11], v[112:113], off offset:48
	v_fma_f32 v108, -v1, v105, v102
	v_fmac_f32_e32 v81, v0, v105
	v_fma_f32 v106, -v3, v105, v106
	v_fmac_f32_e32 v80, v2, v105
	s_clause 0x1
	global_load_dwordx4 v[0:3], v[76:77], off
	global_load_dwordx4 v[102:105], v[76:77], off offset:16
	v_sub_co_u32 v30, vcc_lo, v30, v58
	v_sub_co_ci_u32_e64 v31, null, v31, v59, vcc_lo
	v_lshlrev_b64 v[30:31], 5, v[30:31]
	s_waitcnt vmcnt(1)
	v_fmac_f32_e32 v81, v41, v0
	v_fmac_f32_e32 v108, v40, v0
	;; [unrolled: 1-line block ×9, first 2 shown]
	v_fma_f32 v0, -v41, v1, v108
	v_fmac_f32_e32 v81, v73, v2
	v_fma_f32 v76, -v93, v1, v107
	v_fma_f32 v66, -v91, v1, v66
	v_fmac_f32_e32 v79, v90, v1
	v_fmac_f32_e32 v0, v72, v2
	;; [unrolled: 1-line block ×3, first 2 shown]
	v_sub_co_u32 v72, vcc_lo, v110, v58
	v_fmac_f32_e32 v67, v92, v1
	v_fma_f32 v115, -v73, v3, v0
	v_sub_co_ci_u32_e64 v73, null, v111, v59, vcc_lo
	v_fma_f32 v77, -v43, v1, v106
	v_fmac_f32_e32 v80, v42, v1
	v_fmac_f32_e32 v76, v38, v2
	v_lshlrev_b64 v[72:73], 5, v[72:73]
	v_add_co_u32 v30, vcc_lo, s2, v30
	v_fmac_f32_e32 v66, v36, v2
	v_fmac_f32_e32 v79, v37, v2
	;; [unrolled: 1-line block ×5, first 2 shown]
	v_add_co_ci_u32_e64 v31, null, s3, v31, vcc_lo
	v_fma_f32 v114, -v39, v3, v76
	v_add_co_u32 v76, vcc_lo, s2, v72
	s_clause 0x1
	global_load_dwordx4 v[90:93], v[112:113], off offset:32
	global_load_dwordx4 v[40:43], v[112:113], off offset:16
	v_fma_f32 v66, -v37, v3, v66
	v_fmac_f32_e32 v79, v36, v3
	v_fmac_f32_e32 v67, v38, v3
	global_load_dwordx4 v[36:39], v[112:113], off offset:64
	v_fma_f32 v116, -v75, v3, v77
	v_fmac_f32_e32 v80, v74, v3
	global_load_dwordx4 v[0:3], v[112:113], off offset:80
	v_add_co_ci_u32_e64 v77, null, s3, v73, vcc_lo
	s_clause 0x1
	global_load_dwordx4 v[72:75], v[30:31], off
	global_load_dwordx4 v[106:109], v[30:31], off offset:16
	s_waitcnt vmcnt(6)
	v_fmac_f32_e32 v66, v86, v102
	v_fmac_f32_e32 v79, v87, v102
	;; [unrolled: 1-line block ×5, first 2 shown]
	v_fma_f32 v30, -v87, v103, v66
	v_fmac_f32_e32 v79, v86, v103
	v_fma_f32 v31, -v89, v103, v114
	v_fmac_f32_e32 v67, v88, v103
	global_load_dwordx4 v[86:89], v[76:77], off
	v_fmac_f32_e32 v81, v69, v102
	v_fmac_f32_e32 v116, v70, v102
	;; [unrolled: 1-line block ×3, first 2 shown]
	v_fma_f32 v66, -v69, v103, v115
	v_fmac_f32_e32 v30, v48, v104
	v_fmac_f32_e32 v81, v68, v103
	v_fma_f32 v102, -v71, v103, v116
	v_fmac_f32_e32 v80, v70, v103
	global_load_dwordx4 v[68:71], v[76:77], off offset:16
	v_fmac_f32_e32 v79, v49, v104
	v_fmac_f32_e32 v31, v50, v104
	;; [unrolled: 1-line block ×3, first 2 shown]
	v_fma_f32 v30, -v49, v105, v30
	v_fmac_f32_e32 v66, v44, v104
	v_fmac_f32_e32 v79, v48, v105
	v_fma_f32 v31, -v51, v105, v31
	v_fmac_f32_e32 v67, v50, v105
	s_clause 0x1
	global_load_dwordx4 v[48:51], v[112:113], off offset:96
	global_load_dwordx4 v[110:113], v[112:113], off offset:112
	v_fmac_f32_e32 v81, v45, v104
	v_fmac_f32_e32 v102, v46, v104
	;; [unrolled: 1-line block ×3, first 2 shown]
	v_fma_f32 v45, -v45, v105, v66
	v_add_co_u32 v60, vcc_lo, v60, 64
	v_fmac_f32_e32 v81, v44, v105
	v_fma_f32 v44, -v47, v105, v102
	v_fmac_f32_e32 v80, v46, v105
	v_add_co_ci_u32_e64 v61, null, 0, v61, vcc_lo
	v_add_co_u32 v28, vcc_lo, 0x200, v28
	v_add_co_ci_u32_e64 v29, null, 0, v29, vcc_lo
	v_add_co_u32 v64, vcc_lo, 0x2000, v64
	v_add_co_ci_u32_e64 v65, null, 0, v65, vcc_lo
	v_cmp_ge_i64_e32 vcc_lo, v[60:61], v[62:63]
	s_or_b32 s6, vcc_lo, s6
	s_waitcnt vmcnt(5)
	v_fmac_f32_e32 v30, v94, v72
	v_fmac_f32_e32 v79, v95, v72
	v_fmac_f32_e32 v31, v96, v72
	v_fmac_f32_e32 v67, v97, v72
	v_fmac_f32_e32 v45, v12, v72
	v_fmac_f32_e32 v81, v13, v72
	v_fmac_f32_e32 v44, v14, v72
	v_fmac_f32_e32 v80, v15, v72
	v_fma_f32 v30, -v95, v73, v30
	v_fmac_f32_e32 v79, v94, v73
	v_fma_f32 v31, -v97, v73, v31
	v_fmac_f32_e32 v67, v96, v73
	v_fma_f32 v13, -v13, v73, v45
	v_fmac_f32_e32 v81, v12, v73
	v_fma_f32 v12, -v15, v73, v44
	v_fmac_f32_e32 v80, v14, v73
	v_fmac_f32_e32 v30, v20, v74
	v_fmac_f32_e32 v79, v21, v74
	v_fmac_f32_e32 v31, v22, v74
	v_fmac_f32_e32 v67, v23, v74
	v_fmac_f32_e32 v13, v32, v74
	v_fmac_f32_e32 v81, v33, v74
	v_fmac_f32_e32 v12, v34, v74
	v_fmac_f32_e32 v80, v35, v74
	v_fma_f32 v14, -v21, v75, v30
	v_fmac_f32_e32 v79, v20, v75
	v_fma_f32 v15, -v23, v75, v31
	v_fmac_f32_e32 v67, v22, v75
	v_fma_f32 v13, -v33, v75, v13
	v_fmac_f32_e32 v81, v32, v75
	v_fma_f32 v12, -v35, v75, v12
	v_fmac_f32_e32 v80, v34, v75
	s_waitcnt vmcnt(4)
	v_fmac_f32_e32 v14, v98, v106
	v_fmac_f32_e32 v79, v99, v106
	v_fmac_f32_e32 v15, v100, v106
	v_fmac_f32_e32 v67, v101, v106
	v_fmac_f32_e32 v13, v24, v106
	v_fmac_f32_e32 v81, v25, v106
	v_fmac_f32_e32 v12, v26, v106
	v_fmac_f32_e32 v80, v27, v106
	v_fma_f32 v14, -v99, v107, v14
	v_fmac_f32_e32 v79, v98, v107
	v_fma_f32 v15, -v101, v107, v15
	v_fmac_f32_e32 v67, v100, v107
	v_fma_f32 v13, -v25, v107, v13
	v_fmac_f32_e32 v81, v24, v107
	v_fma_f32 v12, -v27, v107, v12
	v_fmac_f32_e32 v80, v26, v107
	v_fmac_f32_e32 v14, v82, v108
	v_fmac_f32_e32 v79, v83, v108
	v_fmac_f32_e32 v15, v84, v108
	v_fmac_f32_e32 v67, v85, v108
	v_fmac_f32_e32 v13, v4, v108
	v_fmac_f32_e32 v81, v5, v108
	v_fmac_f32_e32 v12, v6, v108
	v_fmac_f32_e32 v80, v7, v108
	v_fma_f32 v14, -v83, v109, v14
	v_fmac_f32_e32 v79, v82, v109
	v_fma_f32 v15, -v85, v109, v15
	v_fmac_f32_e32 v67, v84, v109
	v_fma_f32 v5, -v5, v109, v13
	v_fmac_f32_e32 v81, v4, v109
	v_fma_f32 v4, -v7, v109, v12
	v_fmac_f32_e32 v80, v6, v109
	;; [unrolled: 33-line block ×3, first 2 shown]
	s_waitcnt vmcnt(2)
	v_fmac_f32_e32 v6, v36, v68
	v_fmac_f32_e32 v79, v37, v68
	v_fmac_f32_e32 v7, v38, v68
	v_fmac_f32_e32 v67, v39, v68
	v_fmac_f32_e32 v5, v0, v68
	v_fmac_f32_e32 v81, v1, v68
	v_fmac_f32_e32 v4, v2, v68
	v_fmac_f32_e32 v80, v3, v68
	v_fma_f32 v6, -v37, v69, v6
	v_fmac_f32_e32 v79, v36, v69
	v_fma_f32 v7, -v39, v69, v7
	v_fmac_f32_e32 v67, v38, v69
	v_fma_f32 v1, -v1, v69, v5
	v_fmac_f32_e32 v81, v0, v69
	v_fma_f32 v0, -v3, v69, v4
	v_fmac_f32_e32 v80, v2, v69
	s_waitcnt vmcnt(1)
	v_fmac_f32_e32 v6, v48, v70
	v_fmac_f32_e32 v79, v49, v70
	;; [unrolled: 1-line block ×4, first 2 shown]
	s_waitcnt vmcnt(0)
	v_fmac_f32_e32 v1, v110, v70
	v_fmac_f32_e32 v81, v111, v70
	v_fmac_f32_e32 v0, v112, v70
	v_fmac_f32_e32 v80, v113, v70
	v_fma_f32 v85, -v49, v71, v6
	v_fmac_f32_e32 v79, v48, v71
	v_fma_f32 v84, -v51, v71, v7
	v_fmac_f32_e32 v67, v50, v71
	;; [unrolled: 2-line block ×4, first 2 shown]
	s_andn2_b32 exec_lo, exec_lo, s6
	s_cbranch_execnz .LBB52_33
; %bb.34:
	s_or_b32 exec_lo, exec_lo, s6
.LBB52_35:
	s_or_b32 exec_lo, exec_lo, s0
.LBB52_36:
	s_or_b32 exec_lo, exec_lo, s1
.LBB52_37:
	v_mbcnt_lo_u32_b32 v0, -1, 0
	v_xor_b32_e32 v1, 8, v0
	v_xor_b32_e32 v9, 4, v0
	;; [unrolled: 1-line block ×3, first 2 shown]
	v_cmp_gt_i32_e32 vcc_lo, 32, v1
	v_cndmask_b32_e32 v1, v0, v1, vcc_lo
	v_cmp_gt_i32_e32 vcc_lo, 32, v9
	v_lshlrev_b32_e32 v1, 2, v1
	v_cndmask_b32_e32 v9, v0, v9, vcc_lo
	v_cmp_gt_i32_e32 vcc_lo, 32, v17
	ds_bpermute_b32 v2, v1, v85
	ds_bpermute_b32 v3, v1, v79
	;; [unrolled: 1-line block ×8, first 2 shown]
	v_lshlrev_b32_e32 v9, 2, v9
	v_cndmask_b32_e32 v17, v0, v17, vcc_lo
	v_lshlrev_b32_e32 v17, 2, v17
	s_waitcnt lgkmcnt(7)
	v_add_f32_e32 v2, v85, v2
	s_waitcnt lgkmcnt(6)
	v_add_f32_e32 v3, v79, v3
	;; [unrolled: 2-line block ×8, first 2 shown]
	ds_bpermute_b32 v10, v9, v2
	ds_bpermute_b32 v11, v9, v3
	;; [unrolled: 1-line block ×8, first 2 shown]
	s_waitcnt lgkmcnt(7)
	v_add_f32_e32 v2, v2, v10
	s_waitcnt lgkmcnt(6)
	v_add_f32_e32 v3, v3, v11
	;; [unrolled: 2-line block ×8, first 2 shown]
	ds_bpermute_b32 v1, v17, v2
	ds_bpermute_b32 v10, v17, v3
	;; [unrolled: 1-line block ×8, first 2 shown]
	v_xor_b32_e32 v17, 1, v0
	v_cmp_gt_i32_e32 vcc_lo, 32, v17
	v_cndmask_b32_e32 v0, v0, v17, vcc_lo
	v_cmp_eq_u32_e32 vcc_lo, 15, v78
	v_lshlrev_b32_e32 v17, 2, v0
	s_waitcnt lgkmcnt(7)
	v_add_f32_e32 v0, v2, v1
	s_waitcnt lgkmcnt(6)
	v_add_f32_e32 v1, v3, v10
	;; [unrolled: 2-line block ×8, first 2 shown]
	ds_bpermute_b32 v8, v17, v0
	ds_bpermute_b32 v9, v17, v1
	;; [unrolled: 1-line block ×8, first 2 shown]
	s_and_b32 exec_lo, exec_lo, vcc_lo
	s_cbranch_execz .LBB52_8
; %bb.38:
	s_load_dwordx2 s[2:3], s[4:5], 0x58
	s_waitcnt lgkmcnt(0)
	v_add_f32_e32 v8, v0, v8
	v_add_f32_e32 v0, v1, v9
	;; [unrolled: 1-line block ×7, first 2 shown]
	v_mul_f32_e64 v4, v0, -v55
	v_mul_f32_e32 v5, v54, v0
	v_add_f32_e32 v12, v6, v14
	v_mul_f32_e64 v6, v1, -v55
	v_mul_f32_e32 v7, v54, v1
	v_mul_f32_e64 v0, v2, -v55
	v_mul_f32_e32 v1, v54, v2
	v_mul_f32_e64 v2, v3, -v55
	v_mul_f32_e32 v3, v54, v3
	v_cmp_eq_f32_e32 vcc_lo, 0, v52
	v_cmp_eq_f32_e64 s0, 0, v53
	v_fmac_f32_e32 v4, v54, v8
	v_fmac_f32_e32 v5, v55, v8
	v_lshlrev_b64 v[8:9], 5, v[56:57]
	v_fmac_f32_e32 v6, v54, v10
	v_fmac_f32_e32 v7, v55, v10
	v_fmac_f32_e32 v0, v54, v11
	v_fmac_f32_e32 v1, v55, v11
	v_fmac_f32_e32 v2, v54, v12
	v_fmac_f32_e32 v3, v55, v12
	s_and_b32 s0, vcc_lo, s0
	s_and_saveexec_b32 s1, s0
	s_xor_b32 s0, exec_lo, s1
	s_cbranch_execz .LBB52_40
; %bb.39:
	v_add_co_u32 v8, vcc_lo, s2, v8
	v_add_co_ci_u32_e64 v9, null, s3, v9, vcc_lo
                                        ; implicit-def: $vgpr52_vgpr53
	global_store_dwordx4 v[8:9], v[4:7], off
	global_store_dwordx4 v[8:9], v[0:3], off offset:16
                                        ; implicit-def: $vgpr4
                                        ; implicit-def: $vgpr8_vgpr9
                                        ; implicit-def: $vgpr0
.LBB52_40:
	s_andn2_saveexec_b32 s0, s0
	s_cbranch_execz .LBB52_8
; %bb.41:
	v_add_co_u32 v16, vcc_lo, s2, v8
	v_add_co_ci_u32_e64 v17, null, s3, v9, vcc_lo
	s_clause 0x1
	global_load_dwordx4 v[8:11], v[16:17], off
	global_load_dwordx4 v[12:15], v[16:17], off offset:16
	s_waitcnt vmcnt(1)
	v_fmac_f32_e32 v4, v52, v8
	v_fmac_f32_e32 v5, v53, v8
	;; [unrolled: 1-line block ×4, first 2 shown]
	s_waitcnt vmcnt(0)
	v_fmac_f32_e32 v0, v52, v12
	v_fmac_f32_e32 v1, v53, v12
	;; [unrolled: 1-line block ×4, first 2 shown]
	v_fma_f32 v4, -v53, v9, v4
	v_fmac_f32_e32 v5, v52, v9
	v_fma_f32 v6, -v53, v11, v6
	v_fmac_f32_e32 v7, v52, v11
	;; [unrolled: 2-line block ×4, first 2 shown]
	global_store_dwordx4 v[16:17], v[4:7], off
	global_store_dwordx4 v[16:17], v[0:3], off offset:16
	s_endpgm
	.section	.rodata,"a",@progbits
	.p2align	6, 0x0
	.amdhsa_kernel _ZN9rocsparseL18bsrxmvn_4x4_kernelILj128ELj16E21rocsparse_complex_numIfEllS2_S2_S2_EEvT3_20rocsparse_direction_NS_24const_host_device_scalarIT1_EES3_PKS3_PKT2_SC_S9_PKT4_PKT5_S7_PT6_21rocsparse_index_base_b
		.amdhsa_group_segment_fixed_size 0
		.amdhsa_private_segment_fixed_size 0
		.amdhsa_kernarg_size 104
		.amdhsa_user_sgpr_count 6
		.amdhsa_user_sgpr_private_segment_buffer 1
		.amdhsa_user_sgpr_dispatch_ptr 0
		.amdhsa_user_sgpr_queue_ptr 0
		.amdhsa_user_sgpr_kernarg_segment_ptr 1
		.amdhsa_user_sgpr_dispatch_id 0
		.amdhsa_user_sgpr_flat_scratch_init 0
		.amdhsa_user_sgpr_private_segment_size 0
		.amdhsa_wavefront_size32 1
		.amdhsa_uses_dynamic_stack 0
		.amdhsa_system_sgpr_private_segment_wavefront_offset 0
		.amdhsa_system_sgpr_workgroup_id_x 1
		.amdhsa_system_sgpr_workgroup_id_y 0
		.amdhsa_system_sgpr_workgroup_id_z 0
		.amdhsa_system_sgpr_workgroup_info 0
		.amdhsa_system_vgpr_workitem_id 0
		.amdhsa_next_free_vgpr 141
		.amdhsa_next_free_sgpr 16
		.amdhsa_reserve_vcc 1
		.amdhsa_reserve_flat_scratch 0
		.amdhsa_float_round_mode_32 0
		.amdhsa_float_round_mode_16_64 0
		.amdhsa_float_denorm_mode_32 3
		.amdhsa_float_denorm_mode_16_64 3
		.amdhsa_dx10_clamp 1
		.amdhsa_ieee_mode 1
		.amdhsa_fp16_overflow 0
		.amdhsa_workgroup_processor_mode 1
		.amdhsa_memory_ordered 1
		.amdhsa_forward_progress 1
		.amdhsa_shared_vgpr_count 0
		.amdhsa_exception_fp_ieee_invalid_op 0
		.amdhsa_exception_fp_denorm_src 0
		.amdhsa_exception_fp_ieee_div_zero 0
		.amdhsa_exception_fp_ieee_overflow 0
		.amdhsa_exception_fp_ieee_underflow 0
		.amdhsa_exception_fp_ieee_inexact 0
		.amdhsa_exception_int_div_zero 0
	.end_amdhsa_kernel
	.section	.text._ZN9rocsparseL18bsrxmvn_4x4_kernelILj128ELj16E21rocsparse_complex_numIfEllS2_S2_S2_EEvT3_20rocsparse_direction_NS_24const_host_device_scalarIT1_EES3_PKS3_PKT2_SC_S9_PKT4_PKT5_S7_PT6_21rocsparse_index_base_b,"axG",@progbits,_ZN9rocsparseL18bsrxmvn_4x4_kernelILj128ELj16E21rocsparse_complex_numIfEllS2_S2_S2_EEvT3_20rocsparse_direction_NS_24const_host_device_scalarIT1_EES3_PKS3_PKT2_SC_S9_PKT4_PKT5_S7_PT6_21rocsparse_index_base_b,comdat
.Lfunc_end52:
	.size	_ZN9rocsparseL18bsrxmvn_4x4_kernelILj128ELj16E21rocsparse_complex_numIfEllS2_S2_S2_EEvT3_20rocsparse_direction_NS_24const_host_device_scalarIT1_EES3_PKS3_PKT2_SC_S9_PKT4_PKT5_S7_PT6_21rocsparse_index_base_b, .Lfunc_end52-_ZN9rocsparseL18bsrxmvn_4x4_kernelILj128ELj16E21rocsparse_complex_numIfEllS2_S2_S2_EEvT3_20rocsparse_direction_NS_24const_host_device_scalarIT1_EES3_PKS3_PKT2_SC_S9_PKT4_PKT5_S7_PT6_21rocsparse_index_base_b
                                        ; -- End function
	.set _ZN9rocsparseL18bsrxmvn_4x4_kernelILj128ELj16E21rocsparse_complex_numIfEllS2_S2_S2_EEvT3_20rocsparse_direction_NS_24const_host_device_scalarIT1_EES3_PKS3_PKT2_SC_S9_PKT4_PKT5_S7_PT6_21rocsparse_index_base_b.num_vgpr, 141
	.set _ZN9rocsparseL18bsrxmvn_4x4_kernelILj128ELj16E21rocsparse_complex_numIfEllS2_S2_S2_EEvT3_20rocsparse_direction_NS_24const_host_device_scalarIT1_EES3_PKS3_PKT2_SC_S9_PKT4_PKT5_S7_PT6_21rocsparse_index_base_b.num_agpr, 0
	.set _ZN9rocsparseL18bsrxmvn_4x4_kernelILj128ELj16E21rocsparse_complex_numIfEllS2_S2_S2_EEvT3_20rocsparse_direction_NS_24const_host_device_scalarIT1_EES3_PKS3_PKT2_SC_S9_PKT4_PKT5_S7_PT6_21rocsparse_index_base_b.numbered_sgpr, 16
	.set _ZN9rocsparseL18bsrxmvn_4x4_kernelILj128ELj16E21rocsparse_complex_numIfEllS2_S2_S2_EEvT3_20rocsparse_direction_NS_24const_host_device_scalarIT1_EES3_PKS3_PKT2_SC_S9_PKT4_PKT5_S7_PT6_21rocsparse_index_base_b.num_named_barrier, 0
	.set _ZN9rocsparseL18bsrxmvn_4x4_kernelILj128ELj16E21rocsparse_complex_numIfEllS2_S2_S2_EEvT3_20rocsparse_direction_NS_24const_host_device_scalarIT1_EES3_PKS3_PKT2_SC_S9_PKT4_PKT5_S7_PT6_21rocsparse_index_base_b.private_seg_size, 0
	.set _ZN9rocsparseL18bsrxmvn_4x4_kernelILj128ELj16E21rocsparse_complex_numIfEllS2_S2_S2_EEvT3_20rocsparse_direction_NS_24const_host_device_scalarIT1_EES3_PKS3_PKT2_SC_S9_PKT4_PKT5_S7_PT6_21rocsparse_index_base_b.uses_vcc, 1
	.set _ZN9rocsparseL18bsrxmvn_4x4_kernelILj128ELj16E21rocsparse_complex_numIfEllS2_S2_S2_EEvT3_20rocsparse_direction_NS_24const_host_device_scalarIT1_EES3_PKS3_PKT2_SC_S9_PKT4_PKT5_S7_PT6_21rocsparse_index_base_b.uses_flat_scratch, 0
	.set _ZN9rocsparseL18bsrxmvn_4x4_kernelILj128ELj16E21rocsparse_complex_numIfEllS2_S2_S2_EEvT3_20rocsparse_direction_NS_24const_host_device_scalarIT1_EES3_PKS3_PKT2_SC_S9_PKT4_PKT5_S7_PT6_21rocsparse_index_base_b.has_dyn_sized_stack, 0
	.set _ZN9rocsparseL18bsrxmvn_4x4_kernelILj128ELj16E21rocsparse_complex_numIfEllS2_S2_S2_EEvT3_20rocsparse_direction_NS_24const_host_device_scalarIT1_EES3_PKS3_PKT2_SC_S9_PKT4_PKT5_S7_PT6_21rocsparse_index_base_b.has_recursion, 0
	.set _ZN9rocsparseL18bsrxmvn_4x4_kernelILj128ELj16E21rocsparse_complex_numIfEllS2_S2_S2_EEvT3_20rocsparse_direction_NS_24const_host_device_scalarIT1_EES3_PKS3_PKT2_SC_S9_PKT4_PKT5_S7_PT6_21rocsparse_index_base_b.has_indirect_call, 0
	.section	.AMDGPU.csdata,"",@progbits
; Kernel info:
; codeLenInByte = 7428
; TotalNumSgprs: 18
; NumVgprs: 141
; ScratchSize: 0
; MemoryBound: 0
; FloatMode: 240
; IeeeMode: 1
; LDSByteSize: 0 bytes/workgroup (compile time only)
; SGPRBlocks: 0
; VGPRBlocks: 17
; NumSGPRsForWavesPerEU: 18
; NumVGPRsForWavesPerEU: 141
; Occupancy: 7
; WaveLimiterHint : 1
; COMPUTE_PGM_RSRC2:SCRATCH_EN: 0
; COMPUTE_PGM_RSRC2:USER_SGPR: 6
; COMPUTE_PGM_RSRC2:TRAP_HANDLER: 0
; COMPUTE_PGM_RSRC2:TGID_X_EN: 1
; COMPUTE_PGM_RSRC2:TGID_Y_EN: 0
; COMPUTE_PGM_RSRC2:TGID_Z_EN: 0
; COMPUTE_PGM_RSRC2:TIDIG_COMP_CNT: 0
	.section	.text._ZN9rocsparseL18bsrxmvn_4x4_kernelILj128ELj32E21rocsparse_complex_numIfEllS2_S2_S2_EEvT3_20rocsparse_direction_NS_24const_host_device_scalarIT1_EES3_PKS3_PKT2_SC_S9_PKT4_PKT5_S7_PT6_21rocsparse_index_base_b,"axG",@progbits,_ZN9rocsparseL18bsrxmvn_4x4_kernelILj128ELj32E21rocsparse_complex_numIfEllS2_S2_S2_EEvT3_20rocsparse_direction_NS_24const_host_device_scalarIT1_EES3_PKS3_PKT2_SC_S9_PKT4_PKT5_S7_PT6_21rocsparse_index_base_b,comdat
	.globl	_ZN9rocsparseL18bsrxmvn_4x4_kernelILj128ELj32E21rocsparse_complex_numIfEllS2_S2_S2_EEvT3_20rocsparse_direction_NS_24const_host_device_scalarIT1_EES3_PKS3_PKT2_SC_S9_PKT4_PKT5_S7_PT6_21rocsparse_index_base_b ; -- Begin function _ZN9rocsparseL18bsrxmvn_4x4_kernelILj128ELj32E21rocsparse_complex_numIfEllS2_S2_S2_EEvT3_20rocsparse_direction_NS_24const_host_device_scalarIT1_EES3_PKS3_PKT2_SC_S9_PKT4_PKT5_S7_PT6_21rocsparse_index_base_b
	.p2align	8
	.type	_ZN9rocsparseL18bsrxmvn_4x4_kernelILj128ELj32E21rocsparse_complex_numIfEllS2_S2_S2_EEvT3_20rocsparse_direction_NS_24const_host_device_scalarIT1_EES3_PKS3_PKT2_SC_S9_PKT4_PKT5_S7_PT6_21rocsparse_index_base_b,@function
_ZN9rocsparseL18bsrxmvn_4x4_kernelILj128ELj32E21rocsparse_complex_numIfEllS2_S2_S2_EEvT3_20rocsparse_direction_NS_24const_host_device_scalarIT1_EES3_PKS3_PKT2_SC_S9_PKT4_PKT5_S7_PT6_21rocsparse_index_base_b: ; @_ZN9rocsparseL18bsrxmvn_4x4_kernelILj128ELj32E21rocsparse_complex_numIfEllS2_S2_S2_EEvT3_20rocsparse_direction_NS_24const_host_device_scalarIT1_EES3_PKS3_PKT2_SC_S9_PKT4_PKT5_S7_PT6_21rocsparse_index_base_b
; %bb.0:
	s_clause 0x2
	s_load_dwordx2 s[8:9], s[4:5], 0x60
	s_load_dwordx4 s[0:3], s[4:5], 0x10
	s_load_dwordx2 s[10:11], s[4:5], 0x50
	s_add_u32 s7, s4, 16
	s_addc_u32 s12, s5, 0
	s_add_u32 s13, s4, 0x50
	s_addc_u32 s14, s5, 0
	s_waitcnt lgkmcnt(0)
	s_bitcmp1_b32 s9, 0
	s_cselect_b32 s0, s7, s0
	s_cselect_b32 s1, s12, s1
	v_mov_b32_e32 v1, s0
	v_mov_b32_e32 v2, s1
	s_cselect_b32 s0, s13, s10
	s_cselect_b32 s1, s14, s11
	flat_load_dwordx2 v[54:55], v[1:2]
	v_mov_b32_e32 v1, s0
	v_mov_b32_e32 v2, s1
	flat_load_dwordx2 v[52:53], v[1:2]
	s_waitcnt vmcnt(1) lgkmcnt(1)
	v_cmp_eq_f32_e32 vcc_lo, 0, v54
	v_cmp_eq_f32_e64 s0, 0, v55
	s_and_b32 s7, vcc_lo, s0
	s_mov_b32 s0, -1
	s_and_saveexec_b32 s1, s7
	s_cbranch_execz .LBB53_2
; %bb.1:
	s_waitcnt vmcnt(0) lgkmcnt(0)
	v_cmp_neq_f32_e32 vcc_lo, 1.0, v52
	v_cmp_neq_f32_e64 s0, 0, v53
	s_or_b32 s0, vcc_lo, s0
	s_orn2_b32 s0, s0, exec_lo
.LBB53_2:
	s_or_b32 exec_lo, exec_lo, s1
	s_and_saveexec_b32 s1, s0
	s_cbranch_execz .LBB53_8
; %bb.3:
	s_load_dwordx2 s[0:1], s[4:5], 0x20
	v_lshrrev_b32_e32 v1, 5, v0
	v_mov_b32_e32 v2, 0
	v_lshl_or_b32 v1, s6, 2, v1
	s_waitcnt lgkmcnt(0)
	s_cmp_lg_u64 s[0:1], 0
	s_cbranch_scc0 .LBB53_9
; %bb.4:
	v_cmp_gt_i64_e32 vcc_lo, s[2:3], v[1:2]
	s_mov_b32 s3, 0
	s_mov_b32 s2, 0
                                        ; implicit-def: $vgpr56_vgpr57
                                        ; implicit-def: $vgpr58_vgpr59
	s_and_saveexec_b32 s6, vcc_lo
	s_xor_b32 s6, exec_lo, s6
	s_cbranch_execz .LBB53_6
; %bb.5:
	v_lshlrev_b64 v[3:4], 3, v[1:2]
	s_mov_b32 s9, 0
	s_mov_b32 s2, exec_lo
	v_mov_b32_e32 v59, s9
	v_mov_b32_e32 v58, s8
	v_add_co_u32 v3, vcc_lo, s0, v3
	v_add_co_ci_u32_e64 v4, null, s1, v4, vcc_lo
	global_load_dwordx2 v[3:4], v[3:4], off
	s_waitcnt vmcnt(0)
	v_sub_co_u32 v56, vcc_lo, v3, s8
	v_subrev_co_ci_u32_e64 v57, null, 0, v4, vcc_lo
.LBB53_6:
	s_or_b32 exec_lo, exec_lo, s6
	s_and_b32 vcc_lo, exec_lo, s3
	s_cbranch_vccnz .LBB53_10
.LBB53_7:
	s_and_b32 exec_lo, exec_lo, s2
	s_cbranch_execnz .LBB53_13
.LBB53_8:
	s_endpgm
.LBB53_9:
	s_mov_b32 s2, 0
                                        ; implicit-def: $vgpr56_vgpr57
                                        ; implicit-def: $vgpr58_vgpr59
	s_cbranch_execz .LBB53_7
.LBB53_10:
	s_load_dwordx2 s[0:1], s[4:5], 0x0
	s_waitcnt lgkmcnt(0)
	v_cmp_gt_i64_e32 vcc_lo, s[0:1], v[1:2]
	s_and_saveexec_b32 s0, vcc_lo
; %bb.11:
	s_mov_b32 s9, 0
	s_or_b32 s2, s2, exec_lo
; %bb.12:
	s_or_b32 exec_lo, exec_lo, s0
	v_mov_b32_e32 v59, s9
	v_mov_b32_e32 v57, v2
	;; [unrolled: 1-line block ×4, first 2 shown]
	s_and_b32 exec_lo, exec_lo, s2
	s_cbranch_execz .LBB53_8
.LBB53_13:
	s_load_dwordx8 s[8:15], s[4:5], 0x28
	v_lshlrev_b64 v[1:2], 3, v[56:57]
	v_and_b32_e32 v78, 31, v0
	s_clause 0x1
	s_load_dword s1, s[4:5], 0x8
	s_load_dwordx2 s[2:3], s[4:5], 0x48
	v_mov_b32_e32 v79, 0
	s_waitcnt lgkmcnt(0)
	v_add_co_u32 v3, vcc_lo, s8, v1
	v_add_co_ci_u32_e64 v4, null, s9, v2, vcc_lo
	v_add_co_u32 v1, vcc_lo, s10, v1
	v_add_co_ci_u32_e64 v2, null, s11, v2, vcc_lo
	v_add_co_u32 v5, vcc_lo, v3, 8
	global_load_dwordx2 v[68:69], v[3:4], off
	v_add_co_ci_u32_e64 v6, null, 0, v4, vcc_lo
	s_cmp_eq_u64 s[10:11], 0
	s_cselect_b32 vcc_lo, -1, 0
	s_cmp_eq_u32 s1, 1
	v_cndmask_b32_e32 v2, v2, v6, vcc_lo
	v_cndmask_b32_e32 v1, v1, v5, vcc_lo
	global_load_dwordx2 v[1:2], v[1:2], off
	s_waitcnt vmcnt(1)
	v_sub_co_u32 v0, vcc_lo, v68, v58
	v_sub_co_ci_u32_e64 v3, null, v69, v59, vcc_lo
	v_add_co_u32 v60, vcc_lo, v0, v78
	v_add_co_ci_u32_e64 v61, null, 0, v3, vcc_lo
	s_waitcnt vmcnt(0)
	v_sub_co_u32 v62, vcc_lo, v1, v58
	v_lshlrev_b64 v[0:1], 7, v[60:61]
	v_sub_co_ci_u32_e64 v63, null, v2, v59, vcc_lo
	v_add_co_u32 v66, vcc_lo, s14, v0
	v_cmp_lt_i64_e64 s0, v[60:61], v[62:63]
	v_add_co_ci_u32_e64 v67, null, s15, v1, vcc_lo
	s_cbranch_scc1 .LBB53_25
; %bb.14:
	v_mov_b32_e32 v85, 0
	v_mov_b32_e32 v82, 0
	;; [unrolled: 1-line block ×7, first 2 shown]
	s_and_saveexec_b32 s6, s0
	s_cbranch_execz .LBB53_24
; %bb.15:
	v_or_b32_e32 v0, 32, v78
	v_not_b32_e32 v3, v68
	v_sub_co_u32 v4, s1, v58, v78
	v_not_b32_e32 v2, v69
	v_sub_co_u32 v0, vcc_lo, v0, v58
	v_sub_co_ci_u32_e64 v1, null, 0, v59, vcc_lo
	v_subrev_co_ci_u32_e64 v5, null, 0, v59, s1
	v_add_co_u32 v0, vcc_lo, v0, v68
	v_add_co_ci_u32_e64 v1, null, v1, v69, vcc_lo
	v_mov_b32_e32 v65, 0
	v_mov_b32_e32 v71, v67
	;; [unrolled: 1-line block ×3, first 2 shown]
	v_cmp_gt_i64_e32 vcc_lo, v[0:1], v[62:63]
	v_mov_b32_e32 v70, v66
	v_mov_b32_e32 v84, v65
	;; [unrolled: 1-line block ×5, first 2 shown]
	v_cndmask_b32_e32 v1, v63, v1, vcc_lo
	v_cndmask_b32_e32 v0, v62, v0, vcc_lo
	v_add_co_u32 v3, vcc_lo, v4, v3
	v_add_co_ci_u32_e64 v2, null, v5, v2, vcc_lo
	v_mov_b32_e32 v82, v65
	v_add_co_u32 v0, vcc_lo, v3, v0
	v_add_co_ci_u32_e64 v1, null, v2, v1, vcc_lo
	v_mov_b32_e32 v85, v65
	v_and_b32_e32 v64, 0x60, v0
	v_mov_b32_e32 v79, v65
	v_mov_b32_e32 v72, v60
	s_mov_b32 s1, exec_lo
	v_cmpx_ne_u64_e32 0x60, v[64:65]
	s_cbranch_execz .LBB53_19
; %bb.16:
	v_lshrrev_b32_e32 v2, 5, v0
	v_mov_b32_e32 v73, v61
	v_mov_b32_e32 v71, v67
	;; [unrolled: 1-line block ×4, first 2 shown]
	v_add_nc_u32_e32 v4, 1, v2
	v_lshlrev_b64 v[2:3], 3, v[60:61]
	v_mov_b32_e32 v70, v66
	v_mov_b32_e32 v85, 0
	;; [unrolled: 1-line block ×3, first 2 shown]
	v_and_b32_e32 v4, 3, v4
	v_mov_b32_e32 v80, 0
	v_add_co_u32 v2, vcc_lo, s12, v2
	v_add_co_ci_u32_e64 v3, null, s13, v3, vcc_lo
	v_sub_co_u32 v4, s7, 0, v4
	v_sub_co_ci_u32_e64 v5, null, 0, 0, s7
	v_mov_b32_e32 v83, 0
	v_mov_b32_e32 v81, 0
	;; [unrolled: 1-line block ×4, first 2 shown]
	s_mov_b32 s7, 0
.LBB53_17:                              ; =>This Inner Loop Header: Depth=1
	global_load_dwordx2 v[38:39], v[2:3], off
	s_clause 0x7
	global_load_dwordx4 v[6:9], v[70:71], off offset:48
	global_load_dwordx4 v[10:13], v[70:71], off offset:32
	;; [unrolled: 1-line block ×3, first 2 shown]
	global_load_dwordx4 v[18:21], v[70:71], off
	global_load_dwordx4 v[22:25], v[70:71], off offset:112
	global_load_dwordx4 v[26:29], v[70:71], off offset:96
	global_load_dwordx4 v[30:33], v[70:71], off offset:80
	global_load_dwordx4 v[34:37], v[70:71], off offset:64
	s_waitcnt vmcnt(8)
	v_sub_co_u32 v38, vcc_lo, v38, v58
	v_sub_co_ci_u32_e64 v39, null, v39, v59, vcc_lo
	v_lshlrev_b64 v[38:39], 5, v[38:39]
	v_add_co_u32 v42, vcc_lo, s2, v38
	v_add_co_ci_u32_e64 v43, null, s3, v39, vcc_lo
	v_add_co_u32 v70, vcc_lo, 0x1000, v70
	v_add_co_ci_u32_e64 v71, null, 0, v71, vcc_lo
	s_clause 0x1
	global_load_dwordx4 v[38:41], v[42:43], off
	global_load_dwordx4 v[42:45], v[42:43], off offset:16
	v_add_co_u32 v72, vcc_lo, v72, 32
	v_add_co_ci_u32_e64 v73, null, 0, v73, vcc_lo
	v_add_co_u32 v4, vcc_lo, v4, 1
	v_add_co_ci_u32_e64 v5, null, 0, v5, vcc_lo
	;; [unrolled: 2-line block ×3, first 2 shown]
	v_cmp_eq_u64_e32 vcc_lo, 0, v[4:5]
	s_or_b32 s7, vcc_lo, s7
	s_waitcnt vmcnt(1)
	v_fmac_f32_e32 v85, v18, v38
	v_fmac_f32_e32 v79, v19, v38
	;; [unrolled: 1-line block ×8, first 2 shown]
	v_fma_f32 v19, -v19, v39, v85
	v_fmac_f32_e32 v79, v18, v39
	v_fma_f32 v11, -v11, v39, v84
	v_fmac_f32_e32 v65, v10, v39
	;; [unrolled: 2-line block ×4, first 2 shown]
	v_fmac_f32_e32 v19, v20, v40
	v_fmac_f32_e32 v79, v21, v40
	v_fmac_f32_e32 v11, v12, v40
	v_fmac_f32_e32 v65, v13, v40
	v_fmac_f32_e32 v10, v36, v40
	v_fmac_f32_e32 v81, v37, v40
	v_fmac_f32_e32 v18, v28, v40
	v_fmac_f32_e32 v80, v29, v40
	v_fma_f32 v19, -v21, v41, v19
	v_fmac_f32_e32 v79, v20, v41
	v_fma_f32 v11, -v13, v41, v11
	v_fmac_f32_e32 v65, v12, v41
	;; [unrolled: 2-line block ×4, first 2 shown]
	s_waitcnt vmcnt(0)
	v_fmac_f32_e32 v19, v14, v42
	v_fmac_f32_e32 v79, v15, v42
	;; [unrolled: 1-line block ×8, first 2 shown]
	v_fma_f32 v13, -v15, v43, v19
	v_fmac_f32_e32 v79, v14, v43
	v_fma_f32 v7, -v7, v43, v11
	v_fmac_f32_e32 v65, v6, v43
	;; [unrolled: 2-line block ×4, first 2 shown]
	v_fmac_f32_e32 v13, v16, v44
	v_fmac_f32_e32 v79, v17, v44
	;; [unrolled: 1-line block ×8, first 2 shown]
	v_fma_f32 v85, -v17, v45, v13
	v_fmac_f32_e32 v79, v16, v45
	v_fma_f32 v84, -v9, v45, v7
	v_fmac_f32_e32 v65, v8, v45
	;; [unrolled: 2-line block ×4, first 2 shown]
	s_andn2_b32 exec_lo, exec_lo, s7
	s_cbranch_execnz .LBB53_17
; %bb.18:
	s_or_b32 exec_lo, exec_lo, s7
.LBB53_19:
	s_or_b32 exec_lo, exec_lo, s1
	s_mov_b32 s1, exec_lo
	v_cmpx_lt_u64_e32 0x5f, v[0:1]
	s_cbranch_execz .LBB53_23
; %bb.20:
	v_lshlrev_b64 v[0:1], 3, v[72:73]
	s_mov_b32 s7, 0
	v_add_co_u32 v0, vcc_lo, s12, v0
	v_add_co_ci_u32_e64 v1, null, s13, v1, vcc_lo
	v_add_co_u32 v74, vcc_lo, 0x200, v0
	v_add_co_ci_u32_e64 v75, null, 0, v1, vcc_lo
.LBB53_21:                              ; =>This Inner Loop Header: Depth=1
	global_load_dwordx2 v[76:77], v[74:75], off offset:-512
	s_clause 0x7
	global_load_dwordx4 v[0:3], v[70:71], off offset:48
	global_load_dwordx4 v[16:19], v[70:71], off offset:32
	;; [unrolled: 1-line block ×3, first 2 shown]
	global_load_dwordx4 v[36:39], v[70:71], off
	global_load_dwordx4 v[4:7], v[70:71], off offset:112
	global_load_dwordx4 v[32:35], v[70:71], off offset:96
	;; [unrolled: 1-line block ×4, first 2 shown]
	s_clause 0x2
	global_load_dwordx2 v[130:131], v[74:75], off offset:-256
	global_load_dwordx2 v[132:133], v[74:75], off
	global_load_dwordx2 v[134:135], v[74:75], off offset:256
	v_add_co_u32 v20, vcc_lo, 0x1000, v70
	v_add_co_ci_u32_e64 v21, null, 0, v71, vcc_lo
	v_add_co_u32 v126, vcc_lo, 0x2000, v70
	v_add_co_ci_u32_e64 v127, null, 0, v71, vcc_lo
	v_add_co_u32 v136, vcc_lo, 0x3000, v70
	v_add_co_ci_u32_e64 v137, null, 0, v71, vcc_lo
	s_clause 0xc
	global_load_dwordx4 v[24:27], v[20:21], off offset:48
	global_load_dwordx4 v[90:93], v[20:21], off offset:32
	global_load_dwordx4 v[94:97], v[20:21], off
	global_load_dwordx4 v[28:31], v[20:21], off offset:16
	global_load_dwordx4 v[40:43], v[20:21], off offset:112
	;; [unrolled: 1-line block ×7, first 2 shown]
	global_load_dwordx4 v[114:117], v[126:127], off
	global_load_dwordx4 v[44:47], v[126:127], off offset:16
	global_load_dwordx4 v[48:51], v[126:127], off offset:112
	s_waitcnt vmcnt(24)
	v_sub_co_u32 v76, vcc_lo, v76, v58
	v_sub_co_ci_u32_e64 v77, null, v77, v59, vcc_lo
	v_lshlrev_b64 v[76:77], 5, v[76:77]
	v_add_co_u32 v76, vcc_lo, s2, v76
	v_add_co_ci_u32_e64 v77, null, s3, v77, vcc_lo
	s_clause 0x1
	global_load_dwordx4 v[118:121], v[76:77], off
	global_load_dwordx4 v[122:125], v[76:77], off offset:16
	s_waitcnt vmcnt(1)
	v_fmac_f32_e32 v85, v36, v118
	v_fmac_f32_e32 v79, v37, v118
	;; [unrolled: 1-line block ×8, first 2 shown]
	v_fma_f32 v37, -v37, v119, v85
	v_fmac_f32_e32 v79, v36, v119
	v_fma_f32 v17, -v17, v119, v84
	v_fmac_f32_e32 v65, v16, v119
	v_fma_f32 v76, -v87, v119, v83
	v_fmac_f32_e32 v81, v86, v119
	v_fma_f32 v33, -v33, v119, v82
	v_fmac_f32_e32 v80, v32, v119
	v_fmac_f32_e32 v37, v38, v120
	v_fmac_f32_e32 v79, v39, v120
	;; [unrolled: 1-line block ×8, first 2 shown]
	v_fma_f32 v64, -v39, v121, v37
	v_fmac_f32_e32 v79, v38, v121
	v_fma_f32 v138, -v19, v121, v17
	v_fmac_f32_e32 v65, v18, v121
	;; [unrolled: 2-line block ×4, first 2 shown]
	v_sub_co_u32 v76, vcc_lo, v130, v58
	v_sub_co_ci_u32_e64 v77, null, v131, v59, vcc_lo
	s_waitcnt vmcnt(0)
	v_fmac_f32_e32 v64, v12, v122
	v_fmac_f32_e32 v79, v13, v122
	;; [unrolled: 1-line block ×8, first 2 shown]
	v_lshlrev_b64 v[76:77], 5, v[76:77]
	v_fma_f32 v13, -v13, v123, v64
	v_fmac_f32_e32 v79, v12, v123
	v_fma_f32 v1, -v1, v123, v138
	v_fmac_f32_e32 v65, v0, v123
	;; [unrolled: 2-line block ×4, first 2 shown]
	v_add_co_u32 v76, vcc_lo, s2, v76
	v_add_co_ci_u32_e64 v77, null, s3, v77, vcc_lo
	v_fmac_f32_e32 v13, v14, v124
	v_fmac_f32_e32 v79, v15, v124
	;; [unrolled: 1-line block ×8, first 2 shown]
	s_clause 0x5
	global_load_dwordx4 v[36:39], v[126:127], off offset:96
	global_load_dwordx4 v[16:19], v[126:127], off offset:80
	;; [unrolled: 1-line block ×3, first 2 shown]
	global_load_dwordx4 v[83:86], v[136:137], off
	global_load_dwordx4 v[118:121], v[136:137], off offset:32
	global_load_dwordx4 v[32:35], v[136:137], off offset:48
	v_fma_f32 v64, -v15, v125, v13
	v_fmac_f32_e32 v79, v14, v125
	global_load_dwordx4 v[12:15], v[136:137], off offset:112
	v_fma_f32 v89, -v3, v125, v1
	v_fmac_f32_e32 v65, v2, v125
	;; [unrolled: 3-line block ×4, first 2 shown]
	s_clause 0x1
	global_load_dwordx4 v[4:7], v[76:77], off
	global_load_dwordx4 v[122:125], v[76:77], off offset:16
	v_sub_co_u32 v76, vcc_lo, v132, v58
	v_sub_co_ci_u32_e64 v77, null, v133, v59, vcc_lo
	v_sub_co_u32 v87, vcc_lo, v134, v58
	v_sub_co_ci_u32_e64 v88, null, v135, v59, vcc_lo
	v_lshlrev_b64 v[76:77], 5, v[76:77]
	v_lshlrev_b64 v[87:88], 5, v[87:88]
	v_add_co_u32 v76, vcc_lo, s2, v76
	v_add_co_ci_u32_e64 v77, null, s3, v77, vcc_lo
	v_add_co_u32 v134, vcc_lo, s2, v87
	v_add_co_ci_u32_e64 v135, null, s3, v88, vcc_lo
	;; [unrolled: 2-line block ×5, first 2 shown]
	v_cmp_ge_i64_e32 vcc_lo, v[72:73], v[62:63]
	s_or_b32 s7, vcc_lo, s7
	s_waitcnt vmcnt(1)
	v_fmac_f32_e32 v64, v94, v4
	v_fmac_f32_e32 v79, v95, v4
	;; [unrolled: 1-line block ×5, first 2 shown]
	v_fma_f32 v64, -v95, v5, v64
	v_fmac_f32_e32 v79, v94, v5
	v_fma_f32 v87, -v91, v5, v89
	v_fmac_f32_e32 v65, v90, v5
	v_fmac_f32_e32 v81, v107, v4
	v_fmac_f32_e32 v64, v96, v6
	v_fmac_f32_e32 v79, v97, v6
	v_fmac_f32_e32 v87, v92, v6
	v_fmac_f32_e32 v82, v98, v4
	v_fmac_f32_e32 v81, v106, v5
	v_fma_f32 v64, -v97, v7, v64
	v_fmac_f32_e32 v79, v96, v7
	global_load_dwordx4 v[94:97], v[136:137], off offset:64
	v_fma_f32 v91, -v93, v7, v87
	s_clause 0x1
	global_load_dwordx4 v[87:90], v[76:77], off
	global_load_dwordx4 v[130:133], v[76:77], off offset:16
	v_fma_f32 v76, -v107, v5, v138
	v_fmac_f32_e32 v81, v109, v6
	v_fmac_f32_e32 v80, v99, v4
	v_fma_f32 v4, -v99, v5, v82
	v_fmac_f32_e32 v65, v93, v6
	v_fmac_f32_e32 v76, v108, v6
	v_fmac_f32_e32 v81, v108, v7
	v_fmac_f32_e32 v80, v98, v5
	v_fmac_f32_e32 v4, v100, v6
	v_fmac_f32_e32 v65, v92, v7
	v_fma_f32 v76, -v109, v7, v76
	global_load_dwordx4 v[106:109], v[134:135], off
	v_fmac_f32_e32 v80, v101, v6
	v_fma_f32 v77, -v101, v7, v4
	s_waitcnt vmcnt(4)
	v_fmac_f32_e32 v64, v28, v122
	v_fmac_f32_e32 v79, v29, v122
	;; [unrolled: 1-line block ×4, first 2 shown]
	global_load_dwordx4 v[4:7], v[136:137], off offset:16
	global_load_dwordx4 v[98:101], v[134:135], off offset:16
	v_fmac_f32_e32 v65, v25, v122
	v_fmac_f32_e32 v76, v102, v122
	v_fmac_f32_e32 v81, v103, v122
	v_fmac_f32_e32 v77, v40, v122
	v_fmac_f32_e32 v80, v41, v122
	v_fma_f32 v29, -v29, v123, v64
	v_fmac_f32_e32 v79, v28, v123
	v_fma_f32 v25, -v25, v123, v91
	v_fmac_f32_e32 v65, v24, v123
	v_fma_f32 v24, -v103, v123, v76
	v_fmac_f32_e32 v81, v102, v123
	v_fma_f32 v28, -v41, v123, v77
	v_fmac_f32_e32 v80, v40, v123
	v_fmac_f32_e32 v29, v30, v124
	v_fmac_f32_e32 v79, v31, v124
	v_fmac_f32_e32 v25, v26, v124
	v_fmac_f32_e32 v65, v27, v124
	v_fmac_f32_e32 v24, v104, v124
	v_fmac_f32_e32 v81, v105, v124
	v_fmac_f32_e32 v28, v42, v124
	v_fmac_f32_e32 v80, v43, v124
	v_fma_f32 v29, -v31, v125, v29
	v_fmac_f32_e32 v79, v30, v125
	v_fma_f32 v25, -v27, v125, v25
	v_fmac_f32_e32 v65, v26, v125
	v_fma_f32 v24, -v105, v125, v24
	v_fmac_f32_e32 v81, v104, v125
	v_fma_f32 v26, -v43, v125, v28
	v_fmac_f32_e32 v80, v42, v125
	s_waitcnt vmcnt(4)
	v_fmac_f32_e32 v29, v114, v87
	v_fmac_f32_e32 v79, v115, v87
	v_fmac_f32_e32 v25, v110, v87
	v_fmac_f32_e32 v65, v111, v87
	v_fmac_f32_e32 v24, v126, v87
	v_fmac_f32_e32 v81, v127, v87
	v_fmac_f32_e32 v26, v36, v87
	v_fmac_f32_e32 v80, v37, v87
	v_fma_f32 v27, -v115, v88, v29
	v_fmac_f32_e32 v79, v114, v88
	v_fma_f32 v25, -v111, v88, v25
	v_fmac_f32_e32 v65, v110, v88
	v_fma_f32 v24, -v127, v88, v24
	v_fmac_f32_e32 v81, v126, v88
	v_fma_f32 v26, -v37, v88, v26
	v_fmac_f32_e32 v80, v36, v88
	v_fmac_f32_e32 v27, v116, v89
	v_fmac_f32_e32 v79, v117, v89
	v_fmac_f32_e32 v25, v112, v89
	v_fmac_f32_e32 v65, v113, v89
	v_fmac_f32_e32 v24, v128, v89
	v_fmac_f32_e32 v81, v129, v89
	v_fmac_f32_e32 v26, v38, v89
	v_fmac_f32_e32 v80, v39, v89
	v_fma_f32 v27, -v117, v90, v27
	v_fmac_f32_e32 v79, v116, v90
	v_fma_f32 v25, -v113, v90, v25
	v_fmac_f32_e32 v65, v112, v90
	v_fma_f32 v24, -v129, v90, v24
	v_fmac_f32_e32 v81, v128, v90
	v_fma_f32 v26, -v39, v90, v26
	v_fmac_f32_e32 v80, v38, v90
	s_waitcnt vmcnt(3)
	v_fmac_f32_e32 v27, v44, v130
	v_fmac_f32_e32 v79, v45, v130
	v_fmac_f32_e32 v25, v20, v130
	;; [unrolled: 33-line block ×4, first 2 shown]
	v_fmac_f32_e32 v65, v33, v98
	v_fmac_f32_e32 v17, v8, v98
	;; [unrolled: 1-line block ×5, first 2 shown]
	v_fma_f32 v0, -v5, v99, v0
	v_fmac_f32_e32 v79, v4, v99
	v_fma_f32 v2, -v33, v99, v16
	v_fmac_f32_e32 v65, v32, v99
	;; [unrolled: 2-line block ×4, first 2 shown]
	v_fmac_f32_e32 v0, v6, v100
	v_fmac_f32_e32 v79, v7, v100
	;; [unrolled: 1-line block ×8, first 2 shown]
	v_fma_f32 v85, -v7, v101, v0
	v_fmac_f32_e32 v79, v6, v101
	v_fma_f32 v84, -v35, v101, v2
	v_fmac_f32_e32 v65, v34, v101
	;; [unrolled: 2-line block ×4, first 2 shown]
	s_andn2_b32 exec_lo, exec_lo, s7
	s_cbranch_execnz .LBB53_21
; %bb.22:
	s_or_b32 exec_lo, exec_lo, s7
.LBB53_23:
	s_or_b32 exec_lo, exec_lo, s1
.LBB53_24:
	s_or_b32 exec_lo, exec_lo, s6
	s_cbranch_execz .LBB53_26
	s_branch .LBB53_37
.LBB53_25:
                                        ; implicit-def: $vgpr79
                                        ; implicit-def: $vgpr85
                                        ; implicit-def: $vgpr82
                                        ; implicit-def: $vgpr80
                                        ; implicit-def: $vgpr83
                                        ; implicit-def: $vgpr81
                                        ; implicit-def: $vgpr84
                                        ; implicit-def: $vgpr65
.LBB53_26:
	v_mov_b32_e32 v79, 0
	v_mov_b32_e32 v85, 0
	;; [unrolled: 1-line block ×8, first 2 shown]
	s_and_saveexec_b32 s1, s0
	s_cbranch_execz .LBB53_36
; %bb.27:
	v_or_b32_e32 v0, 32, v78
	v_not_b32_e32 v3, v68
	v_not_b32_e32 v2, v69
	v_mov_b32_e32 v65, 0
	v_sub_co_u32 v0, vcc_lo, v0, v58
	v_sub_co_ci_u32_e64 v1, null, 0, v59, vcc_lo
	v_mov_b32_e32 v84, v65
	v_add_co_u32 v0, vcc_lo, v0, v68
	v_add_co_ci_u32_e64 v1, null, v1, v69, vcc_lo
	v_sub_co_u32 v4, vcc_lo, v58, v78
	v_subrev_co_ci_u32_e64 v5, null, 0, v59, vcc_lo
	v_cmp_gt_i64_e64 s0, v[0:1], v[62:63]
	v_add_co_u32 v3, vcc_lo, v4, v3
	v_add_co_ci_u32_e64 v2, null, v5, v2, vcc_lo
	v_mov_b32_e32 v81, v65
	v_cndmask_b32_e64 v0, v62, v0, s0
	v_cndmask_b32_e64 v1, v63, v1, s0
	v_mov_b32_e32 v83, v65
	v_mov_b32_e32 v80, v65
	;; [unrolled: 1-line block ×3, first 2 shown]
	v_add_co_u32 v0, vcc_lo, v3, v0
	v_add_co_ci_u32_e64 v1, null, v2, v1, vcc_lo
	v_mov_b32_e32 v85, v65
	v_and_b32_e32 v64, 0x60, v0
	v_mov_b32_e32 v79, v65
	s_mov_b32 s0, exec_lo
	v_cmpx_ne_u64_e32 0x60, v[64:65]
	s_cbranch_execz .LBB53_31
; %bb.28:
	v_lshrrev_b32_e32 v2, 5, v0
	v_mov_b32_e32 v79, 0
	v_mov_b32_e32 v85, 0
	;; [unrolled: 1-line block ×4, first 2 shown]
	v_add_nc_u32_e32 v4, 1, v2
	v_lshlrev_b64 v[2:3], 3, v[60:61]
	v_mov_b32_e32 v83, 0
	v_mov_b32_e32 v81, 0
	;; [unrolled: 1-line block ×3, first 2 shown]
	v_and_b32_e32 v4, 3, v4
	v_mov_b32_e32 v65, 0
	v_add_co_u32 v2, vcc_lo, s12, v2
	v_add_co_ci_u32_e64 v3, null, s13, v3, vcc_lo
	v_sub_co_u32 v4, s6, 0, v4
	v_sub_co_ci_u32_e64 v5, null, 0, 0, s6
	s_mov_b32 s6, 0
.LBB53_29:                              ; =>This Inner Loop Header: Depth=1
	global_load_dwordx2 v[18:19], v[2:3], off
	s_clause 0x2
	global_load_dwordx4 v[6:9], v[66:67], off offset:32
	global_load_dwordx4 v[10:13], v[66:67], off offset:16
	global_load_dwordx4 v[14:17], v[66:67], off
	s_waitcnt vmcnt(3)
	v_sub_co_u32 v18, vcc_lo, v18, v58
	v_sub_co_ci_u32_e64 v19, null, v19, v59, vcc_lo
	v_lshlrev_b64 v[18:19], 5, v[18:19]
	v_add_co_u32 v22, vcc_lo, s2, v18
	v_add_co_ci_u32_e64 v23, null, s3, v19, vcc_lo
	s_clause 0x1
	global_load_dwordx4 v[18:21], v[22:23], off
	global_load_dwordx4 v[22:25], v[22:23], off offset:16
	s_clause 0x4
	global_load_dwordx4 v[26:29], v[66:67], off offset:48
	global_load_dwordx4 v[30:33], v[66:67], off offset:64
	;; [unrolled: 1-line block ×5, first 2 shown]
	v_add_co_u32 v66, vcc_lo, 0x1000, v66
	v_add_co_ci_u32_e64 v67, null, 0, v67, vcc_lo
	v_add_co_u32 v60, vcc_lo, v60, 32
	v_add_co_ci_u32_e64 v61, null, 0, v61, vcc_lo
	;; [unrolled: 2-line block ×4, first 2 shown]
	v_cmp_eq_u64_e32 vcc_lo, 0, v[4:5]
	s_or_b32 s6, vcc_lo, s6
	s_waitcnt vmcnt(6)
	v_fmac_f32_e32 v85, v14, v18
	v_fmac_f32_e32 v79, v15, v18
	;; [unrolled: 1-line block ×8, first 2 shown]
	v_fma_f32 v15, -v15, v19, v85
	v_fmac_f32_e32 v79, v14, v19
	v_fma_f32 v14, -v17, v19, v84
	v_fmac_f32_e32 v65, v16, v19
	;; [unrolled: 2-line block ×4, first 2 shown]
	v_fmac_f32_e32 v15, v6, v20
	v_fmac_f32_e32 v79, v7, v20
	;; [unrolled: 1-line block ×4, first 2 shown]
	s_waitcnt vmcnt(4)
	v_fmac_f32_e32 v11, v26, v20
	v_fmac_f32_e32 v81, v27, v20
	;; [unrolled: 1-line block ×4, first 2 shown]
	v_fma_f32 v7, -v7, v21, v15
	v_fmac_f32_e32 v79, v6, v21
	v_fma_f32 v6, -v9, v21, v14
	v_fmac_f32_e32 v65, v8, v21
	;; [unrolled: 2-line block ×4, first 2 shown]
	s_waitcnt vmcnt(3)
	v_fmac_f32_e32 v7, v30, v22
	v_fmac_f32_e32 v79, v31, v22
	;; [unrolled: 1-line block ×4, first 2 shown]
	s_waitcnt vmcnt(2)
	v_fmac_f32_e32 v8, v34, v22
	v_fmac_f32_e32 v81, v35, v22
	;; [unrolled: 1-line block ×4, first 2 shown]
	v_fma_f32 v7, -v31, v23, v7
	v_fmac_f32_e32 v79, v30, v23
	v_fma_f32 v6, -v33, v23, v6
	v_fmac_f32_e32 v65, v32, v23
	;; [unrolled: 2-line block ×4, first 2 shown]
	s_waitcnt vmcnt(1)
	v_fmac_f32_e32 v7, v38, v24
	v_fmac_f32_e32 v79, v39, v24
	;; [unrolled: 1-line block ×4, first 2 shown]
	s_waitcnt vmcnt(0)
	v_fmac_f32_e32 v8, v42, v24
	v_fmac_f32_e32 v81, v43, v24
	;; [unrolled: 1-line block ×4, first 2 shown]
	v_fma_f32 v85, -v39, v25, v7
	v_fmac_f32_e32 v79, v38, v25
	v_fma_f32 v84, -v41, v25, v6
	v_fmac_f32_e32 v65, v40, v25
	;; [unrolled: 2-line block ×4, first 2 shown]
	s_andn2_b32 exec_lo, exec_lo, s6
	s_cbranch_execnz .LBB53_29
; %bb.30:
	s_or_b32 exec_lo, exec_lo, s6
.LBB53_31:
	s_or_b32 exec_lo, exec_lo, s0
	s_mov_b32 s0, exec_lo
	v_cmpx_lt_u64_e32 0x5f, v[0:1]
	s_cbranch_execz .LBB53_35
; %bb.32:
	v_lshlrev_b64 v[0:1], 3, v[60:61]
	s_mov_b32 s6, 0
	v_add_co_u32 v0, vcc_lo, s12, v0
	v_add_co_ci_u32_e64 v1, null, s13, v1, vcc_lo
	v_add_co_u32 v28, vcc_lo, 0x200, v0
	v_add_co_ci_u32_e64 v29, null, 0, v1, vcc_lo
.LBB53_33:                              ; =>This Inner Loop Header: Depth=1
	global_load_dwordx2 v[76:77], v[28:29], off offset:-512
	s_clause 0x7
	global_load_dwordx4 v[4:7], v[66:67], off offset:48
	global_load_dwordx4 v[12:15], v[66:67], off offset:32
	;; [unrolled: 1-line block ×3, first 2 shown]
	global_load_dwordx4 v[32:35], v[66:67], off
	global_load_dwordx4 v[0:3], v[66:67], off offset:112
	global_load_dwordx4 v[8:11], v[66:67], off offset:96
	;; [unrolled: 1-line block ×4, first 2 shown]
	v_add_co_u32 v90, vcc_lo, 0x1000, v66
	v_add_co_ci_u32_e64 v91, null, 0, v67, vcc_lo
	v_add_co_u32 v106, vcc_lo, 0x2000, v66
	v_add_co_ci_u32_e64 v107, null, 0, v67, vcc_lo
	;; [unrolled: 2-line block ×3, first 2 shown]
	s_clause 0x2
	global_load_dwordx2 v[108:109], v[28:29], off offset:-256
	global_load_dwordx2 v[30:31], v[28:29], off
	global_load_dwordx2 v[110:111], v[28:29], off offset:256
	s_clause 0x8
	global_load_dwordx4 v[36:39], v[90:91], off offset:48
	global_load_dwordx4 v[40:43], v[90:91], off offset:32
	global_load_dwordx4 v[44:47], v[90:91], off
	global_load_dwordx4 v[48:51], v[90:91], off offset:16
	global_load_dwordx4 v[68:71], v[90:91], off offset:112
	;; [unrolled: 1-line block ×5, first 2 shown]
	global_load_dwordx4 v[94:97], v[106:107], off
	s_waitcnt vmcnt(20)
	v_sub_co_u32 v76, vcc_lo, v76, v58
	v_sub_co_ci_u32_e64 v77, null, v77, v59, vcc_lo
	v_lshlrev_b64 v[76:77], 5, v[76:77]
	v_add_co_u32 v76, vcc_lo, s2, v76
	v_add_co_ci_u32_e64 v77, null, s3, v77, vcc_lo
	s_clause 0x1
	global_load_dwordx4 v[98:101], v[76:77], off
	global_load_dwordx4 v[102:105], v[76:77], off offset:16
	s_waitcnt vmcnt(1)
	v_fmac_f32_e32 v84, v34, v98
	v_fmac_f32_e32 v85, v32, v98
	;; [unrolled: 1-line block ×5, first 2 shown]
	v_fma_f32 v76, -v35, v99, v84
	v_fmac_f32_e32 v81, v21, v98
	v_fmac_f32_e32 v82, v22, v98
	;; [unrolled: 1-line block ×3, first 2 shown]
	v_fma_f32 v64, -v33, v99, v85
	v_fmac_f32_e32 v76, v14, v100
	v_fmac_f32_e32 v79, v32, v99
	;; [unrolled: 1-line block ×3, first 2 shown]
	v_fma_f32 v77, -v21, v99, v83
	v_fmac_f32_e32 v81, v20, v99
	v_fma_f32 v82, -v23, v99, v82
	v_fmac_f32_e32 v80, v22, v99
	;; [unrolled: 2-line block ×3, first 2 shown]
	v_fmac_f32_e32 v79, v13, v100
	v_fmac_f32_e32 v65, v15, v100
	;; [unrolled: 1-line block ×6, first 2 shown]
	s_waitcnt vmcnt(0)
	v_fmac_f32_e32 v76, v26, v102
	v_fma_f32 v64, -v13, v101, v64
	v_fmac_f32_e32 v79, v12, v101
	v_fmac_f32_e32 v65, v14, v101
	v_fma_f32 v114, -v5, v101, v77
	v_fmac_f32_e32 v81, v4, v101
	v_fma_f32 v115, -v7, v101, v82
	;; [unrolled: 2-line block ×3, first 2 shown]
	v_sub_co_u32 v76, vcc_lo, v108, v58
	v_sub_co_ci_u32_e64 v77, null, v109, v59, vcc_lo
	v_fmac_f32_e32 v64, v24, v102
	v_fmac_f32_e32 v79, v25, v102
	;; [unrolled: 1-line block ×7, first 2 shown]
	v_lshlrev_b64 v[76:77], 5, v[76:77]
	s_clause 0x4
	global_load_dwordx4 v[32:35], v[106:107], off offset:48
	global_load_dwordx4 v[20:23], v[106:107], off offset:32
	;; [unrolled: 1-line block ×5, first 2 shown]
	v_fma_f32 v64, -v25, v103, v64
	v_fmac_f32_e32 v79, v24, v103
	v_fmac_f32_e32 v65, v26, v103
	s_clause 0x1
	global_load_dwordx4 v[24:27], v[106:107], off offset:80
	global_load_dwordx4 v[98:101], v[106:107], off offset:64
	v_fma_f32 v102, -v17, v103, v114
	v_fmac_f32_e32 v81, v16, v103
	v_fma_f32 v106, -v19, v103, v115
	v_fmac_f32_e32 v80, v18, v103
	v_add_co_u32 v76, vcc_lo, s2, v76
	v_add_co_ci_u32_e64 v77, null, s3, v77, vcc_lo
	v_fmac_f32_e32 v64, v8, v104
	v_fmac_f32_e32 v79, v9, v104
	;; [unrolled: 1-line block ×8, first 2 shown]
	global_load_dwordx4 v[16:19], v[112:113], off
	v_fma_f32 v64, -v9, v105, v64
	v_fmac_f32_e32 v79, v8, v105
	v_fma_f32 v107, -v11, v105, v116
	v_fmac_f32_e32 v65, v10, v105
	global_load_dwordx4 v[8:11], v[112:113], off offset:48
	v_fma_f32 v108, -v1, v105, v102
	v_fmac_f32_e32 v81, v0, v105
	v_fma_f32 v106, -v3, v105, v106
	v_fmac_f32_e32 v80, v2, v105
	s_clause 0x1
	global_load_dwordx4 v[0:3], v[76:77], off
	global_load_dwordx4 v[102:105], v[76:77], off offset:16
	v_sub_co_u32 v30, vcc_lo, v30, v58
	v_sub_co_ci_u32_e64 v31, null, v31, v59, vcc_lo
	v_lshlrev_b64 v[30:31], 5, v[30:31]
	s_waitcnt vmcnt(1)
	v_fmac_f32_e32 v81, v49, v0
	v_fmac_f32_e32 v108, v48, v0
	;; [unrolled: 1-line block ×9, first 2 shown]
	v_fma_f32 v0, -v49, v1, v108
	v_fmac_f32_e32 v81, v37, v2
	v_fma_f32 v76, -v47, v1, v107
	v_fma_f32 v64, -v45, v1, v64
	v_fmac_f32_e32 v79, v44, v1
	v_fmac_f32_e32 v0, v36, v2
	;; [unrolled: 1-line block ×3, first 2 shown]
	v_sub_co_u32 v36, vcc_lo, v110, v58
	v_fmac_f32_e32 v65, v46, v1
	v_fma_f32 v115, -v37, v3, v0
	v_sub_co_ci_u32_e64 v37, null, v111, v59, vcc_lo
	v_fma_f32 v77, -v51, v1, v106
	v_fmac_f32_e32 v80, v50, v1
	v_fmac_f32_e32 v76, v42, v2
	v_lshlrev_b64 v[36:37], 5, v[36:37]
	v_add_co_u32 v30, vcc_lo, s2, v30
	v_fmac_f32_e32 v64, v40, v2
	v_fmac_f32_e32 v79, v41, v2
	;; [unrolled: 1-line block ×5, first 2 shown]
	v_add_co_ci_u32_e64 v31, null, s3, v31, vcc_lo
	v_fma_f32 v114, -v43, v3, v76
	v_add_co_u32 v76, vcc_lo, s2, v36
	s_clause 0x1
	global_load_dwordx4 v[44:47], v[112:113], off offset:32
	global_load_dwordx4 v[48:51], v[112:113], off offset:16
	v_fma_f32 v64, -v41, v3, v64
	v_fmac_f32_e32 v79, v40, v3
	v_fmac_f32_e32 v65, v42, v3
	global_load_dwordx4 v[40:43], v[112:113], off offset:64
	v_fma_f32 v116, -v39, v3, v77
	v_fmac_f32_e32 v80, v38, v3
	global_load_dwordx4 v[0:3], v[112:113], off offset:80
	v_add_co_ci_u32_e64 v77, null, s3, v37, vcc_lo
	s_clause 0x1
	global_load_dwordx4 v[36:39], v[30:31], off
	global_load_dwordx4 v[106:109], v[30:31], off offset:16
	s_waitcnt vmcnt(6)
	v_fmac_f32_e32 v64, v90, v102
	v_fmac_f32_e32 v79, v91, v102
	;; [unrolled: 1-line block ×5, first 2 shown]
	v_fma_f32 v30, -v91, v103, v64
	v_fmac_f32_e32 v79, v90, v103
	v_fma_f32 v31, -v93, v103, v114
	v_fmac_f32_e32 v65, v92, v103
	global_load_dwordx4 v[90:93], v[76:77], off
	v_fmac_f32_e32 v81, v87, v102
	v_fmac_f32_e32 v116, v88, v102
	;; [unrolled: 1-line block ×3, first 2 shown]
	v_fma_f32 v64, -v87, v103, v115
	v_fmac_f32_e32 v30, v72, v104
	v_fmac_f32_e32 v81, v86, v103
	v_fma_f32 v102, -v89, v103, v116
	v_fmac_f32_e32 v80, v88, v103
	global_load_dwordx4 v[86:89], v[76:77], off offset:16
	v_fmac_f32_e32 v79, v73, v104
	v_fmac_f32_e32 v31, v74, v104
	;; [unrolled: 1-line block ×3, first 2 shown]
	v_fma_f32 v30, -v73, v105, v30
	v_fmac_f32_e32 v64, v68, v104
	v_fmac_f32_e32 v79, v72, v105
	v_fma_f32 v31, -v75, v105, v31
	v_fmac_f32_e32 v65, v74, v105
	s_clause 0x1
	global_load_dwordx4 v[72:75], v[112:113], off offset:96
	global_load_dwordx4 v[110:113], v[112:113], off offset:112
	v_fmac_f32_e32 v81, v69, v104
	v_fmac_f32_e32 v102, v70, v104
	;; [unrolled: 1-line block ×3, first 2 shown]
	v_fma_f32 v64, -v69, v105, v64
	v_add_co_u32 v60, vcc_lo, 0x80, v60
	v_fmac_f32_e32 v81, v68, v105
	v_fma_f32 v68, -v71, v105, v102
	v_fmac_f32_e32 v80, v70, v105
	v_add_co_ci_u32_e64 v61, null, 0, v61, vcc_lo
	v_add_co_u32 v28, vcc_lo, 0x400, v28
	v_add_co_ci_u32_e64 v29, null, 0, v29, vcc_lo
	v_add_co_u32 v66, vcc_lo, 0x4000, v66
	v_add_co_ci_u32_e64 v67, null, 0, v67, vcc_lo
	v_cmp_ge_i64_e32 vcc_lo, v[60:61], v[62:63]
	s_or_b32 s6, vcc_lo, s6
	s_waitcnt vmcnt(5)
	v_fmac_f32_e32 v30, v94, v36
	v_fmac_f32_e32 v79, v95, v36
	v_fmac_f32_e32 v31, v96, v36
	v_fmac_f32_e32 v65, v97, v36
	v_fmac_f32_e32 v64, v12, v36
	v_fmac_f32_e32 v81, v13, v36
	v_fmac_f32_e32 v68, v14, v36
	v_fmac_f32_e32 v80, v15, v36
	v_fma_f32 v30, -v95, v37, v30
	v_fmac_f32_e32 v79, v94, v37
	v_fma_f32 v31, -v97, v37, v31
	v_fmac_f32_e32 v65, v96, v37
	v_fma_f32 v13, -v13, v37, v64
	v_fmac_f32_e32 v81, v12, v37
	v_fma_f32 v12, -v15, v37, v68
	v_fmac_f32_e32 v80, v14, v37
	v_fmac_f32_e32 v30, v20, v38
	v_fmac_f32_e32 v79, v21, v38
	v_fmac_f32_e32 v31, v22, v38
	v_fmac_f32_e32 v65, v23, v38
	v_fmac_f32_e32 v13, v32, v38
	v_fmac_f32_e32 v81, v33, v38
	v_fmac_f32_e32 v12, v34, v38
	v_fmac_f32_e32 v80, v35, v38
	v_fma_f32 v14, -v21, v39, v30
	v_fmac_f32_e32 v79, v20, v39
	v_fma_f32 v15, -v23, v39, v31
	v_fmac_f32_e32 v65, v22, v39
	v_fma_f32 v13, -v33, v39, v13
	v_fmac_f32_e32 v81, v32, v39
	v_fma_f32 v12, -v35, v39, v12
	v_fmac_f32_e32 v80, v34, v39
	s_waitcnt vmcnt(4)
	v_fmac_f32_e32 v14, v98, v106
	v_fmac_f32_e32 v79, v99, v106
	v_fmac_f32_e32 v15, v100, v106
	v_fmac_f32_e32 v65, v101, v106
	v_fmac_f32_e32 v13, v24, v106
	v_fmac_f32_e32 v81, v25, v106
	v_fmac_f32_e32 v12, v26, v106
	v_fmac_f32_e32 v80, v27, v106
	v_fma_f32 v14, -v99, v107, v14
	v_fmac_f32_e32 v79, v98, v107
	v_fma_f32 v15, -v101, v107, v15
	v_fmac_f32_e32 v65, v100, v107
	v_fma_f32 v13, -v25, v107, v13
	v_fmac_f32_e32 v81, v24, v107
	v_fma_f32 v12, -v27, v107, v12
	v_fmac_f32_e32 v80, v26, v107
	v_fmac_f32_e32 v14, v82, v108
	v_fmac_f32_e32 v79, v83, v108
	v_fmac_f32_e32 v15, v84, v108
	v_fmac_f32_e32 v65, v85, v108
	v_fmac_f32_e32 v13, v4, v108
	v_fmac_f32_e32 v81, v5, v108
	v_fmac_f32_e32 v12, v6, v108
	v_fmac_f32_e32 v80, v7, v108
	v_fma_f32 v14, -v83, v109, v14
	v_fmac_f32_e32 v79, v82, v109
	v_fma_f32 v15, -v85, v109, v15
	v_fmac_f32_e32 v65, v84, v109
	v_fma_f32 v5, -v5, v109, v13
	v_fmac_f32_e32 v81, v4, v109
	v_fma_f32 v4, -v7, v109, v12
	v_fmac_f32_e32 v80, v6, v109
	;; [unrolled: 33-line block ×3, first 2 shown]
	s_waitcnt vmcnt(2)
	v_fmac_f32_e32 v6, v40, v86
	v_fmac_f32_e32 v79, v41, v86
	;; [unrolled: 1-line block ×8, first 2 shown]
	v_fma_f32 v6, -v41, v87, v6
	v_fmac_f32_e32 v79, v40, v87
	v_fma_f32 v7, -v43, v87, v7
	v_fmac_f32_e32 v65, v42, v87
	;; [unrolled: 2-line block ×4, first 2 shown]
	s_waitcnt vmcnt(1)
	v_fmac_f32_e32 v6, v72, v88
	v_fmac_f32_e32 v79, v73, v88
	;; [unrolled: 1-line block ×4, first 2 shown]
	s_waitcnt vmcnt(0)
	v_fmac_f32_e32 v1, v110, v88
	v_fmac_f32_e32 v81, v111, v88
	;; [unrolled: 1-line block ×4, first 2 shown]
	v_fma_f32 v85, -v73, v89, v6
	v_fmac_f32_e32 v79, v72, v89
	v_fma_f32 v84, -v75, v89, v7
	v_fmac_f32_e32 v65, v74, v89
	;; [unrolled: 2-line block ×4, first 2 shown]
	s_andn2_b32 exec_lo, exec_lo, s6
	s_cbranch_execnz .LBB53_33
; %bb.34:
	s_or_b32 exec_lo, exec_lo, s6
.LBB53_35:
	s_or_b32 exec_lo, exec_lo, s0
.LBB53_36:
	s_or_b32 exec_lo, exec_lo, s1
.LBB53_37:
	v_mbcnt_lo_u32_b32 v0, -1, 0
	v_xor_b32_e32 v1, 16, v0
	v_xor_b32_e32 v9, 8, v0
	v_xor_b32_e32 v17, 4, v0
	v_cmp_gt_i32_e32 vcc_lo, 32, v1
	v_cndmask_b32_e32 v1, v0, v1, vcc_lo
	v_cmp_gt_i32_e32 vcc_lo, 32, v9
	v_lshlrev_b32_e32 v1, 2, v1
	v_cndmask_b32_e32 v9, v0, v9, vcc_lo
	v_cmp_gt_i32_e32 vcc_lo, 32, v17
	ds_bpermute_b32 v2, v1, v85
	ds_bpermute_b32 v3, v1, v79
	;; [unrolled: 1-line block ×8, first 2 shown]
	v_lshlrev_b32_e32 v9, 2, v9
	v_cndmask_b32_e32 v17, v0, v17, vcc_lo
	v_lshlrev_b32_e32 v17, 2, v17
	s_waitcnt lgkmcnt(7)
	v_add_f32_e32 v2, v85, v2
	s_waitcnt lgkmcnt(6)
	v_add_f32_e32 v3, v79, v3
	;; [unrolled: 2-line block ×8, first 2 shown]
	ds_bpermute_b32 v10, v9, v2
	ds_bpermute_b32 v11, v9, v3
	;; [unrolled: 1-line block ×8, first 2 shown]
	s_waitcnt lgkmcnt(7)
	v_add_f32_e32 v2, v2, v10
	s_waitcnt lgkmcnt(6)
	v_add_f32_e32 v3, v3, v11
	;; [unrolled: 2-line block ×8, first 2 shown]
	ds_bpermute_b32 v9, v17, v2
	ds_bpermute_b32 v10, v17, v3
	;; [unrolled: 1-line block ×8, first 2 shown]
	v_xor_b32_e32 v17, 2, v0
	v_cmp_gt_i32_e32 vcc_lo, 32, v17
	v_cndmask_b32_e32 v17, v0, v17, vcc_lo
	s_waitcnt lgkmcnt(7)
	v_add_f32_e32 v2, v2, v9
	s_waitcnt lgkmcnt(6)
	v_add_f32_e32 v3, v3, v10
	;; [unrolled: 2-line block ×3, first 2 shown]
	v_lshlrev_b32_e32 v17, 2, v17
	s_waitcnt lgkmcnt(4)
	v_add_f32_e32 v5, v5, v12
	s_waitcnt lgkmcnt(3)
	v_add_f32_e32 v6, v6, v13
	;; [unrolled: 2-line block ×5, first 2 shown]
	ds_bpermute_b32 v1, v17, v2
	ds_bpermute_b32 v10, v17, v3
	;; [unrolled: 1-line block ×8, first 2 shown]
	v_xor_b32_e32 v17, 1, v0
	v_cmp_gt_i32_e32 vcc_lo, 32, v17
	v_cndmask_b32_e32 v0, v0, v17, vcc_lo
	v_cmp_eq_u32_e32 vcc_lo, 31, v78
	v_lshlrev_b32_e32 v17, 2, v0
	s_waitcnt lgkmcnt(7)
	v_add_f32_e32 v0, v2, v1
	s_waitcnt lgkmcnt(6)
	v_add_f32_e32 v1, v3, v10
	;; [unrolled: 2-line block ×8, first 2 shown]
	ds_bpermute_b32 v8, v17, v0
	ds_bpermute_b32 v9, v17, v1
	;; [unrolled: 1-line block ×8, first 2 shown]
	s_and_b32 exec_lo, exec_lo, vcc_lo
	s_cbranch_execz .LBB53_8
; %bb.38:
	s_load_dwordx2 s[2:3], s[4:5], 0x58
	s_waitcnt lgkmcnt(0)
	v_add_f32_e32 v8, v0, v8
	v_add_f32_e32 v0, v1, v9
	v_add_f32_e32 v10, v2, v10
	v_add_f32_e32 v1, v3, v11
	v_add_f32_e32 v2, v5, v13
	v_add_f32_e32 v3, v7, v15
	v_add_f32_e32 v11, v4, v12
	v_mul_f32_e64 v4, v0, -v55
	v_mul_f32_e32 v5, v54, v0
	v_add_f32_e32 v12, v6, v14
	v_mul_f32_e64 v6, v1, -v55
	v_mul_f32_e32 v7, v54, v1
	v_mul_f32_e64 v0, v2, -v55
	v_mul_f32_e32 v1, v54, v2
	;; [unrolled: 2-line block ×3, first 2 shown]
	v_cmp_eq_f32_e32 vcc_lo, 0, v52
	v_cmp_eq_f32_e64 s0, 0, v53
	v_fmac_f32_e32 v4, v54, v8
	v_fmac_f32_e32 v5, v55, v8
	v_lshlrev_b64 v[8:9], 5, v[56:57]
	v_fmac_f32_e32 v6, v54, v10
	v_fmac_f32_e32 v7, v55, v10
	v_fmac_f32_e32 v0, v54, v11
	v_fmac_f32_e32 v1, v55, v11
	v_fmac_f32_e32 v2, v54, v12
	v_fmac_f32_e32 v3, v55, v12
	s_and_b32 s0, vcc_lo, s0
	s_and_saveexec_b32 s1, s0
	s_xor_b32 s0, exec_lo, s1
	s_cbranch_execz .LBB53_40
; %bb.39:
	v_add_co_u32 v8, vcc_lo, s2, v8
	v_add_co_ci_u32_e64 v9, null, s3, v9, vcc_lo
                                        ; implicit-def: $vgpr52_vgpr53
	global_store_dwordx4 v[8:9], v[4:7], off
	global_store_dwordx4 v[8:9], v[0:3], off offset:16
                                        ; implicit-def: $vgpr4
                                        ; implicit-def: $vgpr8_vgpr9
                                        ; implicit-def: $vgpr0
.LBB53_40:
	s_andn2_saveexec_b32 s0, s0
	s_cbranch_execz .LBB53_8
; %bb.41:
	v_add_co_u32 v16, vcc_lo, s2, v8
	v_add_co_ci_u32_e64 v17, null, s3, v9, vcc_lo
	s_clause 0x1
	global_load_dwordx4 v[8:11], v[16:17], off
	global_load_dwordx4 v[12:15], v[16:17], off offset:16
	s_waitcnt vmcnt(1)
	v_fmac_f32_e32 v4, v52, v8
	v_fmac_f32_e32 v5, v53, v8
	;; [unrolled: 1-line block ×4, first 2 shown]
	s_waitcnt vmcnt(0)
	v_fmac_f32_e32 v0, v52, v12
	v_fmac_f32_e32 v1, v53, v12
	;; [unrolled: 1-line block ×4, first 2 shown]
	v_fma_f32 v4, -v53, v9, v4
	v_fmac_f32_e32 v5, v52, v9
	v_fma_f32 v6, -v53, v11, v6
	v_fmac_f32_e32 v7, v52, v11
	v_fma_f32 v0, -v53, v13, v0
	v_fmac_f32_e32 v1, v52, v13
	v_fma_f32 v2, -v53, v15, v2
	v_fmac_f32_e32 v3, v52, v15
	global_store_dwordx4 v[16:17], v[4:7], off
	global_store_dwordx4 v[16:17], v[0:3], off offset:16
	s_endpgm
	.section	.rodata,"a",@progbits
	.p2align	6, 0x0
	.amdhsa_kernel _ZN9rocsparseL18bsrxmvn_4x4_kernelILj128ELj32E21rocsparse_complex_numIfEllS2_S2_S2_EEvT3_20rocsparse_direction_NS_24const_host_device_scalarIT1_EES3_PKS3_PKT2_SC_S9_PKT4_PKT5_S7_PT6_21rocsparse_index_base_b
		.amdhsa_group_segment_fixed_size 0
		.amdhsa_private_segment_fixed_size 0
		.amdhsa_kernarg_size 104
		.amdhsa_user_sgpr_count 6
		.amdhsa_user_sgpr_private_segment_buffer 1
		.amdhsa_user_sgpr_dispatch_ptr 0
		.amdhsa_user_sgpr_queue_ptr 0
		.amdhsa_user_sgpr_kernarg_segment_ptr 1
		.amdhsa_user_sgpr_dispatch_id 0
		.amdhsa_user_sgpr_flat_scratch_init 0
		.amdhsa_user_sgpr_private_segment_size 0
		.amdhsa_wavefront_size32 1
		.amdhsa_uses_dynamic_stack 0
		.amdhsa_system_sgpr_private_segment_wavefront_offset 0
		.amdhsa_system_sgpr_workgroup_id_x 1
		.amdhsa_system_sgpr_workgroup_id_y 0
		.amdhsa_system_sgpr_workgroup_id_z 0
		.amdhsa_system_sgpr_workgroup_info 0
		.amdhsa_system_vgpr_workitem_id 0
		.amdhsa_next_free_vgpr 139
		.amdhsa_next_free_sgpr 16
		.amdhsa_reserve_vcc 1
		.amdhsa_reserve_flat_scratch 0
		.amdhsa_float_round_mode_32 0
		.amdhsa_float_round_mode_16_64 0
		.amdhsa_float_denorm_mode_32 3
		.amdhsa_float_denorm_mode_16_64 3
		.amdhsa_dx10_clamp 1
		.amdhsa_ieee_mode 1
		.amdhsa_fp16_overflow 0
		.amdhsa_workgroup_processor_mode 1
		.amdhsa_memory_ordered 1
		.amdhsa_forward_progress 1
		.amdhsa_shared_vgpr_count 0
		.amdhsa_exception_fp_ieee_invalid_op 0
		.amdhsa_exception_fp_denorm_src 0
		.amdhsa_exception_fp_ieee_div_zero 0
		.amdhsa_exception_fp_ieee_overflow 0
		.amdhsa_exception_fp_ieee_underflow 0
		.amdhsa_exception_fp_ieee_inexact 0
		.amdhsa_exception_int_div_zero 0
	.end_amdhsa_kernel
	.section	.text._ZN9rocsparseL18bsrxmvn_4x4_kernelILj128ELj32E21rocsparse_complex_numIfEllS2_S2_S2_EEvT3_20rocsparse_direction_NS_24const_host_device_scalarIT1_EES3_PKS3_PKT2_SC_S9_PKT4_PKT5_S7_PT6_21rocsparse_index_base_b,"axG",@progbits,_ZN9rocsparseL18bsrxmvn_4x4_kernelILj128ELj32E21rocsparse_complex_numIfEllS2_S2_S2_EEvT3_20rocsparse_direction_NS_24const_host_device_scalarIT1_EES3_PKS3_PKT2_SC_S9_PKT4_PKT5_S7_PT6_21rocsparse_index_base_b,comdat
.Lfunc_end53:
	.size	_ZN9rocsparseL18bsrxmvn_4x4_kernelILj128ELj32E21rocsparse_complex_numIfEllS2_S2_S2_EEvT3_20rocsparse_direction_NS_24const_host_device_scalarIT1_EES3_PKS3_PKT2_SC_S9_PKT4_PKT5_S7_PT6_21rocsparse_index_base_b, .Lfunc_end53-_ZN9rocsparseL18bsrxmvn_4x4_kernelILj128ELj32E21rocsparse_complex_numIfEllS2_S2_S2_EEvT3_20rocsparse_direction_NS_24const_host_device_scalarIT1_EES3_PKS3_PKT2_SC_S9_PKT4_PKT5_S7_PT6_21rocsparse_index_base_b
                                        ; -- End function
	.set _ZN9rocsparseL18bsrxmvn_4x4_kernelILj128ELj32E21rocsparse_complex_numIfEllS2_S2_S2_EEvT3_20rocsparse_direction_NS_24const_host_device_scalarIT1_EES3_PKS3_PKT2_SC_S9_PKT4_PKT5_S7_PT6_21rocsparse_index_base_b.num_vgpr, 139
	.set _ZN9rocsparseL18bsrxmvn_4x4_kernelILj128ELj32E21rocsparse_complex_numIfEllS2_S2_S2_EEvT3_20rocsparse_direction_NS_24const_host_device_scalarIT1_EES3_PKS3_PKT2_SC_S9_PKT4_PKT5_S7_PT6_21rocsparse_index_base_b.num_agpr, 0
	.set _ZN9rocsparseL18bsrxmvn_4x4_kernelILj128ELj32E21rocsparse_complex_numIfEllS2_S2_S2_EEvT3_20rocsparse_direction_NS_24const_host_device_scalarIT1_EES3_PKS3_PKT2_SC_S9_PKT4_PKT5_S7_PT6_21rocsparse_index_base_b.numbered_sgpr, 16
	.set _ZN9rocsparseL18bsrxmvn_4x4_kernelILj128ELj32E21rocsparse_complex_numIfEllS2_S2_S2_EEvT3_20rocsparse_direction_NS_24const_host_device_scalarIT1_EES3_PKS3_PKT2_SC_S9_PKT4_PKT5_S7_PT6_21rocsparse_index_base_b.num_named_barrier, 0
	.set _ZN9rocsparseL18bsrxmvn_4x4_kernelILj128ELj32E21rocsparse_complex_numIfEllS2_S2_S2_EEvT3_20rocsparse_direction_NS_24const_host_device_scalarIT1_EES3_PKS3_PKT2_SC_S9_PKT4_PKT5_S7_PT6_21rocsparse_index_base_b.private_seg_size, 0
	.set _ZN9rocsparseL18bsrxmvn_4x4_kernelILj128ELj32E21rocsparse_complex_numIfEllS2_S2_S2_EEvT3_20rocsparse_direction_NS_24const_host_device_scalarIT1_EES3_PKS3_PKT2_SC_S9_PKT4_PKT5_S7_PT6_21rocsparse_index_base_b.uses_vcc, 1
	.set _ZN9rocsparseL18bsrxmvn_4x4_kernelILj128ELj32E21rocsparse_complex_numIfEllS2_S2_S2_EEvT3_20rocsparse_direction_NS_24const_host_device_scalarIT1_EES3_PKS3_PKT2_SC_S9_PKT4_PKT5_S7_PT6_21rocsparse_index_base_b.uses_flat_scratch, 0
	.set _ZN9rocsparseL18bsrxmvn_4x4_kernelILj128ELj32E21rocsparse_complex_numIfEllS2_S2_S2_EEvT3_20rocsparse_direction_NS_24const_host_device_scalarIT1_EES3_PKS3_PKT2_SC_S9_PKT4_PKT5_S7_PT6_21rocsparse_index_base_b.has_dyn_sized_stack, 0
	.set _ZN9rocsparseL18bsrxmvn_4x4_kernelILj128ELj32E21rocsparse_complex_numIfEllS2_S2_S2_EEvT3_20rocsparse_direction_NS_24const_host_device_scalarIT1_EES3_PKS3_PKT2_SC_S9_PKT4_PKT5_S7_PT6_21rocsparse_index_base_b.has_recursion, 0
	.set _ZN9rocsparseL18bsrxmvn_4x4_kernelILj128ELj32E21rocsparse_complex_numIfEllS2_S2_S2_EEvT3_20rocsparse_direction_NS_24const_host_device_scalarIT1_EES3_PKS3_PKT2_SC_S9_PKT4_PKT5_S7_PT6_21rocsparse_index_base_b.has_indirect_call, 0
	.section	.AMDGPU.csdata,"",@progbits
; Kernel info:
; codeLenInByte = 7560
; TotalNumSgprs: 18
; NumVgprs: 139
; ScratchSize: 0
; MemoryBound: 0
; FloatMode: 240
; IeeeMode: 1
; LDSByteSize: 0 bytes/workgroup (compile time only)
; SGPRBlocks: 0
; VGPRBlocks: 17
; NumSGPRsForWavesPerEU: 18
; NumVGPRsForWavesPerEU: 139
; Occupancy: 7
; WaveLimiterHint : 1
; COMPUTE_PGM_RSRC2:SCRATCH_EN: 0
; COMPUTE_PGM_RSRC2:USER_SGPR: 6
; COMPUTE_PGM_RSRC2:TRAP_HANDLER: 0
; COMPUTE_PGM_RSRC2:TGID_X_EN: 1
; COMPUTE_PGM_RSRC2:TGID_Y_EN: 0
; COMPUTE_PGM_RSRC2:TGID_Z_EN: 0
; COMPUTE_PGM_RSRC2:TIDIG_COMP_CNT: 0
	.section	.text._ZN9rocsparseL18bsrxmvn_4x4_kernelILj128ELj64E21rocsparse_complex_numIfEllS2_S2_S2_EEvT3_20rocsparse_direction_NS_24const_host_device_scalarIT1_EES3_PKS3_PKT2_SC_S9_PKT4_PKT5_S7_PT6_21rocsparse_index_base_b,"axG",@progbits,_ZN9rocsparseL18bsrxmvn_4x4_kernelILj128ELj64E21rocsparse_complex_numIfEllS2_S2_S2_EEvT3_20rocsparse_direction_NS_24const_host_device_scalarIT1_EES3_PKS3_PKT2_SC_S9_PKT4_PKT5_S7_PT6_21rocsparse_index_base_b,comdat
	.globl	_ZN9rocsparseL18bsrxmvn_4x4_kernelILj128ELj64E21rocsparse_complex_numIfEllS2_S2_S2_EEvT3_20rocsparse_direction_NS_24const_host_device_scalarIT1_EES3_PKS3_PKT2_SC_S9_PKT4_PKT5_S7_PT6_21rocsparse_index_base_b ; -- Begin function _ZN9rocsparseL18bsrxmvn_4x4_kernelILj128ELj64E21rocsparse_complex_numIfEllS2_S2_S2_EEvT3_20rocsparse_direction_NS_24const_host_device_scalarIT1_EES3_PKS3_PKT2_SC_S9_PKT4_PKT5_S7_PT6_21rocsparse_index_base_b
	.p2align	8
	.type	_ZN9rocsparseL18bsrxmvn_4x4_kernelILj128ELj64E21rocsparse_complex_numIfEllS2_S2_S2_EEvT3_20rocsparse_direction_NS_24const_host_device_scalarIT1_EES3_PKS3_PKT2_SC_S9_PKT4_PKT5_S7_PT6_21rocsparse_index_base_b,@function
_ZN9rocsparseL18bsrxmvn_4x4_kernelILj128ELj64E21rocsparse_complex_numIfEllS2_S2_S2_EEvT3_20rocsparse_direction_NS_24const_host_device_scalarIT1_EES3_PKS3_PKT2_SC_S9_PKT4_PKT5_S7_PT6_21rocsparse_index_base_b: ; @_ZN9rocsparseL18bsrxmvn_4x4_kernelILj128ELj64E21rocsparse_complex_numIfEllS2_S2_S2_EEvT3_20rocsparse_direction_NS_24const_host_device_scalarIT1_EES3_PKS3_PKT2_SC_S9_PKT4_PKT5_S7_PT6_21rocsparse_index_base_b
; %bb.0:
	s_clause 0x2
	s_load_dwordx2 s[8:9], s[4:5], 0x60
	s_load_dwordx4 s[0:3], s[4:5], 0x10
	s_load_dwordx2 s[10:11], s[4:5], 0x50
	s_add_u32 s7, s4, 16
	s_addc_u32 s12, s5, 0
	s_add_u32 s13, s4, 0x50
	s_addc_u32 s14, s5, 0
	s_waitcnt lgkmcnt(0)
	s_bitcmp1_b32 s9, 0
	s_cselect_b32 s0, s7, s0
	s_cselect_b32 s1, s12, s1
	v_mov_b32_e32 v1, s0
	v_mov_b32_e32 v2, s1
	s_cselect_b32 s0, s13, s10
	s_cselect_b32 s1, s14, s11
	flat_load_dwordx2 v[54:55], v[1:2]
	v_mov_b32_e32 v1, s0
	v_mov_b32_e32 v2, s1
	flat_load_dwordx2 v[52:53], v[1:2]
	s_waitcnt vmcnt(1) lgkmcnt(1)
	v_cmp_eq_f32_e32 vcc_lo, 0, v54
	v_cmp_eq_f32_e64 s0, 0, v55
	s_and_b32 s7, vcc_lo, s0
	s_mov_b32 s0, -1
	s_and_saveexec_b32 s1, s7
	s_cbranch_execz .LBB54_2
; %bb.1:
	s_waitcnt vmcnt(0) lgkmcnt(0)
	v_cmp_neq_f32_e32 vcc_lo, 1.0, v52
	v_cmp_neq_f32_e64 s0, 0, v53
	s_or_b32 s0, vcc_lo, s0
	s_orn2_b32 s0, s0, exec_lo
.LBB54_2:
	s_or_b32 exec_lo, exec_lo, s1
	s_and_saveexec_b32 s1, s0
	s_cbranch_execz .LBB54_8
; %bb.3:
	s_load_dwordx2 s[0:1], s[4:5], 0x20
	v_lshrrev_b32_e32 v1, 6, v0
	v_mov_b32_e32 v2, 0
	v_lshl_or_b32 v1, s6, 1, v1
	s_waitcnt lgkmcnt(0)
	s_cmp_lg_u64 s[0:1], 0
	s_cbranch_scc0 .LBB54_9
; %bb.4:
	v_cmp_gt_i64_e32 vcc_lo, s[2:3], v[1:2]
	s_mov_b32 s3, 0
	s_mov_b32 s2, 0
                                        ; implicit-def: $vgpr56_vgpr57
                                        ; implicit-def: $vgpr58_vgpr59
	s_and_saveexec_b32 s6, vcc_lo
	s_xor_b32 s6, exec_lo, s6
	s_cbranch_execz .LBB54_6
; %bb.5:
	v_lshlrev_b64 v[3:4], 3, v[1:2]
	s_mov_b32 s9, 0
	s_mov_b32 s2, exec_lo
	v_mov_b32_e32 v59, s9
	v_mov_b32_e32 v58, s8
	v_add_co_u32 v3, vcc_lo, s0, v3
	v_add_co_ci_u32_e64 v4, null, s1, v4, vcc_lo
	global_load_dwordx2 v[3:4], v[3:4], off
	s_waitcnt vmcnt(0)
	v_sub_co_u32 v56, vcc_lo, v3, s8
	v_subrev_co_ci_u32_e64 v57, null, 0, v4, vcc_lo
.LBB54_6:
	s_or_b32 exec_lo, exec_lo, s6
	s_and_b32 vcc_lo, exec_lo, s3
	s_cbranch_vccnz .LBB54_10
.LBB54_7:
	s_and_b32 exec_lo, exec_lo, s2
	s_cbranch_execnz .LBB54_13
.LBB54_8:
	s_endpgm
.LBB54_9:
	s_mov_b32 s2, 0
                                        ; implicit-def: $vgpr56_vgpr57
                                        ; implicit-def: $vgpr58_vgpr59
	s_cbranch_execz .LBB54_7
.LBB54_10:
	s_load_dwordx2 s[0:1], s[4:5], 0x0
	s_waitcnt lgkmcnt(0)
	v_cmp_gt_i64_e32 vcc_lo, s[0:1], v[1:2]
	s_and_saveexec_b32 s0, vcc_lo
; %bb.11:
	s_mov_b32 s9, 0
	s_or_b32 s2, s2, exec_lo
; %bb.12:
	s_or_b32 exec_lo, exec_lo, s0
	v_mov_b32_e32 v59, s9
	v_mov_b32_e32 v57, v2
	;; [unrolled: 1-line block ×4, first 2 shown]
	s_and_b32 exec_lo, exec_lo, s2
	s_cbranch_execz .LBB54_8
.LBB54_13:
	s_load_dwordx8 s[8:15], s[4:5], 0x28
	v_lshlrev_b64 v[1:2], 3, v[56:57]
	v_and_b32_e32 v78, 63, v0
	s_clause 0x1
	s_load_dword s1, s[4:5], 0x8
	s_load_dwordx2 s[2:3], s[4:5], 0x48
	v_mov_b32_e32 v79, 0
	s_waitcnt lgkmcnt(0)
	v_add_co_u32 v3, vcc_lo, s8, v1
	v_add_co_ci_u32_e64 v4, null, s9, v2, vcc_lo
	v_add_co_u32 v1, vcc_lo, s10, v1
	v_add_co_ci_u32_e64 v2, null, s11, v2, vcc_lo
	v_add_co_u32 v5, vcc_lo, v3, 8
	global_load_dwordx2 v[68:69], v[3:4], off
	v_add_co_ci_u32_e64 v6, null, 0, v4, vcc_lo
	s_cmp_eq_u64 s[10:11], 0
	s_cselect_b32 vcc_lo, -1, 0
	s_cmp_eq_u32 s1, 1
	v_cndmask_b32_e32 v2, v2, v6, vcc_lo
	v_cndmask_b32_e32 v1, v1, v5, vcc_lo
	global_load_dwordx2 v[1:2], v[1:2], off
	s_waitcnt vmcnt(1)
	v_sub_co_u32 v0, vcc_lo, v68, v58
	v_sub_co_ci_u32_e64 v3, null, v69, v59, vcc_lo
	v_add_co_u32 v62, vcc_lo, v0, v78
	v_add_co_ci_u32_e64 v63, null, 0, v3, vcc_lo
	s_waitcnt vmcnt(0)
	v_sub_co_u32 v64, vcc_lo, v1, v58
	v_lshlrev_b64 v[0:1], 7, v[62:63]
	v_sub_co_ci_u32_e64 v65, null, v2, v59, vcc_lo
	v_add_co_u32 v66, vcc_lo, s14, v0
	v_cmp_lt_i64_e64 s0, v[62:63], v[64:65]
	v_add_co_ci_u32_e64 v67, null, s15, v1, vcc_lo
	s_cbranch_scc1 .LBB54_25
; %bb.14:
	v_mov_b32_e32 v85, 0
	v_mov_b32_e32 v82, 0
	;; [unrolled: 1-line block ×7, first 2 shown]
	s_and_saveexec_b32 s6, s0
	s_cbranch_execz .LBB54_24
; %bb.15:
	v_or_b32_e32 v0, 64, v78
	v_not_b32_e32 v3, v68
	v_sub_co_u32 v4, s1, v58, v78
	v_not_b32_e32 v2, v69
	v_sub_co_u32 v0, vcc_lo, v0, v58
	v_sub_co_ci_u32_e64 v1, null, 0, v59, vcc_lo
	v_subrev_co_ci_u32_e64 v5, null, 0, v59, s1
	v_add_co_u32 v0, vcc_lo, v0, v68
	v_add_co_ci_u32_e64 v1, null, v1, v69, vcc_lo
	v_mov_b32_e32 v61, 0
	v_mov_b32_e32 v71, v67
	;; [unrolled: 1-line block ×3, first 2 shown]
	v_cmp_gt_i64_e32 vcc_lo, v[0:1], v[64:65]
	v_mov_b32_e32 v70, v66
	v_mov_b32_e32 v84, v61
	;; [unrolled: 1-line block ×5, first 2 shown]
	v_cndmask_b32_e32 v1, v65, v1, vcc_lo
	v_cndmask_b32_e32 v0, v64, v0, vcc_lo
	v_add_co_u32 v3, vcc_lo, v4, v3
	v_add_co_ci_u32_e64 v2, null, v5, v2, vcc_lo
	v_mov_b32_e32 v82, v61
	v_add_co_u32 v0, vcc_lo, v3, v0
	v_add_co_ci_u32_e64 v1, null, v2, v1, vcc_lo
	v_mov_b32_e32 v85, v61
	v_and_b32_e32 v60, 0xc0, v0
	v_mov_b32_e32 v79, v61
	v_mov_b32_e32 v72, v62
	s_mov_b32 s1, exec_lo
	v_cmpx_ne_u64_e32 0xc0, v[60:61]
	s_cbranch_execz .LBB54_19
; %bb.16:
	v_lshrrev_b32_e32 v2, 6, v0
	v_mov_b32_e32 v73, v63
	v_mov_b32_e32 v71, v67
	v_mov_b32_e32 v79, 0
	v_mov_b32_e32 v72, v62
	v_add_nc_u32_e32 v4, 1, v2
	v_lshlrev_b64 v[2:3], 3, v[62:63]
	v_mov_b32_e32 v70, v66
	v_mov_b32_e32 v85, 0
	;; [unrolled: 1-line block ×3, first 2 shown]
	v_and_b32_e32 v4, 3, v4
	v_mov_b32_e32 v80, 0
	v_add_co_u32 v2, vcc_lo, s12, v2
	v_add_co_ci_u32_e64 v3, null, s13, v3, vcc_lo
	v_sub_co_u32 v4, s7, 0, v4
	v_sub_co_ci_u32_e64 v5, null, 0, 0, s7
	v_mov_b32_e32 v83, 0
	v_mov_b32_e32 v81, 0
	;; [unrolled: 1-line block ×4, first 2 shown]
	s_mov_b32 s7, 0
.LBB54_17:                              ; =>This Inner Loop Header: Depth=1
	global_load_dwordx2 v[38:39], v[2:3], off
	s_clause 0x7
	global_load_dwordx4 v[6:9], v[70:71], off offset:48
	global_load_dwordx4 v[10:13], v[70:71], off offset:32
	;; [unrolled: 1-line block ×3, first 2 shown]
	global_load_dwordx4 v[18:21], v[70:71], off
	global_load_dwordx4 v[22:25], v[70:71], off offset:112
	global_load_dwordx4 v[26:29], v[70:71], off offset:96
	;; [unrolled: 1-line block ×4, first 2 shown]
	s_waitcnt vmcnt(8)
	v_sub_co_u32 v38, vcc_lo, v38, v58
	v_sub_co_ci_u32_e64 v39, null, v39, v59, vcc_lo
	v_lshlrev_b64 v[38:39], 5, v[38:39]
	v_add_co_u32 v42, vcc_lo, s2, v38
	v_add_co_ci_u32_e64 v43, null, s3, v39, vcc_lo
	v_add_co_u32 v70, vcc_lo, 0x2000, v70
	v_add_co_ci_u32_e64 v71, null, 0, v71, vcc_lo
	s_clause 0x1
	global_load_dwordx4 v[38:41], v[42:43], off
	global_load_dwordx4 v[42:45], v[42:43], off offset:16
	v_add_co_u32 v72, vcc_lo, v72, 64
	v_add_co_ci_u32_e64 v73, null, 0, v73, vcc_lo
	v_add_co_u32 v4, vcc_lo, v4, 1
	v_add_co_ci_u32_e64 v5, null, 0, v5, vcc_lo
	;; [unrolled: 2-line block ×3, first 2 shown]
	v_cmp_eq_u64_e32 vcc_lo, 0, v[4:5]
	s_or_b32 s7, vcc_lo, s7
	s_waitcnt vmcnt(1)
	v_fmac_f32_e32 v85, v18, v38
	v_fmac_f32_e32 v79, v19, v38
	;; [unrolled: 1-line block ×8, first 2 shown]
	v_fma_f32 v19, -v19, v39, v85
	v_fmac_f32_e32 v79, v18, v39
	v_fma_f32 v11, -v11, v39, v84
	v_fmac_f32_e32 v61, v10, v39
	;; [unrolled: 2-line block ×4, first 2 shown]
	v_fmac_f32_e32 v19, v20, v40
	v_fmac_f32_e32 v79, v21, v40
	;; [unrolled: 1-line block ×8, first 2 shown]
	v_fma_f32 v19, -v21, v41, v19
	v_fmac_f32_e32 v79, v20, v41
	v_fma_f32 v11, -v13, v41, v11
	v_fmac_f32_e32 v61, v12, v41
	;; [unrolled: 2-line block ×4, first 2 shown]
	s_waitcnt vmcnt(0)
	v_fmac_f32_e32 v19, v14, v42
	v_fmac_f32_e32 v79, v15, v42
	v_fmac_f32_e32 v11, v6, v42
	v_fmac_f32_e32 v61, v7, v42
	v_fmac_f32_e32 v10, v30, v42
	v_fmac_f32_e32 v81, v31, v42
	v_fmac_f32_e32 v12, v22, v42
	v_fmac_f32_e32 v80, v23, v42
	v_fma_f32 v13, -v15, v43, v19
	v_fmac_f32_e32 v79, v14, v43
	v_fma_f32 v7, -v7, v43, v11
	v_fmac_f32_e32 v61, v6, v43
	;; [unrolled: 2-line block ×4, first 2 shown]
	v_fmac_f32_e32 v13, v16, v44
	v_fmac_f32_e32 v79, v17, v44
	;; [unrolled: 1-line block ×8, first 2 shown]
	v_fma_f32 v85, -v17, v45, v13
	v_fmac_f32_e32 v79, v16, v45
	v_fma_f32 v84, -v9, v45, v7
	v_fmac_f32_e32 v61, v8, v45
	;; [unrolled: 2-line block ×4, first 2 shown]
	s_andn2_b32 exec_lo, exec_lo, s7
	s_cbranch_execnz .LBB54_17
; %bb.18:
	s_or_b32 exec_lo, exec_lo, s7
.LBB54_19:
	s_or_b32 exec_lo, exec_lo, s1
	s_mov_b32 s1, exec_lo
	v_cmpx_lt_u64_e32 0xbf, v[0:1]
	s_cbranch_execz .LBB54_23
; %bb.20:
	v_lshlrev_b64 v[0:1], 3, v[72:73]
	s_mov_b32 s7, 0
	v_add_co_u32 v0, vcc_lo, s12, v0
	v_add_co_ci_u32_e64 v1, null, s13, v1, vcc_lo
	v_add_co_u32 v74, vcc_lo, 0x400, v0
	v_add_co_ci_u32_e64 v75, null, 0, v1, vcc_lo
.LBB54_21:                              ; =>This Inner Loop Header: Depth=1
	global_load_dwordx2 v[76:77], v[74:75], off offset:-1024
	s_clause 0x7
	global_load_dwordx4 v[0:3], v[70:71], off offset:48
	global_load_dwordx4 v[16:19], v[70:71], off offset:32
	;; [unrolled: 1-line block ×3, first 2 shown]
	global_load_dwordx4 v[36:39], v[70:71], off
	global_load_dwordx4 v[4:7], v[70:71], off offset:112
	global_load_dwordx4 v[32:35], v[70:71], off offset:96
	;; [unrolled: 1-line block ×4, first 2 shown]
	s_clause 0x2
	global_load_dwordx2 v[130:131], v[74:75], off offset:-512
	global_load_dwordx2 v[132:133], v[74:75], off
	global_load_dwordx2 v[134:135], v[74:75], off offset:512
	v_add_co_u32 v20, vcc_lo, 0x2000, v70
	v_add_co_ci_u32_e64 v21, null, 0, v71, vcc_lo
	v_add_co_u32 v126, vcc_lo, 0x4000, v70
	v_add_co_ci_u32_e64 v127, null, 0, v71, vcc_lo
	;; [unrolled: 2-line block ×3, first 2 shown]
	s_clause 0xc
	global_load_dwordx4 v[24:27], v[20:21], off offset:48
	global_load_dwordx4 v[90:93], v[20:21], off offset:32
	global_load_dwordx4 v[94:97], v[20:21], off
	global_load_dwordx4 v[28:31], v[20:21], off offset:16
	global_load_dwordx4 v[40:43], v[20:21], off offset:112
	;; [unrolled: 1-line block ×7, first 2 shown]
	global_load_dwordx4 v[114:117], v[126:127], off
	global_load_dwordx4 v[44:47], v[126:127], off offset:16
	global_load_dwordx4 v[48:51], v[126:127], off offset:112
	s_waitcnt vmcnt(24)
	v_sub_co_u32 v76, vcc_lo, v76, v58
	v_sub_co_ci_u32_e64 v77, null, v77, v59, vcc_lo
	v_lshlrev_b64 v[76:77], 5, v[76:77]
	v_add_co_u32 v76, vcc_lo, s2, v76
	v_add_co_ci_u32_e64 v77, null, s3, v77, vcc_lo
	s_clause 0x1
	global_load_dwordx4 v[118:121], v[76:77], off
	global_load_dwordx4 v[122:125], v[76:77], off offset:16
	s_waitcnt vmcnt(1)
	v_fmac_f32_e32 v85, v36, v118
	v_fmac_f32_e32 v79, v37, v118
	;; [unrolled: 1-line block ×8, first 2 shown]
	v_fma_f32 v37, -v37, v119, v85
	v_fmac_f32_e32 v79, v36, v119
	v_fma_f32 v17, -v17, v119, v84
	v_fmac_f32_e32 v61, v16, v119
	;; [unrolled: 2-line block ×4, first 2 shown]
	v_fmac_f32_e32 v37, v38, v120
	v_fmac_f32_e32 v79, v39, v120
	;; [unrolled: 1-line block ×8, first 2 shown]
	v_fma_f32 v60, -v39, v121, v37
	v_fmac_f32_e32 v79, v38, v121
	v_fma_f32 v138, -v19, v121, v17
	v_fmac_f32_e32 v61, v18, v121
	;; [unrolled: 2-line block ×4, first 2 shown]
	v_sub_co_u32 v76, vcc_lo, v130, v58
	v_sub_co_ci_u32_e64 v77, null, v131, v59, vcc_lo
	s_waitcnt vmcnt(0)
	v_fmac_f32_e32 v60, v12, v122
	v_fmac_f32_e32 v79, v13, v122
	;; [unrolled: 1-line block ×8, first 2 shown]
	v_lshlrev_b64 v[76:77], 5, v[76:77]
	v_fma_f32 v13, -v13, v123, v60
	v_fmac_f32_e32 v79, v12, v123
	v_fma_f32 v1, -v1, v123, v138
	v_fmac_f32_e32 v61, v0, v123
	;; [unrolled: 2-line block ×4, first 2 shown]
	v_add_co_u32 v76, vcc_lo, s2, v76
	v_add_co_ci_u32_e64 v77, null, s3, v77, vcc_lo
	v_fmac_f32_e32 v13, v14, v124
	v_fmac_f32_e32 v79, v15, v124
	;; [unrolled: 1-line block ×8, first 2 shown]
	s_clause 0x5
	global_load_dwordx4 v[36:39], v[126:127], off offset:96
	global_load_dwordx4 v[16:19], v[126:127], off offset:80
	;; [unrolled: 1-line block ×3, first 2 shown]
	global_load_dwordx4 v[83:86], v[136:137], off
	global_load_dwordx4 v[118:121], v[136:137], off offset:32
	global_load_dwordx4 v[32:35], v[136:137], off offset:48
	v_fma_f32 v60, -v15, v125, v13
	v_fmac_f32_e32 v79, v14, v125
	global_load_dwordx4 v[12:15], v[136:137], off offset:112
	v_fma_f32 v89, -v3, v125, v1
	v_fmac_f32_e32 v61, v2, v125
	;; [unrolled: 3-line block ×4, first 2 shown]
	s_clause 0x1
	global_load_dwordx4 v[4:7], v[76:77], off
	global_load_dwordx4 v[122:125], v[76:77], off offset:16
	v_sub_co_u32 v76, vcc_lo, v132, v58
	v_sub_co_ci_u32_e64 v77, null, v133, v59, vcc_lo
	v_sub_co_u32 v87, vcc_lo, v134, v58
	v_sub_co_ci_u32_e64 v88, null, v135, v59, vcc_lo
	v_lshlrev_b64 v[76:77], 5, v[76:77]
	v_lshlrev_b64 v[87:88], 5, v[87:88]
	v_add_co_u32 v76, vcc_lo, s2, v76
	v_add_co_ci_u32_e64 v77, null, s3, v77, vcc_lo
	v_add_co_u32 v134, vcc_lo, s2, v87
	v_add_co_ci_u32_e64 v135, null, s3, v88, vcc_lo
	;; [unrolled: 2-line block ×5, first 2 shown]
	v_cmp_ge_i64_e32 vcc_lo, v[72:73], v[64:65]
	s_or_b32 s7, vcc_lo, s7
	s_waitcnt vmcnt(1)
	v_fmac_f32_e32 v60, v94, v4
	v_fmac_f32_e32 v79, v95, v4
	;; [unrolled: 1-line block ×5, first 2 shown]
	v_fma_f32 v60, -v95, v5, v60
	v_fmac_f32_e32 v79, v94, v5
	v_fma_f32 v87, -v91, v5, v89
	v_fmac_f32_e32 v61, v90, v5
	v_fmac_f32_e32 v81, v107, v4
	;; [unrolled: 1-line block ×7, first 2 shown]
	v_fma_f32 v60, -v97, v7, v60
	v_fmac_f32_e32 v79, v96, v7
	global_load_dwordx4 v[94:97], v[136:137], off offset:64
	v_fma_f32 v91, -v93, v7, v87
	s_clause 0x1
	global_load_dwordx4 v[87:90], v[76:77], off
	global_load_dwordx4 v[130:133], v[76:77], off offset:16
	v_fma_f32 v76, -v107, v5, v138
	v_fmac_f32_e32 v81, v109, v6
	v_fmac_f32_e32 v80, v99, v4
	v_fma_f32 v4, -v99, v5, v82
	v_fmac_f32_e32 v61, v93, v6
	v_fmac_f32_e32 v76, v108, v6
	;; [unrolled: 1-line block ×6, first 2 shown]
	v_fma_f32 v76, -v109, v7, v76
	global_load_dwordx4 v[106:109], v[134:135], off
	v_fmac_f32_e32 v80, v101, v6
	v_fma_f32 v77, -v101, v7, v4
	s_waitcnt vmcnt(4)
	v_fmac_f32_e32 v60, v28, v122
	v_fmac_f32_e32 v79, v29, v122
	;; [unrolled: 1-line block ×4, first 2 shown]
	global_load_dwordx4 v[4:7], v[136:137], off offset:16
	global_load_dwordx4 v[98:101], v[134:135], off offset:16
	v_fmac_f32_e32 v61, v25, v122
	v_fmac_f32_e32 v76, v102, v122
	v_fmac_f32_e32 v81, v103, v122
	v_fmac_f32_e32 v77, v40, v122
	v_fmac_f32_e32 v80, v41, v122
	v_fma_f32 v29, -v29, v123, v60
	v_fmac_f32_e32 v79, v28, v123
	v_fma_f32 v25, -v25, v123, v91
	v_fmac_f32_e32 v61, v24, v123
	v_fma_f32 v24, -v103, v123, v76
	v_fmac_f32_e32 v81, v102, v123
	v_fma_f32 v28, -v41, v123, v77
	v_fmac_f32_e32 v80, v40, v123
	v_fmac_f32_e32 v29, v30, v124
	v_fmac_f32_e32 v79, v31, v124
	v_fmac_f32_e32 v25, v26, v124
	v_fmac_f32_e32 v61, v27, v124
	v_fmac_f32_e32 v24, v104, v124
	v_fmac_f32_e32 v81, v105, v124
	v_fmac_f32_e32 v28, v42, v124
	v_fmac_f32_e32 v80, v43, v124
	v_fma_f32 v29, -v31, v125, v29
	v_fmac_f32_e32 v79, v30, v125
	v_fma_f32 v25, -v27, v125, v25
	v_fmac_f32_e32 v61, v26, v125
	v_fma_f32 v24, -v105, v125, v24
	v_fmac_f32_e32 v81, v104, v125
	v_fma_f32 v26, -v43, v125, v28
	v_fmac_f32_e32 v80, v42, v125
	s_waitcnt vmcnt(4)
	v_fmac_f32_e32 v29, v114, v87
	v_fmac_f32_e32 v79, v115, v87
	v_fmac_f32_e32 v25, v110, v87
	v_fmac_f32_e32 v61, v111, v87
	v_fmac_f32_e32 v24, v126, v87
	v_fmac_f32_e32 v81, v127, v87
	v_fmac_f32_e32 v26, v36, v87
	v_fmac_f32_e32 v80, v37, v87
	v_fma_f32 v27, -v115, v88, v29
	v_fmac_f32_e32 v79, v114, v88
	v_fma_f32 v25, -v111, v88, v25
	v_fmac_f32_e32 v61, v110, v88
	v_fma_f32 v24, -v127, v88, v24
	v_fmac_f32_e32 v81, v126, v88
	v_fma_f32 v26, -v37, v88, v26
	v_fmac_f32_e32 v80, v36, v88
	v_fmac_f32_e32 v27, v116, v89
	v_fmac_f32_e32 v79, v117, v89
	v_fmac_f32_e32 v25, v112, v89
	v_fmac_f32_e32 v61, v113, v89
	v_fmac_f32_e32 v24, v128, v89
	v_fmac_f32_e32 v81, v129, v89
	v_fmac_f32_e32 v26, v38, v89
	v_fmac_f32_e32 v80, v39, v89
	v_fma_f32 v27, -v117, v90, v27
	v_fmac_f32_e32 v79, v116, v90
	v_fma_f32 v25, -v113, v90, v25
	v_fmac_f32_e32 v61, v112, v90
	v_fma_f32 v24, -v129, v90, v24
	v_fmac_f32_e32 v81, v128, v90
	v_fma_f32 v26, -v39, v90, v26
	v_fmac_f32_e32 v80, v38, v90
	s_waitcnt vmcnt(3)
	v_fmac_f32_e32 v27, v44, v130
	v_fmac_f32_e32 v79, v45, v130
	v_fmac_f32_e32 v25, v20, v130
	;; [unrolled: 33-line block ×4, first 2 shown]
	v_fmac_f32_e32 v61, v33, v98
	v_fmac_f32_e32 v17, v8, v98
	;; [unrolled: 1-line block ×5, first 2 shown]
	v_fma_f32 v0, -v5, v99, v0
	v_fmac_f32_e32 v79, v4, v99
	v_fma_f32 v2, -v33, v99, v16
	v_fmac_f32_e32 v61, v32, v99
	;; [unrolled: 2-line block ×4, first 2 shown]
	v_fmac_f32_e32 v0, v6, v100
	v_fmac_f32_e32 v79, v7, v100
	;; [unrolled: 1-line block ×8, first 2 shown]
	v_fma_f32 v85, -v7, v101, v0
	v_fmac_f32_e32 v79, v6, v101
	v_fma_f32 v84, -v35, v101, v2
	v_fmac_f32_e32 v61, v34, v101
	;; [unrolled: 2-line block ×4, first 2 shown]
	s_andn2_b32 exec_lo, exec_lo, s7
	s_cbranch_execnz .LBB54_21
; %bb.22:
	s_or_b32 exec_lo, exec_lo, s7
.LBB54_23:
	s_or_b32 exec_lo, exec_lo, s1
.LBB54_24:
	s_or_b32 exec_lo, exec_lo, s6
	s_cbranch_execz .LBB54_26
	s_branch .LBB54_37
.LBB54_25:
                                        ; implicit-def: $vgpr79
                                        ; implicit-def: $vgpr85
                                        ; implicit-def: $vgpr82
                                        ; implicit-def: $vgpr80
                                        ; implicit-def: $vgpr83
                                        ; implicit-def: $vgpr81
                                        ; implicit-def: $vgpr84
                                        ; implicit-def: $vgpr61
.LBB54_26:
	v_mov_b32_e32 v79, 0
	v_mov_b32_e32 v85, 0
	;; [unrolled: 1-line block ×8, first 2 shown]
	s_and_saveexec_b32 s1, s0
	s_cbranch_execz .LBB54_36
; %bb.27:
	v_or_b32_e32 v0, 64, v78
	v_not_b32_e32 v3, v68
	v_not_b32_e32 v2, v69
	v_mov_b32_e32 v61, 0
	v_sub_co_u32 v0, vcc_lo, v0, v58
	v_sub_co_ci_u32_e64 v1, null, 0, v59, vcc_lo
	v_mov_b32_e32 v84, v61
	v_add_co_u32 v0, vcc_lo, v0, v68
	v_add_co_ci_u32_e64 v1, null, v1, v69, vcc_lo
	v_sub_co_u32 v4, vcc_lo, v58, v78
	v_subrev_co_ci_u32_e64 v5, null, 0, v59, vcc_lo
	v_cmp_gt_i64_e64 s0, v[0:1], v[64:65]
	v_add_co_u32 v3, vcc_lo, v4, v3
	v_add_co_ci_u32_e64 v2, null, v5, v2, vcc_lo
	v_mov_b32_e32 v81, v61
	v_cndmask_b32_e64 v0, v64, v0, s0
	v_cndmask_b32_e64 v1, v65, v1, s0
	v_mov_b32_e32 v83, v61
	v_mov_b32_e32 v80, v61
	;; [unrolled: 1-line block ×3, first 2 shown]
	v_add_co_u32 v0, vcc_lo, v3, v0
	v_add_co_ci_u32_e64 v1, null, v2, v1, vcc_lo
	v_mov_b32_e32 v85, v61
	v_and_b32_e32 v60, 0xc0, v0
	v_mov_b32_e32 v79, v61
	s_mov_b32 s0, exec_lo
	v_cmpx_ne_u64_e32 0xc0, v[60:61]
	s_cbranch_execz .LBB54_31
; %bb.28:
	v_lshrrev_b32_e32 v2, 6, v0
	v_mov_b32_e32 v79, 0
	v_mov_b32_e32 v85, 0
	;; [unrolled: 1-line block ×4, first 2 shown]
	v_add_nc_u32_e32 v4, 1, v2
	v_lshlrev_b64 v[2:3], 3, v[62:63]
	v_mov_b32_e32 v83, 0
	v_mov_b32_e32 v81, 0
	;; [unrolled: 1-line block ×3, first 2 shown]
	v_and_b32_e32 v4, 3, v4
	v_mov_b32_e32 v61, 0
	v_add_co_u32 v2, vcc_lo, s12, v2
	v_add_co_ci_u32_e64 v3, null, s13, v3, vcc_lo
	v_sub_co_u32 v4, s6, 0, v4
	v_sub_co_ci_u32_e64 v5, null, 0, 0, s6
	s_mov_b32 s6, 0
.LBB54_29:                              ; =>This Inner Loop Header: Depth=1
	global_load_dwordx2 v[18:19], v[2:3], off
	s_clause 0x2
	global_load_dwordx4 v[6:9], v[66:67], off offset:32
	global_load_dwordx4 v[10:13], v[66:67], off offset:16
	global_load_dwordx4 v[14:17], v[66:67], off
	s_waitcnt vmcnt(3)
	v_sub_co_u32 v18, vcc_lo, v18, v58
	v_sub_co_ci_u32_e64 v19, null, v19, v59, vcc_lo
	v_lshlrev_b64 v[18:19], 5, v[18:19]
	v_add_co_u32 v22, vcc_lo, s2, v18
	v_add_co_ci_u32_e64 v23, null, s3, v19, vcc_lo
	s_clause 0x1
	global_load_dwordx4 v[18:21], v[22:23], off
	global_load_dwordx4 v[22:25], v[22:23], off offset:16
	s_clause 0x4
	global_load_dwordx4 v[26:29], v[66:67], off offset:48
	global_load_dwordx4 v[30:33], v[66:67], off offset:64
	global_load_dwordx4 v[34:37], v[66:67], off offset:80
	global_load_dwordx4 v[38:41], v[66:67], off offset:96
	global_load_dwordx4 v[42:45], v[66:67], off offset:112
	v_add_co_u32 v66, vcc_lo, 0x2000, v66
	v_add_co_ci_u32_e64 v67, null, 0, v67, vcc_lo
	v_add_co_u32 v62, vcc_lo, v62, 64
	v_add_co_ci_u32_e64 v63, null, 0, v63, vcc_lo
	;; [unrolled: 2-line block ×4, first 2 shown]
	v_cmp_eq_u64_e32 vcc_lo, 0, v[4:5]
	s_or_b32 s6, vcc_lo, s6
	s_waitcnt vmcnt(6)
	v_fmac_f32_e32 v85, v14, v18
	v_fmac_f32_e32 v79, v15, v18
	;; [unrolled: 1-line block ×8, first 2 shown]
	v_fma_f32 v15, -v15, v19, v85
	v_fmac_f32_e32 v79, v14, v19
	v_fma_f32 v14, -v17, v19, v84
	v_fmac_f32_e32 v61, v16, v19
	;; [unrolled: 2-line block ×4, first 2 shown]
	v_fmac_f32_e32 v15, v6, v20
	v_fmac_f32_e32 v79, v7, v20
	;; [unrolled: 1-line block ×4, first 2 shown]
	s_waitcnt vmcnt(4)
	v_fmac_f32_e32 v11, v26, v20
	v_fmac_f32_e32 v81, v27, v20
	;; [unrolled: 1-line block ×4, first 2 shown]
	v_fma_f32 v7, -v7, v21, v15
	v_fmac_f32_e32 v79, v6, v21
	v_fma_f32 v6, -v9, v21, v14
	v_fmac_f32_e32 v61, v8, v21
	;; [unrolled: 2-line block ×4, first 2 shown]
	s_waitcnt vmcnt(3)
	v_fmac_f32_e32 v7, v30, v22
	v_fmac_f32_e32 v79, v31, v22
	;; [unrolled: 1-line block ×4, first 2 shown]
	s_waitcnt vmcnt(2)
	v_fmac_f32_e32 v8, v34, v22
	v_fmac_f32_e32 v81, v35, v22
	;; [unrolled: 1-line block ×4, first 2 shown]
	v_fma_f32 v7, -v31, v23, v7
	v_fmac_f32_e32 v79, v30, v23
	v_fma_f32 v6, -v33, v23, v6
	v_fmac_f32_e32 v61, v32, v23
	v_fma_f32 v8, -v35, v23, v8
	v_fmac_f32_e32 v81, v34, v23
	v_fma_f32 v9, -v37, v23, v9
	v_fmac_f32_e32 v80, v36, v23
	s_waitcnt vmcnt(1)
	v_fmac_f32_e32 v7, v38, v24
	v_fmac_f32_e32 v79, v39, v24
	;; [unrolled: 1-line block ×4, first 2 shown]
	s_waitcnt vmcnt(0)
	v_fmac_f32_e32 v8, v42, v24
	v_fmac_f32_e32 v81, v43, v24
	;; [unrolled: 1-line block ×4, first 2 shown]
	v_fma_f32 v85, -v39, v25, v7
	v_fmac_f32_e32 v79, v38, v25
	v_fma_f32 v84, -v41, v25, v6
	v_fmac_f32_e32 v61, v40, v25
	v_fma_f32 v83, -v43, v25, v8
	v_fmac_f32_e32 v81, v42, v25
	v_fma_f32 v82, -v45, v25, v9
	v_fmac_f32_e32 v80, v44, v25
	s_andn2_b32 exec_lo, exec_lo, s6
	s_cbranch_execnz .LBB54_29
; %bb.30:
	s_or_b32 exec_lo, exec_lo, s6
.LBB54_31:
	s_or_b32 exec_lo, exec_lo, s0
	s_mov_b32 s0, exec_lo
	v_cmpx_lt_u64_e32 0xbf, v[0:1]
	s_cbranch_execz .LBB54_35
; %bb.32:
	v_lshlrev_b64 v[0:1], 3, v[62:63]
	s_mov_b32 s6, 0
	v_add_co_u32 v0, vcc_lo, s12, v0
	v_add_co_ci_u32_e64 v1, null, s13, v1, vcc_lo
	v_add_co_u32 v28, vcc_lo, 0x400, v0
	v_add_co_ci_u32_e64 v29, null, 0, v1, vcc_lo
.LBB54_33:                              ; =>This Inner Loop Header: Depth=1
	global_load_dwordx2 v[76:77], v[28:29], off offset:-1024
	s_clause 0x7
	global_load_dwordx4 v[4:7], v[66:67], off offset:48
	global_load_dwordx4 v[12:15], v[66:67], off offset:32
	;; [unrolled: 1-line block ×3, first 2 shown]
	global_load_dwordx4 v[32:35], v[66:67], off
	global_load_dwordx4 v[0:3], v[66:67], off offset:112
	global_load_dwordx4 v[8:11], v[66:67], off offset:96
	;; [unrolled: 1-line block ×4, first 2 shown]
	v_add_co_u32 v90, vcc_lo, 0x2000, v66
	v_add_co_ci_u32_e64 v91, null, 0, v67, vcc_lo
	v_add_co_u32 v106, vcc_lo, 0x4000, v66
	v_add_co_ci_u32_e64 v107, null, 0, v67, vcc_lo
	;; [unrolled: 2-line block ×3, first 2 shown]
	s_clause 0x2
	global_load_dwordx2 v[108:109], v[28:29], off offset:-512
	global_load_dwordx2 v[30:31], v[28:29], off
	global_load_dwordx2 v[110:111], v[28:29], off offset:512
	s_clause 0x8
	global_load_dwordx4 v[36:39], v[90:91], off offset:48
	global_load_dwordx4 v[40:43], v[90:91], off offset:32
	global_load_dwordx4 v[44:47], v[90:91], off
	global_load_dwordx4 v[48:51], v[90:91], off offset:16
	global_load_dwordx4 v[68:71], v[90:91], off offset:112
	;; [unrolled: 1-line block ×5, first 2 shown]
	global_load_dwordx4 v[94:97], v[106:107], off
	s_waitcnt vmcnt(20)
	v_sub_co_u32 v76, vcc_lo, v76, v58
	v_sub_co_ci_u32_e64 v77, null, v77, v59, vcc_lo
	v_lshlrev_b64 v[76:77], 5, v[76:77]
	v_add_co_u32 v76, vcc_lo, s2, v76
	v_add_co_ci_u32_e64 v77, null, s3, v77, vcc_lo
	s_clause 0x1
	global_load_dwordx4 v[98:101], v[76:77], off
	global_load_dwordx4 v[102:105], v[76:77], off offset:16
	s_waitcnt vmcnt(1)
	v_fmac_f32_e32 v84, v34, v98
	v_fmac_f32_e32 v85, v32, v98
	;; [unrolled: 1-line block ×5, first 2 shown]
	v_fma_f32 v76, -v35, v99, v84
	v_fmac_f32_e32 v81, v21, v98
	v_fmac_f32_e32 v82, v22, v98
	;; [unrolled: 1-line block ×3, first 2 shown]
	v_fma_f32 v60, -v33, v99, v85
	v_fmac_f32_e32 v76, v14, v100
	v_fmac_f32_e32 v79, v32, v99
	v_fmac_f32_e32 v61, v34, v99
	v_fma_f32 v77, -v21, v99, v83
	v_fmac_f32_e32 v81, v20, v99
	v_fma_f32 v82, -v23, v99, v82
	v_fmac_f32_e32 v80, v22, v99
	;; [unrolled: 2-line block ×3, first 2 shown]
	v_fmac_f32_e32 v79, v13, v100
	v_fmac_f32_e32 v61, v15, v100
	;; [unrolled: 1-line block ×6, first 2 shown]
	s_waitcnt vmcnt(0)
	v_fmac_f32_e32 v76, v26, v102
	v_fma_f32 v60, -v13, v101, v60
	v_fmac_f32_e32 v79, v12, v101
	v_fmac_f32_e32 v61, v14, v101
	v_fma_f32 v114, -v5, v101, v77
	v_fmac_f32_e32 v81, v4, v101
	v_fma_f32 v115, -v7, v101, v82
	;; [unrolled: 2-line block ×3, first 2 shown]
	v_sub_co_u32 v76, vcc_lo, v108, v58
	v_sub_co_ci_u32_e64 v77, null, v109, v59, vcc_lo
	v_fmac_f32_e32 v60, v24, v102
	v_fmac_f32_e32 v79, v25, v102
	;; [unrolled: 1-line block ×7, first 2 shown]
	v_lshlrev_b64 v[76:77], 5, v[76:77]
	s_clause 0x4
	global_load_dwordx4 v[32:35], v[106:107], off offset:48
	global_load_dwordx4 v[20:23], v[106:107], off offset:32
	;; [unrolled: 1-line block ×5, first 2 shown]
	v_fma_f32 v60, -v25, v103, v60
	v_fmac_f32_e32 v79, v24, v103
	v_fmac_f32_e32 v61, v26, v103
	s_clause 0x1
	global_load_dwordx4 v[24:27], v[106:107], off offset:80
	global_load_dwordx4 v[98:101], v[106:107], off offset:64
	v_fma_f32 v102, -v17, v103, v114
	v_fmac_f32_e32 v81, v16, v103
	v_fma_f32 v106, -v19, v103, v115
	v_fmac_f32_e32 v80, v18, v103
	v_add_co_u32 v76, vcc_lo, s2, v76
	v_add_co_ci_u32_e64 v77, null, s3, v77, vcc_lo
	v_fmac_f32_e32 v60, v8, v104
	v_fmac_f32_e32 v79, v9, v104
	;; [unrolled: 1-line block ×8, first 2 shown]
	global_load_dwordx4 v[16:19], v[112:113], off
	v_fma_f32 v60, -v9, v105, v60
	v_fmac_f32_e32 v79, v8, v105
	v_fma_f32 v107, -v11, v105, v116
	v_fmac_f32_e32 v61, v10, v105
	global_load_dwordx4 v[8:11], v[112:113], off offset:48
	v_fma_f32 v108, -v1, v105, v102
	v_fmac_f32_e32 v81, v0, v105
	v_fma_f32 v106, -v3, v105, v106
	v_fmac_f32_e32 v80, v2, v105
	s_clause 0x1
	global_load_dwordx4 v[0:3], v[76:77], off
	global_load_dwordx4 v[102:105], v[76:77], off offset:16
	v_sub_co_u32 v30, vcc_lo, v30, v58
	v_sub_co_ci_u32_e64 v31, null, v31, v59, vcc_lo
	v_lshlrev_b64 v[30:31], 5, v[30:31]
	s_waitcnt vmcnt(1)
	v_fmac_f32_e32 v81, v49, v0
	v_fmac_f32_e32 v108, v48, v0
	;; [unrolled: 1-line block ×9, first 2 shown]
	v_fma_f32 v0, -v49, v1, v108
	v_fmac_f32_e32 v81, v37, v2
	v_fma_f32 v76, -v47, v1, v107
	v_fma_f32 v60, -v45, v1, v60
	v_fmac_f32_e32 v79, v44, v1
	v_fmac_f32_e32 v0, v36, v2
	;; [unrolled: 1-line block ×3, first 2 shown]
	v_sub_co_u32 v36, vcc_lo, v110, v58
	v_fmac_f32_e32 v61, v46, v1
	v_fma_f32 v115, -v37, v3, v0
	v_sub_co_ci_u32_e64 v37, null, v111, v59, vcc_lo
	v_fma_f32 v77, -v51, v1, v106
	v_fmac_f32_e32 v80, v50, v1
	v_fmac_f32_e32 v76, v42, v2
	v_lshlrev_b64 v[36:37], 5, v[36:37]
	v_add_co_u32 v30, vcc_lo, s2, v30
	v_fmac_f32_e32 v60, v40, v2
	v_fmac_f32_e32 v79, v41, v2
	v_fmac_f32_e32 v61, v43, v2
	v_fmac_f32_e32 v77, v38, v2
	v_fmac_f32_e32 v80, v39, v2
	v_add_co_ci_u32_e64 v31, null, s3, v31, vcc_lo
	v_fma_f32 v114, -v43, v3, v76
	v_add_co_u32 v76, vcc_lo, s2, v36
	s_clause 0x1
	global_load_dwordx4 v[44:47], v[112:113], off offset:32
	global_load_dwordx4 v[48:51], v[112:113], off offset:16
	v_fma_f32 v60, -v41, v3, v60
	v_fmac_f32_e32 v79, v40, v3
	v_fmac_f32_e32 v61, v42, v3
	global_load_dwordx4 v[40:43], v[112:113], off offset:64
	v_fma_f32 v116, -v39, v3, v77
	v_fmac_f32_e32 v80, v38, v3
	global_load_dwordx4 v[0:3], v[112:113], off offset:80
	v_add_co_ci_u32_e64 v77, null, s3, v37, vcc_lo
	s_clause 0x1
	global_load_dwordx4 v[36:39], v[30:31], off
	global_load_dwordx4 v[106:109], v[30:31], off offset:16
	s_waitcnt vmcnt(6)
	v_fmac_f32_e32 v60, v90, v102
	v_fmac_f32_e32 v79, v91, v102
	;; [unrolled: 1-line block ×5, first 2 shown]
	v_fma_f32 v30, -v91, v103, v60
	v_fmac_f32_e32 v79, v90, v103
	v_fma_f32 v31, -v93, v103, v114
	v_fmac_f32_e32 v61, v92, v103
	global_load_dwordx4 v[90:93], v[76:77], off
	v_fmac_f32_e32 v81, v87, v102
	v_fmac_f32_e32 v116, v88, v102
	v_fmac_f32_e32 v80, v89, v102
	v_fma_f32 v60, -v87, v103, v115
	v_fmac_f32_e32 v30, v72, v104
	v_fmac_f32_e32 v81, v86, v103
	v_fma_f32 v102, -v89, v103, v116
	v_fmac_f32_e32 v80, v88, v103
	global_load_dwordx4 v[86:89], v[76:77], off offset:16
	v_fmac_f32_e32 v79, v73, v104
	v_fmac_f32_e32 v31, v74, v104
	;; [unrolled: 1-line block ×3, first 2 shown]
	v_fma_f32 v30, -v73, v105, v30
	v_fmac_f32_e32 v60, v68, v104
	v_fmac_f32_e32 v79, v72, v105
	v_fma_f32 v31, -v75, v105, v31
	v_fmac_f32_e32 v61, v74, v105
	s_clause 0x1
	global_load_dwordx4 v[72:75], v[112:113], off offset:96
	global_load_dwordx4 v[110:113], v[112:113], off offset:112
	v_fmac_f32_e32 v81, v69, v104
	v_fmac_f32_e32 v102, v70, v104
	;; [unrolled: 1-line block ×3, first 2 shown]
	v_fma_f32 v60, -v69, v105, v60
	v_add_co_u32 v62, vcc_lo, 0x100, v62
	v_fmac_f32_e32 v81, v68, v105
	v_fma_f32 v68, -v71, v105, v102
	v_fmac_f32_e32 v80, v70, v105
	v_add_co_ci_u32_e64 v63, null, 0, v63, vcc_lo
	v_add_co_u32 v28, vcc_lo, 0x800, v28
	v_add_co_ci_u32_e64 v29, null, 0, v29, vcc_lo
	v_add_co_u32 v66, vcc_lo, 0x8000, v66
	v_add_co_ci_u32_e64 v67, null, 0, v67, vcc_lo
	v_cmp_ge_i64_e32 vcc_lo, v[62:63], v[64:65]
	s_or_b32 s6, vcc_lo, s6
	s_waitcnt vmcnt(5)
	v_fmac_f32_e32 v30, v94, v36
	v_fmac_f32_e32 v79, v95, v36
	v_fmac_f32_e32 v31, v96, v36
	v_fmac_f32_e32 v61, v97, v36
	v_fmac_f32_e32 v60, v12, v36
	v_fmac_f32_e32 v81, v13, v36
	v_fmac_f32_e32 v68, v14, v36
	v_fmac_f32_e32 v80, v15, v36
	v_fma_f32 v30, -v95, v37, v30
	v_fmac_f32_e32 v79, v94, v37
	v_fma_f32 v31, -v97, v37, v31
	v_fmac_f32_e32 v61, v96, v37
	v_fma_f32 v13, -v13, v37, v60
	v_fmac_f32_e32 v81, v12, v37
	v_fma_f32 v12, -v15, v37, v68
	v_fmac_f32_e32 v80, v14, v37
	v_fmac_f32_e32 v30, v20, v38
	v_fmac_f32_e32 v79, v21, v38
	v_fmac_f32_e32 v31, v22, v38
	v_fmac_f32_e32 v61, v23, v38
	v_fmac_f32_e32 v13, v32, v38
	v_fmac_f32_e32 v81, v33, v38
	v_fmac_f32_e32 v12, v34, v38
	v_fmac_f32_e32 v80, v35, v38
	v_fma_f32 v14, -v21, v39, v30
	v_fmac_f32_e32 v79, v20, v39
	v_fma_f32 v15, -v23, v39, v31
	v_fmac_f32_e32 v61, v22, v39
	v_fma_f32 v13, -v33, v39, v13
	v_fmac_f32_e32 v81, v32, v39
	v_fma_f32 v12, -v35, v39, v12
	v_fmac_f32_e32 v80, v34, v39
	s_waitcnt vmcnt(4)
	v_fmac_f32_e32 v14, v98, v106
	v_fmac_f32_e32 v79, v99, v106
	v_fmac_f32_e32 v15, v100, v106
	v_fmac_f32_e32 v61, v101, v106
	v_fmac_f32_e32 v13, v24, v106
	v_fmac_f32_e32 v81, v25, v106
	v_fmac_f32_e32 v12, v26, v106
	v_fmac_f32_e32 v80, v27, v106
	v_fma_f32 v14, -v99, v107, v14
	v_fmac_f32_e32 v79, v98, v107
	v_fma_f32 v15, -v101, v107, v15
	v_fmac_f32_e32 v61, v100, v107
	v_fma_f32 v13, -v25, v107, v13
	v_fmac_f32_e32 v81, v24, v107
	v_fma_f32 v12, -v27, v107, v12
	v_fmac_f32_e32 v80, v26, v107
	v_fmac_f32_e32 v14, v82, v108
	v_fmac_f32_e32 v79, v83, v108
	v_fmac_f32_e32 v15, v84, v108
	v_fmac_f32_e32 v61, v85, v108
	v_fmac_f32_e32 v13, v4, v108
	v_fmac_f32_e32 v81, v5, v108
	v_fmac_f32_e32 v12, v6, v108
	v_fmac_f32_e32 v80, v7, v108
	v_fma_f32 v14, -v83, v109, v14
	v_fmac_f32_e32 v79, v82, v109
	v_fma_f32 v15, -v85, v109, v15
	v_fmac_f32_e32 v61, v84, v109
	v_fma_f32 v5, -v5, v109, v13
	v_fmac_f32_e32 v81, v4, v109
	v_fma_f32 v4, -v7, v109, v12
	v_fmac_f32_e32 v80, v6, v109
	;; [unrolled: 33-line block ×3, first 2 shown]
	s_waitcnt vmcnt(2)
	v_fmac_f32_e32 v6, v40, v86
	v_fmac_f32_e32 v79, v41, v86
	;; [unrolled: 1-line block ×8, first 2 shown]
	v_fma_f32 v6, -v41, v87, v6
	v_fmac_f32_e32 v79, v40, v87
	v_fma_f32 v7, -v43, v87, v7
	v_fmac_f32_e32 v61, v42, v87
	;; [unrolled: 2-line block ×4, first 2 shown]
	s_waitcnt vmcnt(1)
	v_fmac_f32_e32 v6, v72, v88
	v_fmac_f32_e32 v79, v73, v88
	;; [unrolled: 1-line block ×4, first 2 shown]
	s_waitcnt vmcnt(0)
	v_fmac_f32_e32 v1, v110, v88
	v_fmac_f32_e32 v81, v111, v88
	;; [unrolled: 1-line block ×4, first 2 shown]
	v_fma_f32 v85, -v73, v89, v6
	v_fmac_f32_e32 v79, v72, v89
	v_fma_f32 v84, -v75, v89, v7
	v_fmac_f32_e32 v61, v74, v89
	;; [unrolled: 2-line block ×4, first 2 shown]
	s_andn2_b32 exec_lo, exec_lo, s6
	s_cbranch_execnz .LBB54_33
; %bb.34:
	s_or_b32 exec_lo, exec_lo, s6
.LBB54_35:
	s_or_b32 exec_lo, exec_lo, s0
.LBB54_36:
	s_or_b32 exec_lo, exec_lo, s1
.LBB54_37:
	v_mbcnt_lo_u32_b32 v0, -1, 0
	v_or_b32_e32 v1, 32, v0
	v_xor_b32_e32 v9, 16, v0
	v_xor_b32_e32 v17, 8, v0
	v_cmp_gt_i32_e32 vcc_lo, 32, v1
	v_cndmask_b32_e32 v1, v0, v1, vcc_lo
	v_cmp_gt_i32_e32 vcc_lo, 32, v9
	v_lshlrev_b32_e32 v1, 2, v1
	v_cndmask_b32_e32 v9, v0, v9, vcc_lo
	v_cmp_gt_i32_e32 vcc_lo, 32, v17
	ds_bpermute_b32 v2, v1, v85
	ds_bpermute_b32 v3, v1, v79
	;; [unrolled: 1-line block ×8, first 2 shown]
	v_lshlrev_b32_e32 v9, 2, v9
	v_cndmask_b32_e32 v17, v0, v17, vcc_lo
	v_lshlrev_b32_e32 v17, 2, v17
	s_waitcnt lgkmcnt(7)
	v_add_f32_e32 v2, v85, v2
	s_waitcnt lgkmcnt(6)
	v_add_f32_e32 v3, v79, v3
	;; [unrolled: 2-line block ×8, first 2 shown]
	ds_bpermute_b32 v10, v9, v2
	ds_bpermute_b32 v11, v9, v3
	;; [unrolled: 1-line block ×8, first 2 shown]
	s_waitcnt lgkmcnt(7)
	v_add_f32_e32 v2, v2, v10
	s_waitcnt lgkmcnt(6)
	v_add_f32_e32 v3, v3, v11
	;; [unrolled: 2-line block ×8, first 2 shown]
	ds_bpermute_b32 v9, v17, v2
	ds_bpermute_b32 v10, v17, v3
	;; [unrolled: 1-line block ×8, first 2 shown]
	v_xor_b32_e32 v17, 4, v0
	v_cmp_gt_i32_e32 vcc_lo, 32, v17
	v_cndmask_b32_e32 v17, v0, v17, vcc_lo
	s_waitcnt lgkmcnt(7)
	v_add_f32_e32 v2, v2, v9
	s_waitcnt lgkmcnt(6)
	v_add_f32_e32 v3, v3, v10
	s_waitcnt lgkmcnt(5)
	v_add_f32_e32 v4, v4, v11
	v_lshlrev_b32_e32 v17, 2, v17
	s_waitcnt lgkmcnt(4)
	v_add_f32_e32 v5, v5, v12
	s_waitcnt lgkmcnt(3)
	v_add_f32_e32 v6, v6, v13
	;; [unrolled: 2-line block ×5, first 2 shown]
	ds_bpermute_b32 v9, v17, v2
	ds_bpermute_b32 v10, v17, v3
	;; [unrolled: 1-line block ×8, first 2 shown]
	v_xor_b32_e32 v17, 2, v0
	v_cmp_gt_i32_e32 vcc_lo, 32, v17
	v_cndmask_b32_e32 v17, v0, v17, vcc_lo
	s_waitcnt lgkmcnt(7)
	v_add_f32_e32 v2, v2, v9
	s_waitcnt lgkmcnt(6)
	v_add_f32_e32 v3, v3, v10
	;; [unrolled: 2-line block ×3, first 2 shown]
	v_lshlrev_b32_e32 v17, 2, v17
	s_waitcnt lgkmcnt(4)
	v_add_f32_e32 v5, v5, v12
	s_waitcnt lgkmcnt(3)
	v_add_f32_e32 v6, v6, v13
	;; [unrolled: 2-line block ×5, first 2 shown]
	ds_bpermute_b32 v1, v17, v2
	ds_bpermute_b32 v10, v17, v3
	;; [unrolled: 1-line block ×8, first 2 shown]
	v_xor_b32_e32 v17, 1, v0
	v_cmp_gt_i32_e32 vcc_lo, 32, v17
	v_cndmask_b32_e32 v0, v0, v17, vcc_lo
	v_cmp_eq_u32_e32 vcc_lo, 63, v78
	v_lshlrev_b32_e32 v17, 2, v0
	s_waitcnt lgkmcnt(7)
	v_add_f32_e32 v0, v2, v1
	s_waitcnt lgkmcnt(6)
	v_add_f32_e32 v1, v3, v10
	;; [unrolled: 2-line block ×8, first 2 shown]
	ds_bpermute_b32 v8, v17, v0
	ds_bpermute_b32 v9, v17, v1
	;; [unrolled: 1-line block ×8, first 2 shown]
	s_and_b32 exec_lo, exec_lo, vcc_lo
	s_cbranch_execz .LBB54_8
; %bb.38:
	s_load_dwordx2 s[2:3], s[4:5], 0x58
	s_waitcnt lgkmcnt(0)
	v_add_f32_e32 v8, v0, v8
	v_add_f32_e32 v0, v1, v9
	;; [unrolled: 1-line block ×7, first 2 shown]
	v_mul_f32_e64 v4, v0, -v55
	v_mul_f32_e32 v5, v54, v0
	v_add_f32_e32 v12, v6, v14
	v_mul_f32_e64 v6, v1, -v55
	v_mul_f32_e32 v7, v54, v1
	v_mul_f32_e64 v0, v2, -v55
	v_mul_f32_e32 v1, v54, v2
	;; [unrolled: 2-line block ×3, first 2 shown]
	v_cmp_eq_f32_e32 vcc_lo, 0, v52
	v_cmp_eq_f32_e64 s0, 0, v53
	v_fmac_f32_e32 v4, v54, v8
	v_fmac_f32_e32 v5, v55, v8
	v_lshlrev_b64 v[8:9], 5, v[56:57]
	v_fmac_f32_e32 v6, v54, v10
	v_fmac_f32_e32 v7, v55, v10
	;; [unrolled: 1-line block ×6, first 2 shown]
	s_and_b32 s0, vcc_lo, s0
	s_and_saveexec_b32 s1, s0
	s_xor_b32 s0, exec_lo, s1
	s_cbranch_execz .LBB54_40
; %bb.39:
	v_add_co_u32 v8, vcc_lo, s2, v8
	v_add_co_ci_u32_e64 v9, null, s3, v9, vcc_lo
                                        ; implicit-def: $vgpr52_vgpr53
	global_store_dwordx4 v[8:9], v[4:7], off
	global_store_dwordx4 v[8:9], v[0:3], off offset:16
                                        ; implicit-def: $vgpr4
                                        ; implicit-def: $vgpr8_vgpr9
                                        ; implicit-def: $vgpr0
.LBB54_40:
	s_andn2_saveexec_b32 s0, s0
	s_cbranch_execz .LBB54_8
; %bb.41:
	v_add_co_u32 v16, vcc_lo, s2, v8
	v_add_co_ci_u32_e64 v17, null, s3, v9, vcc_lo
	s_clause 0x1
	global_load_dwordx4 v[8:11], v[16:17], off
	global_load_dwordx4 v[12:15], v[16:17], off offset:16
	s_waitcnt vmcnt(1)
	v_fmac_f32_e32 v4, v52, v8
	v_fmac_f32_e32 v5, v53, v8
	;; [unrolled: 1-line block ×4, first 2 shown]
	s_waitcnt vmcnt(0)
	v_fmac_f32_e32 v0, v52, v12
	v_fmac_f32_e32 v1, v53, v12
	;; [unrolled: 1-line block ×4, first 2 shown]
	v_fma_f32 v4, -v53, v9, v4
	v_fmac_f32_e32 v5, v52, v9
	v_fma_f32 v6, -v53, v11, v6
	v_fmac_f32_e32 v7, v52, v11
	;; [unrolled: 2-line block ×4, first 2 shown]
	global_store_dwordx4 v[16:17], v[4:7], off
	global_store_dwordx4 v[16:17], v[0:3], off offset:16
	s_endpgm
	.section	.rodata,"a",@progbits
	.p2align	6, 0x0
	.amdhsa_kernel _ZN9rocsparseL18bsrxmvn_4x4_kernelILj128ELj64E21rocsparse_complex_numIfEllS2_S2_S2_EEvT3_20rocsparse_direction_NS_24const_host_device_scalarIT1_EES3_PKS3_PKT2_SC_S9_PKT4_PKT5_S7_PT6_21rocsparse_index_base_b
		.amdhsa_group_segment_fixed_size 0
		.amdhsa_private_segment_fixed_size 0
		.amdhsa_kernarg_size 104
		.amdhsa_user_sgpr_count 6
		.amdhsa_user_sgpr_private_segment_buffer 1
		.amdhsa_user_sgpr_dispatch_ptr 0
		.amdhsa_user_sgpr_queue_ptr 0
		.amdhsa_user_sgpr_kernarg_segment_ptr 1
		.amdhsa_user_sgpr_dispatch_id 0
		.amdhsa_user_sgpr_flat_scratch_init 0
		.amdhsa_user_sgpr_private_segment_size 0
		.amdhsa_wavefront_size32 1
		.amdhsa_uses_dynamic_stack 0
		.amdhsa_system_sgpr_private_segment_wavefront_offset 0
		.amdhsa_system_sgpr_workgroup_id_x 1
		.amdhsa_system_sgpr_workgroup_id_y 0
		.amdhsa_system_sgpr_workgroup_id_z 0
		.amdhsa_system_sgpr_workgroup_info 0
		.amdhsa_system_vgpr_workitem_id 0
		.amdhsa_next_free_vgpr 139
		.amdhsa_next_free_sgpr 16
		.amdhsa_reserve_vcc 1
		.amdhsa_reserve_flat_scratch 0
		.amdhsa_float_round_mode_32 0
		.amdhsa_float_round_mode_16_64 0
		.amdhsa_float_denorm_mode_32 3
		.amdhsa_float_denorm_mode_16_64 3
		.amdhsa_dx10_clamp 1
		.amdhsa_ieee_mode 1
		.amdhsa_fp16_overflow 0
		.amdhsa_workgroup_processor_mode 1
		.amdhsa_memory_ordered 1
		.amdhsa_forward_progress 1
		.amdhsa_shared_vgpr_count 0
		.amdhsa_exception_fp_ieee_invalid_op 0
		.amdhsa_exception_fp_denorm_src 0
		.amdhsa_exception_fp_ieee_div_zero 0
		.amdhsa_exception_fp_ieee_overflow 0
		.amdhsa_exception_fp_ieee_underflow 0
		.amdhsa_exception_fp_ieee_inexact 0
		.amdhsa_exception_int_div_zero 0
	.end_amdhsa_kernel
	.section	.text._ZN9rocsparseL18bsrxmvn_4x4_kernelILj128ELj64E21rocsparse_complex_numIfEllS2_S2_S2_EEvT3_20rocsparse_direction_NS_24const_host_device_scalarIT1_EES3_PKS3_PKT2_SC_S9_PKT4_PKT5_S7_PT6_21rocsparse_index_base_b,"axG",@progbits,_ZN9rocsparseL18bsrxmvn_4x4_kernelILj128ELj64E21rocsparse_complex_numIfEllS2_S2_S2_EEvT3_20rocsparse_direction_NS_24const_host_device_scalarIT1_EES3_PKS3_PKT2_SC_S9_PKT4_PKT5_S7_PT6_21rocsparse_index_base_b,comdat
.Lfunc_end54:
	.size	_ZN9rocsparseL18bsrxmvn_4x4_kernelILj128ELj64E21rocsparse_complex_numIfEllS2_S2_S2_EEvT3_20rocsparse_direction_NS_24const_host_device_scalarIT1_EES3_PKS3_PKT2_SC_S9_PKT4_PKT5_S7_PT6_21rocsparse_index_base_b, .Lfunc_end54-_ZN9rocsparseL18bsrxmvn_4x4_kernelILj128ELj64E21rocsparse_complex_numIfEllS2_S2_S2_EEvT3_20rocsparse_direction_NS_24const_host_device_scalarIT1_EES3_PKS3_PKT2_SC_S9_PKT4_PKT5_S7_PT6_21rocsparse_index_base_b
                                        ; -- End function
	.set _ZN9rocsparseL18bsrxmvn_4x4_kernelILj128ELj64E21rocsparse_complex_numIfEllS2_S2_S2_EEvT3_20rocsparse_direction_NS_24const_host_device_scalarIT1_EES3_PKS3_PKT2_SC_S9_PKT4_PKT5_S7_PT6_21rocsparse_index_base_b.num_vgpr, 139
	.set _ZN9rocsparseL18bsrxmvn_4x4_kernelILj128ELj64E21rocsparse_complex_numIfEllS2_S2_S2_EEvT3_20rocsparse_direction_NS_24const_host_device_scalarIT1_EES3_PKS3_PKT2_SC_S9_PKT4_PKT5_S7_PT6_21rocsparse_index_base_b.num_agpr, 0
	.set _ZN9rocsparseL18bsrxmvn_4x4_kernelILj128ELj64E21rocsparse_complex_numIfEllS2_S2_S2_EEvT3_20rocsparse_direction_NS_24const_host_device_scalarIT1_EES3_PKS3_PKT2_SC_S9_PKT4_PKT5_S7_PT6_21rocsparse_index_base_b.numbered_sgpr, 16
	.set _ZN9rocsparseL18bsrxmvn_4x4_kernelILj128ELj64E21rocsparse_complex_numIfEllS2_S2_S2_EEvT3_20rocsparse_direction_NS_24const_host_device_scalarIT1_EES3_PKS3_PKT2_SC_S9_PKT4_PKT5_S7_PT6_21rocsparse_index_base_b.num_named_barrier, 0
	.set _ZN9rocsparseL18bsrxmvn_4x4_kernelILj128ELj64E21rocsparse_complex_numIfEllS2_S2_S2_EEvT3_20rocsparse_direction_NS_24const_host_device_scalarIT1_EES3_PKS3_PKT2_SC_S9_PKT4_PKT5_S7_PT6_21rocsparse_index_base_b.private_seg_size, 0
	.set _ZN9rocsparseL18bsrxmvn_4x4_kernelILj128ELj64E21rocsparse_complex_numIfEllS2_S2_S2_EEvT3_20rocsparse_direction_NS_24const_host_device_scalarIT1_EES3_PKS3_PKT2_SC_S9_PKT4_PKT5_S7_PT6_21rocsparse_index_base_b.uses_vcc, 1
	.set _ZN9rocsparseL18bsrxmvn_4x4_kernelILj128ELj64E21rocsparse_complex_numIfEllS2_S2_S2_EEvT3_20rocsparse_direction_NS_24const_host_device_scalarIT1_EES3_PKS3_PKT2_SC_S9_PKT4_PKT5_S7_PT6_21rocsparse_index_base_b.uses_flat_scratch, 0
	.set _ZN9rocsparseL18bsrxmvn_4x4_kernelILj128ELj64E21rocsparse_complex_numIfEllS2_S2_S2_EEvT3_20rocsparse_direction_NS_24const_host_device_scalarIT1_EES3_PKS3_PKT2_SC_S9_PKT4_PKT5_S7_PT6_21rocsparse_index_base_b.has_dyn_sized_stack, 0
	.set _ZN9rocsparseL18bsrxmvn_4x4_kernelILj128ELj64E21rocsparse_complex_numIfEllS2_S2_S2_EEvT3_20rocsparse_direction_NS_24const_host_device_scalarIT1_EES3_PKS3_PKT2_SC_S9_PKT4_PKT5_S7_PT6_21rocsparse_index_base_b.has_recursion, 0
	.set _ZN9rocsparseL18bsrxmvn_4x4_kernelILj128ELj64E21rocsparse_complex_numIfEllS2_S2_S2_EEvT3_20rocsparse_direction_NS_24const_host_device_scalarIT1_EES3_PKS3_PKT2_SC_S9_PKT4_PKT5_S7_PT6_21rocsparse_index_base_b.has_indirect_call, 0
	.section	.AMDGPU.csdata,"",@progbits
; Kernel info:
; codeLenInByte = 7704
; TotalNumSgprs: 18
; NumVgprs: 139
; ScratchSize: 0
; MemoryBound: 0
; FloatMode: 240
; IeeeMode: 1
; LDSByteSize: 0 bytes/workgroup (compile time only)
; SGPRBlocks: 0
; VGPRBlocks: 17
; NumSGPRsForWavesPerEU: 18
; NumVGPRsForWavesPerEU: 139
; Occupancy: 7
; WaveLimiterHint : 1
; COMPUTE_PGM_RSRC2:SCRATCH_EN: 0
; COMPUTE_PGM_RSRC2:USER_SGPR: 6
; COMPUTE_PGM_RSRC2:TRAP_HANDLER: 0
; COMPUTE_PGM_RSRC2:TGID_X_EN: 1
; COMPUTE_PGM_RSRC2:TGID_Y_EN: 0
; COMPUTE_PGM_RSRC2:TGID_Z_EN: 0
; COMPUTE_PGM_RSRC2:TIDIG_COMP_CNT: 0
	.section	.text._ZN9rocsparseL18bsrxmvn_4x4_kernelILj128ELj4E21rocsparse_complex_numIdEllS2_S2_S2_EEvT3_20rocsparse_direction_NS_24const_host_device_scalarIT1_EES3_PKS3_PKT2_SC_S9_PKT4_PKT5_S7_PT6_21rocsparse_index_base_b,"axG",@progbits,_ZN9rocsparseL18bsrxmvn_4x4_kernelILj128ELj4E21rocsparse_complex_numIdEllS2_S2_S2_EEvT3_20rocsparse_direction_NS_24const_host_device_scalarIT1_EES3_PKS3_PKT2_SC_S9_PKT4_PKT5_S7_PT6_21rocsparse_index_base_b,comdat
	.globl	_ZN9rocsparseL18bsrxmvn_4x4_kernelILj128ELj4E21rocsparse_complex_numIdEllS2_S2_S2_EEvT3_20rocsparse_direction_NS_24const_host_device_scalarIT1_EES3_PKS3_PKT2_SC_S9_PKT4_PKT5_S7_PT6_21rocsparse_index_base_b ; -- Begin function _ZN9rocsparseL18bsrxmvn_4x4_kernelILj128ELj4E21rocsparse_complex_numIdEllS2_S2_S2_EEvT3_20rocsparse_direction_NS_24const_host_device_scalarIT1_EES3_PKS3_PKT2_SC_S9_PKT4_PKT5_S7_PT6_21rocsparse_index_base_b
	.p2align	8
	.type	_ZN9rocsparseL18bsrxmvn_4x4_kernelILj128ELj4E21rocsparse_complex_numIdEllS2_S2_S2_EEvT3_20rocsparse_direction_NS_24const_host_device_scalarIT1_EES3_PKS3_PKT2_SC_S9_PKT4_PKT5_S7_PT6_21rocsparse_index_base_b,@function
_ZN9rocsparseL18bsrxmvn_4x4_kernelILj128ELj4E21rocsparse_complex_numIdEllS2_S2_S2_EEvT3_20rocsparse_direction_NS_24const_host_device_scalarIT1_EES3_PKS3_PKT2_SC_S9_PKT4_PKT5_S7_PT6_21rocsparse_index_base_b: ; @_ZN9rocsparseL18bsrxmvn_4x4_kernelILj128ELj4E21rocsparse_complex_numIdEllS2_S2_S2_EEvT3_20rocsparse_direction_NS_24const_host_device_scalarIT1_EES3_PKS3_PKT2_SC_S9_PKT4_PKT5_S7_PT6_21rocsparse_index_base_b
; %bb.0:
	s_clause 0x1
	s_load_dwordx2 s[2:3], s[4:5], 0x70
	s_load_dwordx2 s[0:1], s[4:5], 0x10
	s_add_u32 s7, s4, 16
	s_addc_u32 s10, s5, 0
	s_add_u32 s11, s4, 0x58
	s_addc_u32 s12, s5, 0
	s_load_dwordx2 s[8:9], s[4:5], 0x58
	s_waitcnt lgkmcnt(0)
	s_bitcmp1_b32 s3, 0
	s_cselect_b32 s0, s7, s0
	s_cselect_b32 s1, s10, s1
	v_mov_b32_e32 v1, s0
	v_mov_b32_e32 v2, s1
	s_cselect_b32 s0, s11, s8
	s_cselect_b32 s1, s12, s9
	flat_load_dwordx4 v[5:8], v[1:2]
	v_mov_b32_e32 v1, s0
	v_mov_b32_e32 v2, s1
	flat_load_dwordx4 v[1:4], v[1:2]
	s_waitcnt vmcnt(1) lgkmcnt(1)
	v_cmp_eq_f64_e32 vcc_lo, 0, v[5:6]
	v_cmp_eq_f64_e64 s0, 0, v[7:8]
	s_and_b32 s3, vcc_lo, s0
	s_mov_b32 s0, -1
	s_and_saveexec_b32 s1, s3
	s_cbranch_execz .LBB55_2
; %bb.1:
	s_waitcnt vmcnt(0) lgkmcnt(0)
	v_cmp_neq_f64_e32 vcc_lo, 1.0, v[1:2]
	v_cmp_neq_f64_e64 s0, 0, v[3:4]
	s_or_b32 s0, vcc_lo, s0
	s_orn2_b32 s0, s0, exec_lo
.LBB55_2:
	s_or_b32 exec_lo, exec_lo, s1
	s_and_saveexec_b32 s1, s0
	s_cbranch_execz .LBB55_8
; %bb.3:
	s_load_dwordx2 s[0:1], s[4:5], 0x28
	v_lshrrev_b32_e32 v9, 2, v0
	v_mov_b32_e32 v10, 0
	v_lshl_or_b32 v9, s6, 5, v9
	s_waitcnt lgkmcnt(0)
	s_cmp_lg_u64 s[0:1], 0
	s_cbranch_scc0 .LBB55_9
; %bb.4:
	s_load_dwordx2 s[6:7], s[4:5], 0x20
                                        ; implicit-def: $vgpr89_vgpr90
                                        ; implicit-def: $vgpr91_vgpr92
	s_waitcnt lgkmcnt(0)
	v_cmp_gt_i64_e32 vcc_lo, s[6:7], v[9:10]
	s_mov_b32 s7, 0
	s_mov_b32 s6, 0
	s_and_saveexec_b32 s3, vcc_lo
	s_xor_b32 s8, exec_lo, s3
	s_cbranch_execz .LBB55_6
; %bb.5:
	v_lshlrev_b64 v[11:12], 3, v[9:10]
	s_mov_b32 s3, 0
	s_mov_b32 s6, exec_lo
	v_mov_b32_e32 v92, s3
	v_mov_b32_e32 v91, s2
	v_add_co_u32 v11, vcc_lo, s0, v11
	v_add_co_ci_u32_e64 v12, null, s1, v12, vcc_lo
	global_load_dwordx2 v[11:12], v[11:12], off
	s_waitcnt vmcnt(0)
	v_sub_co_u32 v89, vcc_lo, v11, s2
	v_subrev_co_ci_u32_e64 v90, null, 0, v12, vcc_lo
.LBB55_6:
	s_or_b32 exec_lo, exec_lo, s8
	s_and_b32 vcc_lo, exec_lo, s7
	s_cbranch_vccnz .LBB55_10
.LBB55_7:
	s_and_b32 exec_lo, exec_lo, s6
	s_cbranch_execnz .LBB55_13
.LBB55_8:
	s_endpgm
.LBB55_9:
	s_mov_b32 s6, 0
                                        ; implicit-def: $vgpr89_vgpr90
                                        ; implicit-def: $vgpr91_vgpr92
	s_cbranch_execz .LBB55_7
.LBB55_10:
	s_load_dwordx2 s[0:1], s[4:5], 0x0
	s_waitcnt lgkmcnt(0)
	v_cmp_gt_i64_e32 vcc_lo, s[0:1], v[9:10]
	s_and_saveexec_b32 s0, vcc_lo
; %bb.11:
	s_mov_b32 s3, 0
	s_or_b32 s6, s6, exec_lo
; %bb.12:
	s_or_b32 exec_lo, exec_lo, s0
	v_mov_b32_e32 v92, s3
	v_mov_b32_e32 v90, v10
	;; [unrolled: 1-line block ×4, first 2 shown]
	s_and_b32 exec_lo, exec_lo, s6
	s_cbranch_execz .LBB55_8
.LBB55_13:
	s_load_dwordx8 s[8:15], s[4:5], 0x30
	v_lshlrev_b64 v[9:10], 3, v[89:90]
	v_and_b32_e32 v0, 3, v0
	s_clause 0x1
	s_load_dword s1, s[4:5], 0x8
	s_load_dwordx2 s[2:3], s[4:5], 0x50
	s_waitcnt lgkmcnt(0)
	v_add_co_u32 v11, vcc_lo, s8, v9
	v_add_co_ci_u32_e64 v12, null, s9, v10, vcc_lo
	v_add_co_u32 v9, vcc_lo, s10, v9
	v_add_co_ci_u32_e64 v10, null, s11, v10, vcc_lo
	v_add_co_u32 v13, vcc_lo, v11, 8
	v_add_co_ci_u32_e64 v14, null, 0, v12, vcc_lo
	global_load_dwordx2 v[115:116], v[11:12], off
	s_cmp_eq_u64 s[10:11], 0
	s_cselect_b32 vcc_lo, -1, 0
	s_cmp_eq_u32 s1, 1
	v_cndmask_b32_e32 v10, v10, v14, vcc_lo
	v_cndmask_b32_e32 v9, v9, v13, vcc_lo
	global_load_dwordx2 v[9:10], v[9:10], off
	s_waitcnt vmcnt(1)
	v_sub_co_u32 v11, vcc_lo, v115, v91
	v_sub_co_ci_u32_e64 v12, null, v116, v92, vcc_lo
	v_add_co_u32 v93, vcc_lo, v11, v0
	v_add_co_ci_u32_e64 v94, null, 0, v12, vcc_lo
	s_waitcnt vmcnt(0)
	v_sub_co_u32 v95, vcc_lo, v9, v91
	v_sub_co_ci_u32_e64 v96, null, v10, v92, vcc_lo
	v_lshlrev_b64 v[9:10], 8, v[93:94]
	v_cmp_lt_i64_e64 s0, v[93:94], v[95:96]
	v_add_co_u32 v97, vcc_lo, s14, v9
	v_add_co_ci_u32_e64 v98, null, s15, v10, vcc_lo
	s_cbranch_scc1 .LBB55_25
; %bb.14:
	v_mov_b32_e32 v109, 0
	v_mov_b32_e32 v111, 0
	;; [unrolled: 1-line block ×16, first 2 shown]
	s_and_saveexec_b32 s6, s0
	s_cbranch_execz .LBB55_24
; %bb.15:
	v_or_b32_e32 v9, 4, v0
	v_not_b32_e32 v13, v115
	v_not_b32_e32 v11, v116
	v_mov_b32_e32 v103, 0
	v_mov_b32_e32 v113, 0
	v_sub_co_u32 v9, vcc_lo, v9, v91
	v_sub_co_ci_u32_e64 v10, null, 0, v92, vcc_lo
	v_mov_b32_e32 v105, 0
	v_add_co_u32 v9, vcc_lo, v9, v115
	v_add_co_ci_u32_e64 v10, null, v10, v116, vcc_lo
	v_sub_co_u32 v14, vcc_lo, v91, v0
	v_subrev_co_ci_u32_e64 v15, null, 0, v92, vcc_lo
	v_cmp_gt_i64_e32 vcc_lo, v[9:10], v[95:96]
	v_add_co_u32 v13, s1, v14, v13
	v_add_co_ci_u32_e64 v11, null, v15, v11, s1
	v_mov_b32_e32 v107, 0
	v_cndmask_b32_e32 v9, v95, v9, vcc_lo
	v_cndmask_b32_e32 v10, v96, v10, vcc_lo
	v_mov_b32_e32 v101, 0
	v_mov_b32_e32 v99, 0
	;; [unrolled: 1-line block ×3, first 2 shown]
	v_add_co_u32 v9, vcc_lo, v13, v9
	v_mov_b32_e32 v109, 0
	v_mov_b32_e32 v120, v98
	;; [unrolled: 1-line block ×8, first 2 shown]
	v_add_co_ci_u32_e64 v10, null, v11, v10, vcc_lo
	v_and_b32_e32 v11, 12, v9
	v_mov_b32_e32 v102, 0
	v_mov_b32_e32 v100, 0
	;; [unrolled: 1-line block ×6, first 2 shown]
	s_mov_b32 s7, exec_lo
	v_cmpx_ne_u64_e32 12, v[11:12]
	s_cbranch_execz .LBB55_19
; %bb.16:
	v_lshrrev_b32_e32 v13, 2, v9
	v_lshlrev_b64 v[11:12], 3, v[93:94]
	v_mov_b32_e32 v109, 0
	v_mov_b32_e32 v118, v94
	;; [unrolled: 1-line block ×3, first 2 shown]
	v_add_nc_u32_e32 v13, 1, v13
	v_mov_b32_e32 v99, 0
	v_add_co_u32 v11, vcc_lo, s12, v11
	v_mov_b32_e32 v101, 0
	v_and_b32_e32 v13, 3, v13
	v_mov_b32_e32 v107, 0
	v_mov_b32_e32 v105, 0
	;; [unrolled: 1-line block ×4, first 2 shown]
	v_sub_co_u32 v13, s1, 0, v13
	v_mov_b32_e32 v120, v98
	v_mov_b32_e32 v110, 0
	;; [unrolled: 1-line block ×5, first 2 shown]
	v_add_co_ci_u32_e64 v12, null, s13, v12, vcc_lo
	v_sub_co_ci_u32_e64 v14, null, 0, 0, s1
	v_mov_b32_e32 v102, 0
	v_mov_b32_e32 v108, 0
	;; [unrolled: 1-line block ×6, first 2 shown]
	s_mov_b32 s8, 0
.LBB55_17:                              ; =>This Inner Loop Header: Depth=1
	global_load_dwordx2 v[43:44], v[11:12], off
	s_clause 0x6
	global_load_dwordx4 v[15:18], v[119:120], off offset:16
	global_load_dwordx4 v[19:22], v[119:120], off
	global_load_dwordx4 v[23:26], v[119:120], off offset:80
	global_load_dwordx4 v[27:30], v[119:120], off offset:64
	;; [unrolled: 1-line block ×5, first 2 shown]
	v_add_co_u32 v11, s1, v11, 32
	v_add_co_ci_u32_e64 v12, null, 0, v12, s1
	s_waitcnt vmcnt(7)
	v_sub_co_u32 v43, vcc_lo, v43, v91
	v_sub_co_ci_u32_e64 v44, null, v44, v92, vcc_lo
	v_lshlrev_b64 v[43:44], 6, v[43:44]
	v_add_co_u32 v87, vcc_lo, s2, v43
	v_add_co_ci_u32_e64 v88, null, s3, v44, vcc_lo
	global_load_dwordx4 v[43:46], v[87:88], off
	global_load_dwordx4 v[47:50], v[119:120], off offset:208
	global_load_dwordx4 v[51:54], v[87:88], off offset:16
	s_clause 0x6
	global_load_dwordx4 v[55:58], v[119:120], off offset:48
	global_load_dwordx4 v[59:62], v[119:120], off offset:32
	;; [unrolled: 1-line block ×10, first 2 shown]
	v_add_co_u32 v119, vcc_lo, 0x400, v119
	v_add_co_ci_u32_e64 v120, null, 0, v120, vcc_lo
	v_add_co_u32 v13, vcc_lo, v13, 1
	v_add_co_ci_u32_e64 v14, null, 0, v14, vcc_lo
	v_add_co_u32 v117, vcc_lo, v117, 4
	v_add_co_ci_u32_e64 v118, null, 0, v118, vcc_lo
	v_cmp_eq_u64_e32 vcc_lo, 0, v[13:14]
	s_or_b32 s8, vcc_lo, s8
	s_waitcnt vmcnt(12)
	v_fma_f64 v[87:88], v[19:20], v[43:44], v[111:112]
	v_fma_f64 v[109:110], v[21:22], v[43:44], v[109:110]
	v_fma_f64 v[111:112], v[27:28], v[43:44], v[113:114]
	v_fma_f64 v[103:104], v[29:30], v[43:44], v[103:104]
	v_fma_f64 v[107:108], v[35:36], v[43:44], v[107:108]
	v_fma_f64 v[105:106], v[37:38], v[43:44], v[105:106]
	v_fma_f64 v[99:100], v[39:40], v[43:44], v[99:100]
	v_fma_f64 v[43:44], v[41:42], v[43:44], v[101:102]
	v_fma_f64 v[21:22], -v[21:22], v[45:46], v[87:88]
	v_fma_f64 v[19:20], v[19:20], v[45:46], v[109:110]
	v_fma_f64 v[29:30], -v[29:30], v[45:46], v[111:112]
	v_fma_f64 v[27:28], v[27:28], v[45:46], v[103:104]
	v_fma_f64 v[37:38], -v[37:38], v[45:46], v[107:108]
	v_fma_f64 v[35:36], v[35:36], v[45:46], v[105:106]
	v_fma_f64 v[41:42], -v[41:42], v[45:46], v[99:100]
	v_fma_f64 v[39:40], v[39:40], v[45:46], v[43:44]
	s_waitcnt vmcnt(10)
	v_fma_f64 v[21:22], v[15:16], v[51:52], v[21:22]
	v_fma_f64 v[19:20], v[17:18], v[51:52], v[19:20]
	v_fma_f64 v[29:30], v[23:24], v[51:52], v[29:30]
	v_fma_f64 v[27:28], v[25:26], v[51:52], v[27:28]
	v_fma_f64 v[37:38], v[31:32], v[51:52], v[37:38]
	v_fma_f64 v[35:36], v[33:34], v[51:52], v[35:36]
	v_fma_f64 v[41:42], v[47:48], v[51:52], v[41:42]
	v_fma_f64 v[39:40], v[49:50], v[51:52], v[39:40]
	v_fma_f64 v[17:18], -v[17:18], v[53:54], v[21:22]
	v_fma_f64 v[15:16], v[15:16], v[53:54], v[19:20]
	v_fma_f64 v[19:20], -v[25:26], v[53:54], v[29:30]
	v_fma_f64 v[21:22], v[23:24], v[53:54], v[27:28]
	v_fma_f64 v[23:24], -v[33:34], v[53:54], v[37:38]
	v_fma_f64 v[25:26], v[31:32], v[53:54], v[35:36]
	v_fma_f64 v[27:28], -v[49:50], v[53:54], v[41:42]
	v_fma_f64 v[29:30], v[47:48], v[53:54], v[39:40]
	;; [unrolled: 17-line block ×4, first 2 shown]
	s_andn2_b32 exec_lo, exec_lo, s8
	s_cbranch_execnz .LBB55_17
; %bb.18:
	s_or_b32 exec_lo, exec_lo, s8
.LBB55_19:
	s_or_b32 exec_lo, exec_lo, s7
	s_mov_b32 s7, exec_lo
	v_cmpx_lt_u64_e32 11, v[9:10]
	s_cbranch_execz .LBB55_23
; %bb.20:
	v_lshlrev_b64 v[9:10], 3, v[117:118]
	s_mov_b32 s8, 0
	v_add_co_u32 v9, vcc_lo, s12, v9
	v_add_co_ci_u32_e64 v10, null, s13, v10, vcc_lo
	v_add_co_u32 v121, vcc_lo, v9, 64
	v_add_co_ci_u32_e64 v122, null, 0, v10, vcc_lo
.LBB55_21:                              ; =>This Inner Loop Header: Depth=1
	global_load_dwordx2 v[123:124], v[121:122], off offset:-64
	s_clause 0x13
	global_load_dwordx4 v[17:20], v[119:120], off offset:48
	global_load_dwordx4 v[21:24], v[119:120], off offset:32
	;; [unrolled: 1-line block ×3, first 2 shown]
	global_load_dwordx4 v[61:64], v[119:120], off
	global_load_dwordx4 v[25:28], v[119:120], off offset:112
	global_load_dwordx4 v[45:48], v[119:120], off offset:96
	global_load_dwordx4 v[57:60], v[119:120], off offset:80
	global_load_dwordx4 v[77:80], v[119:120], off offset:64
	global_load_dwordx4 v[29:32], v[119:120], off offset:176
	global_load_dwordx4 v[49:52], v[119:120], off offset:160
	global_load_dwordx4 v[69:72], v[119:120], off offset:144
	global_load_dwordx4 v[85:88], v[119:120], off offset:128
	global_load_dwordx4 v[41:44], v[119:120], off offset:240
	global_load_dwordx4 v[65:68], v[119:120], off offset:224
	global_load_dwordx4 v[73:76], v[119:120], off offset:208
	global_load_dwordx4 v[129:132], v[119:120], off offset:192
	global_load_dwordx4 v[9:12], v[119:120], off offset:1072
	global_load_dwordx4 v[13:16], v[119:120], off offset:1056
	global_load_dwordx4 v[33:36], v[119:120], off offset:1040
	global_load_dwordx4 v[53:56], v[119:120], off offset:1024
	s_clause 0x2
	global_load_dwordx2 v[169:170], v[121:122], off offset:-32
	global_load_dwordx2 v[127:128], v[121:122], off
	global_load_dwordx2 v[125:126], v[121:122], off offset:32
	s_clause 0x7
	global_load_dwordx4 v[81:84], v[119:120], off offset:1136
	global_load_dwordx4 v[133:136], v[119:120], off offset:1120
	;; [unrolled: 1-line block ×8, first 2 shown]
	s_waitcnt vmcnt(31)
	v_sub_co_u32 v123, vcc_lo, v123, v91
	v_sub_co_ci_u32_e64 v124, null, v124, v92, vcc_lo
	v_lshlrev_b64 v[123:124], 6, v[123:124]
	v_add_co_u32 v123, vcc_lo, s2, v123
	v_add_co_ci_u32_e64 v124, null, s3, v124, vcc_lo
	s_clause 0x1
	global_load_dwordx4 v[161:164], v[123:124], off
	global_load_dwordx4 v[165:168], v[123:124], off offset:16
	s_waitcnt vmcnt(1)
	v_fma_f64 v[109:110], v[63:64], v[161:162], v[109:110]
	v_fma_f64 v[111:112], v[61:62], v[161:162], v[111:112]
	;; [unrolled: 1-line block ×9, first 2 shown]
	v_fma_f64 v[63:64], -v[63:64], v[163:164], v[111:112]
	v_fma_f64 v[131:132], -v[131:132], v[163:164], v[99:100]
	v_fma_f64 v[129:130], v[129:130], v[163:164], v[101:102]
	global_load_dwordx4 v[109:112], v[119:120], off offset:1264
	v_fma_f64 v[113:114], -v[79:80], v[163:164], v[61:62]
	v_fma_f64 v[61:62], v[85:86], v[161:162], v[107:108]
	v_fma_f64 v[175:176], v[85:86], v[163:164], v[103:104]
	s_waitcnt vmcnt(1)
	v_fma_f64 v[63:64], v[37:38], v[165:166], v[63:64]
	v_fma_f64 v[161:162], v[39:40], v[165:166], v[171:172]
	;; [unrolled: 1-line block ×4, first 2 shown]
	global_load_dwordx4 v[77:80], v[119:120], off offset:1248
	v_fma_f64 v[113:114], v[57:58], v[165:166], v[113:114]
	v_fma_f64 v[107:108], -v[87:88], v[163:164], v[61:62]
	v_fma_f64 v[163:164], v[59:60], v[165:166], v[173:174]
	v_fma_f64 v[171:172], v[71:72], v[165:166], v[175:176]
	v_add_co_u32 v61, vcc_lo, 0x800, v119
	v_add_co_ci_u32_e64 v62, null, 0, v120, vcc_lo
	s_clause 0x2
	global_load_dwordx4 v[85:88], v[119:120], off offset:1232
	global_load_dwordx4 v[99:102], v[119:120], off offset:1216
	global_load_dwordx4 v[103:106], v[61:62], off
	v_fma_f64 v[63:64], -v[39:40], v[167:168], v[63:64]
	v_fma_f64 v[161:162], v[37:38], v[167:168], v[161:162]
	global_load_dwordx4 v[37:40], v[61:62], off offset:48
	v_sub_co_u32 v169, vcc_lo, v169, v91
	v_sub_co_ci_u32_e64 v170, null, v170, v92, vcc_lo
	v_add_co_u32 v119, s1, 0x1000, v119
	v_add_co_ci_u32_e64 v120, null, 0, v120, s1
	v_fma_f64 v[113:114], -v[59:60], v[167:168], v[113:114]
	v_fma_f64 v[107:108], v[69:70], v[165:166], v[107:108]
	v_fma_f64 v[163:164], v[57:58], v[167:168], v[163:164]
	global_load_dwordx4 v[57:60], v[61:62], off offset:32
	v_fma_f64 v[171:172], v[69:70], v[167:168], v[171:172]
	v_fma_f64 v[165:166], -v[75:76], v[167:168], v[131:132]
	v_lshlrev_b64 v[169:170], 6, v[169:170]
	v_add_co_u32 v169, vcc_lo, s2, v169
	v_add_co_ci_u32_e64 v170, null, s3, v170, vcc_lo
	v_sub_co_u32 v127, vcc_lo, v127, v91
	v_sub_co_ci_u32_e64 v128, null, v128, v92, vcc_lo
	v_lshlrev_b64 v[127:128], 6, v[127:128]
	v_fma_f64 v[107:108], -v[71:72], v[167:168], v[107:108]
	global_load_dwordx4 v[69:72], v[61:62], off offset:16
	v_fma_f64 v[167:168], v[73:74], v[167:168], v[129:130]
	s_clause 0x1
	global_load_dwordx4 v[73:76], v[123:124], off offset:32
	global_load_dwordx4 v[129:132], v[123:124], off offset:48
	s_waitcnt vmcnt(1)
	v_fma_f64 v[63:64], v[21:22], v[73:74], v[63:64]
	v_fma_f64 v[123:124], v[23:24], v[73:74], v[161:162]
	v_fma_f64 v[161:162], -v[23:24], v[75:76], v[63:64]
	v_fma_f64 v[63:64], v[45:46], v[73:74], v[113:114]
	v_fma_f64 v[113:114], v[47:48], v[73:74], v[163:164]
	;; [unrolled: 1-line block ×3, first 2 shown]
	global_load_dwordx4 v[21:24], v[61:62], off offset:112
	s_waitcnt vmcnt(1)
	v_fma_f64 v[161:162], v[17:18], v[129:130], v[161:162]
	v_fma_f64 v[163:164], -v[47:48], v[75:76], v[63:64]
	v_fma_f64 v[63:64], v[49:50], v[73:74], v[107:108]
	v_fma_f64 v[107:108], v[51:52], v[73:74], v[171:172]
	v_fma_f64 v[113:114], v[45:46], v[75:76], v[113:114]
	v_fma_f64 v[123:124], v[19:20], v[129:130], v[123:124]
	global_load_dwordx4 v[45:48], v[61:62], off offset:96
	v_fma_f64 v[161:162], -v[19:20], v[131:132], v[161:162]
	v_fma_f64 v[163:164], v[25:26], v[129:130], v[163:164]
	v_fma_f64 v[171:172], -v[51:52], v[75:76], v[63:64]
	v_fma_f64 v[63:64], v[65:66], v[73:74], v[165:166]
	v_fma_f64 v[73:74], v[67:68], v[73:74], v[167:168]
	;; [unrolled: 1-line block ×4, first 2 shown]
	global_load_dwordx4 v[49:52], v[61:62], off offset:80
	v_fma_f64 v[123:124], v[17:18], v[131:132], v[123:124]
	v_fma_f64 v[163:164], -v[27:28], v[131:132], v[163:164]
	v_fma_f64 v[167:168], v[29:30], v[129:130], v[171:172]
	v_fma_f64 v[67:68], -v[67:68], v[75:76], v[63:64]
	v_fma_f64 v[165:166], v[65:66], v[75:76], v[73:74]
	v_fma_f64 v[107:108], v[31:32], v[129:130], v[107:108]
	s_clause 0x2
	global_load_dwordx4 v[63:66], v[61:62], off offset:64
	global_load_dwordx4 v[73:76], v[61:62], off offset:176
	;; [unrolled: 1-line block ×3, first 2 shown]
	v_fma_f64 v[113:114], v[25:26], v[131:132], v[113:114]
	global_load_dwordx4 v[25:28], v[61:62], off offset:144
	v_fma_f64 v[167:168], -v[31:32], v[131:132], v[167:168]
	v_fma_f64 v[67:68], v[41:42], v[129:130], v[67:68]
	v_fma_f64 v[129:130], v[43:44], v[129:130], v[165:166]
	;; [unrolled: 1-line block ×3, first 2 shown]
	global_load_dwordx4 v[29:32], v[61:62], off offset:128
	v_fma_f64 v[67:68], -v[43:44], v[131:132], v[67:68]
	v_fma_f64 v[165:166], v[41:42], v[131:132], v[129:130]
	s_clause 0x1
	global_load_dwordx4 v[41:44], v[169:170], off
	global_load_dwordx4 v[129:132], v[169:170], off offset:16
	s_waitcnt vmcnt(1)
	v_fma_f64 v[161:162], v[53:54], v[41:42], v[161:162]
	v_fma_f64 v[163:164], v[141:142], v[41:42], v[163:164]
	;; [unrolled: 1-line block ×8, first 2 shown]
	v_fma_f64 v[161:162], -v[55:56], v[43:44], v[161:162]
	v_fma_f64 v[163:164], -v[143:144], v[43:44], v[163:164]
	v_fma_f64 v[123:124], v[53:54], v[43:44], v[123:124]
	v_fma_f64 v[113:114], v[141:142], v[43:44], v[113:114]
	v_fma_f64 v[167:168], -v[159:160], v[43:44], v[167:168]
	v_fma_f64 v[107:108], v[157:158], v[43:44], v[107:108]
	v_fma_f64 v[67:68], -v[101:102], v[43:44], v[67:68]
	v_fma_f64 v[165:166], v[99:100], v[43:44], v[41:42]
	s_clause 0x4
	global_load_dwordx4 v[53:56], v[61:62], off offset:240
	global_load_dwordx4 v[141:144], v[61:62], off offset:224
	;; [unrolled: 1-line block ×5, first 2 shown]
	s_waitcnt vmcnt(5)
	v_fma_f64 v[161:162], v[33:34], v[129:130], v[161:162]
	v_fma_f64 v[123:124], v[35:36], v[129:130], v[123:124]
	;; [unrolled: 1-line block ×5, first 2 shown]
	v_fma_f64 v[171:172], -v[35:36], v[131:132], v[161:162]
	v_fma_f64 v[161:162], v[137:138], v[129:130], v[163:164]
	v_fma_f64 v[123:124], v[33:34], v[131:132], v[123:124]
	global_load_dwordx4 v[33:36], v[61:62], off offset:1056
	v_fma_f64 v[113:114], v[137:138], v[131:132], v[113:114]
	v_fma_f64 v[107:108], v[153:154], v[131:132], v[107:108]
	v_fma_f64 v[67:68], -v[87:88], v[131:132], v[67:68]
	v_fma_f64 v[173:174], -v[139:140], v[131:132], v[161:162]
	v_fma_f64 v[161:162], v[153:154], v[129:130], v[167:168]
	v_fma_f64 v[129:130], v[87:88], v[129:130], v[165:166]
	global_load_dwordx4 v[137:140], v[61:62], off offset:1040
	v_fma_f64 v[167:168], -v[155:156], v[131:132], v[161:162]
	global_load_dwordx4 v[153:156], v[61:62], off offset:1024
	v_fma_f64 v[165:166], v[85:86], v[131:132], v[129:130]
	global_load_dwordx4 v[85:88], v[61:62], off offset:1104
	s_clause 0x1
	global_load_dwordx4 v[129:132], v[169:170], off offset:32
	global_load_dwordx4 v[161:164], v[169:170], off offset:48
	s_waitcnt vmcnt(1)
	v_fma_f64 v[169:170], v[13:14], v[129:130], v[171:172]
	v_fma_f64 v[123:124], v[15:16], v[129:130], v[123:124]
	;; [unrolled: 1-line block ×8, first 2 shown]
	v_add_co_u32 v165, vcc_lo, s2, v127
	v_add_co_ci_u32_e64 v166, null, s3, v128, vcc_lo
	v_sub_co_u32 v125, vcc_lo, v125, v91
	v_sub_co_ci_u32_e64 v126, null, v126, v92, vcc_lo
	v_lshlrev_b64 v[125:126], 6, v[125:126]
	v_fma_f64 v[169:170], -v[15:16], v[131:132], v[169:170]
	v_fma_f64 v[123:124], v[13:14], v[131:132], v[123:124]
	v_fma_f64 v[171:172], -v[135:136], v[131:132], v[171:172]
	v_fma_f64 v[113:114], v[133:134], v[131:132], v[113:114]
	;; [unrolled: 2-line block ×4, first 2 shown]
	global_load_dwordx4 v[127:130], v[165:166], off
	s_clause 0x3
	global_load_dwordx4 v[13:16], v[61:62], off offset:1088
	global_load_dwordx4 v[149:152], v[61:62], off offset:1152
	;; [unrolled: 1-line block ×4, first 2 shown]
	s_waitcnt vmcnt(5)
	v_fma_f64 v[169:170], v[9:10], v[161:162], v[169:170]
	v_fma_f64 v[123:124], v[11:12], v[161:162], v[123:124]
	;; [unrolled: 1-line block ×7, first 2 shown]
	v_fma_f64 v[169:170], -v[11:12], v[163:164], v[169:170]
	v_fma_f64 v[123:124], v[9:10], v[163:164], v[123:124]
	global_load_dwordx4 v[9:12], v[165:166], off offset:16
	v_fma_f64 v[171:172], -v[83:84], v[163:164], v[171:172]
	v_fma_f64 v[167:168], -v[147:148], v[163:164], v[167:168]
	v_fma_f64 v[173:174], v[145:146], v[163:164], v[107:108]
	global_load_dwordx4 v[145:148], v[165:166], off offset:32
	v_fma_f64 v[107:108], v[111:112], v[161:162], v[131:132]
	v_fma_f64 v[113:114], v[81:82], v[163:164], v[113:114]
	global_load_dwordx4 v[81:84], v[61:62], off offset:1216
	v_fma_f64 v[67:68], -v[111:112], v[163:164], v[67:68]
	v_fma_f64 v[111:112], v[109:110], v[163:164], v[107:108]
	s_clause 0x1
	global_load_dwordx4 v[161:164], v[61:62], off offset:1136
	global_load_dwordx4 v[107:110], v[61:62], off offset:1120
	s_waitcnt vmcnt(9)
	v_fma_f64 v[131:132], v[103:104], v[127:128], v[169:170]
	v_fma_f64 v[123:124], v[105:106], v[127:128], v[123:124]
	;; [unrolled: 1-line block ×5, first 2 shown]
	v_fma_f64 v[131:132], -v[105:106], v[129:130], v[131:132]
	v_fma_f64 v[123:124], v[103:104], v[129:130], v[123:124]
	global_load_dwordx4 v[103:106], v[165:166], off offset:48
	v_add_co_u32 v165, vcc_lo, s2, v125
	v_add_co_ci_u32_e64 v166, null, s3, v126, vcc_lo
	v_fma_f64 v[125:126], v[63:64], v[127:128], v[171:172]
	v_fma_f64 v[169:170], v[63:64], v[129:130], v[113:114]
	v_fma_f64 v[113:114], v[29:30], v[127:128], v[167:168]
	v_fma_f64 v[167:168], v[31:32], v[127:128], v[173:174]
	v_fma_f64 v[127:128], -v[43:44], v[129:130], v[67:68]
	v_add_co_u32 v117, vcc_lo, v117, 16
	v_add_co_ci_u32_e64 v118, null, 0, v118, vcc_lo
	v_add_co_u32 v121, vcc_lo, 0x80, v121
	v_add_co_ci_u32_e64 v122, null, 0, v122, vcc_lo
	v_cmp_ge_i64_e32 vcc_lo, v[117:118], v[95:96]
	s_waitcnt vmcnt(5)
	v_fma_f64 v[67:68], v[69:70], v[9:10], v[131:132]
	v_fma_f64 v[123:124], v[71:72], v[9:10], v[123:124]
	s_or_b32 s8, vcc_lo, s8
	v_fma_f64 v[125:126], -v[65:66], v[129:130], v[125:126]
	global_load_dwordx4 v[63:66], v[165:166], off
	v_fma_f64 v[171:172], -v[31:32], v[129:130], v[113:114]
	v_fma_f64 v[167:168], v[29:30], v[129:130], v[167:168]
	global_load_dwordx4 v[29:32], v[165:166], off offset:16
	v_fma_f64 v[129:130], v[41:42], v[129:130], v[111:112]
	s_clause 0x1
	global_load_dwordx4 v[41:44], v[61:62], off offset:1184
	global_load_dwordx4 v[111:114], v[61:62], off offset:1248
	v_fma_f64 v[127:128], v[157:158], v[9:10], v[127:128]
	v_fma_f64 v[71:72], -v[71:72], v[11:12], v[67:68]
	v_fma_f64 v[131:132], v[69:70], v[11:12], v[123:124]
	global_load_dwordx4 v[67:70], v[165:166], off offset:32
	v_fma_f64 v[123:124], v[49:50], v[9:10], v[125:126]
	v_fma_f64 v[125:126], v[51:52], v[9:10], v[169:170]
	;; [unrolled: 1-line block ×3, first 2 shown]
	v_fma_f64 v[127:128], -v[159:160], v[11:12], v[127:128]
	v_fma_f64 v[169:170], -v[51:52], v[11:12], v[123:124]
	v_fma_f64 v[173:174], v[49:50], v[11:12], v[125:126]
	s_clause 0x1
	global_load_dwordx4 v[49:52], v[61:62], off offset:1200
	global_load_dwordx4 v[123:126], v[61:62], off offset:1264
	v_fma_f64 v[61:62], v[25:26], v[9:10], v[171:172]
	v_fma_f64 v[167:168], v[25:26], v[11:12], v[167:168]
	;; [unrolled: 1-line block ×3, first 2 shown]
	s_waitcnt vmcnt(11)
	v_fma_f64 v[127:128], v[141:142], v[145:146], v[127:128]
	v_fma_f64 v[129:130], v[45:46], v[145:146], v[169:170]
	v_fma_f64 v[61:62], -v[27:28], v[11:12], v[61:62]
	global_load_dwordx4 v[25:28], v[165:166], off offset:48
	v_fma_f64 v[9:10], v[157:158], v[11:12], v[9:10]
	v_fma_f64 v[11:12], v[57:58], v[145:146], v[71:72]
	;; [unrolled: 1-line block ×5, first 2 shown]
	v_fma_f64 v[47:48], -v[47:48], v[147:148], v[129:130]
	v_fma_f64 v[61:62], v[17:18], v[145:146], v[61:62]
	v_fma_f64 v[9:10], v[143:144], v[145:146], v[9:10]
	v_fma_f64 v[11:12], -v[59:60], v[147:148], v[11:12]
	v_fma_f64 v[57:58], v[57:58], v[147:148], v[71:72]
	v_fma_f64 v[45:46], v[45:46], v[147:148], v[131:132]
	v_fma_f64 v[17:18], v[17:18], v[147:148], v[157:158]
	v_fma_f64 v[59:60], -v[143:144], v[147:148], v[127:128]
	v_fma_f64 v[19:20], -v[19:20], v[147:148], v[61:62]
	v_fma_f64 v[9:10], v[141:142], v[147:148], v[9:10]
	s_waitcnt vmcnt(8)
	v_fma_f64 v[11:12], v[37:38], v[103:104], v[11:12]
	v_fma_f64 v[57:58], v[39:40], v[103:104], v[57:58]
	v_fma_f64 v[47:48], v[21:22], v[103:104], v[47:48]
	v_fma_f64 v[45:46], v[23:24], v[103:104], v[45:46]
	v_fma_f64 v[19:20], v[73:74], v[103:104], v[19:20]
	v_fma_f64 v[17:18], v[75:76], v[103:104], v[17:18]
	v_fma_f64 v[59:60], v[53:54], v[103:104], v[59:60]
	v_fma_f64 v[9:10], v[55:56], v[103:104], v[9:10]
	v_fma_f64 v[11:12], -v[39:40], v[105:106], v[11:12]
	v_fma_f64 v[37:38], v[37:38], v[105:106], v[57:58]
	v_fma_f64 v[23:24], -v[23:24], v[105:106], v[47:48]
	v_fma_f64 v[21:22], v[21:22], v[105:106], v[45:46]
	v_fma_f64 v[19:20], -v[75:76], v[105:106], v[19:20]
	v_fma_f64 v[17:18], v[73:74], v[105:106], v[17:18]
	v_fma_f64 v[39:40], -v[55:56], v[105:106], v[59:60]
	v_fma_f64 v[9:10], v[53:54], v[105:106], v[9:10]
	s_waitcnt vmcnt(7)
	v_fma_f64 v[11:12], v[153:154], v[63:64], v[11:12]
	v_fma_f64 v[37:38], v[155:156], v[63:64], v[37:38]
	v_fma_f64 v[23:24], v[13:14], v[63:64], v[23:24]
	v_fma_f64 v[21:22], v[15:16], v[63:64], v[21:22]
	v_fma_f64 v[19:20], v[149:150], v[63:64], v[19:20]
	v_fma_f64 v[17:18], v[151:152], v[63:64], v[17:18]
	v_fma_f64 v[39:40], v[81:82], v[63:64], v[39:40]
	v_fma_f64 v[9:10], v[83:84], v[63:64], v[9:10]
	v_fma_f64 v[11:12], -v[155:156], v[65:66], v[11:12]
	v_fma_f64 v[37:38], v[153:154], v[65:66], v[37:38]
	v_fma_f64 v[15:16], -v[15:16], v[65:66], v[23:24]
	v_fma_f64 v[13:14], v[13:14], v[65:66], v[21:22]
	v_fma_f64 v[19:20], -v[151:152], v[65:66], v[19:20]
	v_fma_f64 v[17:18], v[149:150], v[65:66], v[17:18]
	;; [unrolled: 17-line block ×5, first 2 shown]
	v_fma_f64 v[99:100], -v[125:126], v[27:28], v[21:22]
	v_fma_f64 v[101:102], v[123:124], v[27:28], v[9:10]
	s_andn2_b32 exec_lo, exec_lo, s8
	s_cbranch_execnz .LBB55_21
; %bb.22:
	s_or_b32 exec_lo, exec_lo, s8
.LBB55_23:
	s_or_b32 exec_lo, exec_lo, s7
.LBB55_24:
	s_or_b32 exec_lo, exec_lo, s6
	s_cbranch_execz .LBB55_26
	s_branch .LBB55_37
.LBB55_25:
                                        ; implicit-def: $vgpr109_vgpr110
                                        ; implicit-def: $vgpr111_vgpr112
                                        ; implicit-def: $vgpr99_vgpr100
                                        ; implicit-def: $vgpr101_vgpr102
                                        ; implicit-def: $vgpr107_vgpr108
                                        ; implicit-def: $vgpr105_vgpr106
                                        ; implicit-def: $vgpr113_vgpr114
                                        ; implicit-def: $vgpr103_vgpr104
.LBB55_26:
	v_mov_b32_e32 v109, 0
	v_mov_b32_e32 v111, 0
	;; [unrolled: 1-line block ×16, first 2 shown]
	s_and_saveexec_b32 s1, s0
	s_cbranch_execz .LBB55_36
; %bb.27:
	v_or_b32_e32 v9, 4, v0
	v_not_b32_e32 v13, v115
	v_sub_co_u32 v14, s0, v91, v0
	v_not_b32_e32 v11, v116
	v_sub_co_u32 v9, vcc_lo, v9, v91
	v_sub_co_ci_u32_e64 v10, null, 0, v92, vcc_lo
	v_subrev_co_ci_u32_e64 v15, null, 0, v92, s0
	v_add_co_u32 v9, vcc_lo, v9, v115
	v_add_co_ci_u32_e64 v10, null, v10, v116, vcc_lo
	v_add_co_u32 v13, s0, v14, v13
	v_add_co_ci_u32_e64 v11, null, v15, v11, s0
	v_cmp_gt_i64_e32 vcc_lo, v[9:10], v[95:96]
	v_mov_b32_e32 v103, 0
	v_mov_b32_e32 v113, 0
	;; [unrolled: 1-line block ×5, first 2 shown]
	v_cndmask_b32_e32 v9, v95, v9, vcc_lo
	v_cndmask_b32_e32 v10, v96, v10, vcc_lo
	v_mov_b32_e32 v99, 0
	v_mov_b32_e32 v111, 0
	;; [unrolled: 1-line block ×3, first 2 shown]
	v_add_co_u32 v9, vcc_lo, v13, v9
	v_mov_b32_e32 v12, 0
	v_mov_b32_e32 v104, 0
	;; [unrolled: 1-line block ×4, first 2 shown]
	v_add_co_ci_u32_e64 v10, null, v11, v10, vcc_lo
	v_and_b32_e32 v11, 12, v9
	v_mov_b32_e32 v108, 0
	v_mov_b32_e32 v102, 0
	;; [unrolled: 1-line block ×5, first 2 shown]
	s_mov_b32 s6, exec_lo
	v_cmpx_ne_u64_e32 12, v[11:12]
	s_cbranch_execz .LBB55_31
; %bb.28:
	v_lshrrev_b32_e32 v13, 2, v9
	v_lshlrev_b64 v[11:12], 3, v[93:94]
	v_mov_b32_e32 v109, 0
	v_mov_b32_e32 v111, 0
	;; [unrolled: 1-line block ×3, first 2 shown]
	v_add_nc_u32_e32 v13, 1, v13
	v_mov_b32_e32 v101, 0
	v_add_co_u32 v11, vcc_lo, s12, v11
	v_mov_b32_e32 v107, 0
	v_and_b32_e32 v13, 3, v13
	v_mov_b32_e32 v105, 0
	v_mov_b32_e32 v113, 0
	;; [unrolled: 1-line block ×4, first 2 shown]
	v_sub_co_u32 v13, s0, 0, v13
	v_mov_b32_e32 v112, 0
	v_mov_b32_e32 v100, 0
	v_add_co_ci_u32_e64 v12, null, s13, v12, vcc_lo
	v_mov_b32_e32 v102, 0
	v_mov_b32_e32 v108, 0
	;; [unrolled: 1-line block ×5, first 2 shown]
	v_sub_co_ci_u32_e64 v14, null, 0, 0, s0
	s_mov_b32 s7, 0
.LBB55_29:                              ; =>This Inner Loop Header: Depth=1
	global_load_dwordx2 v[31:32], v[11:12], off
	s_clause 0x3
	global_load_dwordx4 v[15:18], v[97:98], off offset:48
	global_load_dwordx4 v[19:22], v[97:98], off offset:32
	;; [unrolled: 1-line block ×3, first 2 shown]
	global_load_dwordx4 v[27:30], v[97:98], off
	v_add_co_u32 v11, s0, v11, 32
	v_add_co_ci_u32_e64 v12, null, 0, v12, s0
	s_waitcnt vmcnt(4)
	v_sub_co_u32 v31, vcc_lo, v31, v91
	v_sub_co_ci_u32_e64 v32, null, v32, v92, vcc_lo
	v_lshlrev_b64 v[31:32], 6, v[31:32]
	v_add_co_u32 v75, vcc_lo, s2, v31
	v_add_co_ci_u32_e64 v76, null, s3, v32, vcc_lo
	global_load_dwordx4 v[31:34], v[75:76], off
	s_clause 0x3
	global_load_dwordx4 v[35:38], v[97:98], off offset:112
	global_load_dwordx4 v[39:42], v[97:98], off offset:96
	;; [unrolled: 1-line block ×5, first 2 shown]
	s_clause 0x3
	global_load_dwordx4 v[55:58], v[97:98], off offset:176
	global_load_dwordx4 v[59:62], v[97:98], off offset:160
	;; [unrolled: 1-line block ×4, first 2 shown]
	s_clause 0x1
	global_load_dwordx4 v[71:74], v[75:76], off offset:32
	global_load_dwordx4 v[75:78], v[75:76], off offset:48
	s_clause 0x3
	global_load_dwordx4 v[79:82], v[97:98], off offset:192
	global_load_dwordx4 v[83:86], v[97:98], off offset:208
	;; [unrolled: 1-line block ×4, first 2 shown]
	v_add_co_u32 v97, vcc_lo, 0x400, v97
	v_add_co_ci_u32_e64 v98, null, 0, v98, vcc_lo
	v_add_co_u32 v13, vcc_lo, v13, 1
	v_add_co_ci_u32_e64 v14, null, 0, v14, vcc_lo
	;; [unrolled: 2-line block ×3, first 2 shown]
	v_cmp_eq_u64_e32 vcc_lo, 0, v[13:14]
	s_or_b32 s7, vcc_lo, s7
	s_waitcnt vmcnt(15)
	v_fma_f64 v[87:88], v[27:28], v[31:32], v[111:112]
	v_fma_f64 v[109:110], v[29:30], v[31:32], v[109:110]
	v_fma_f64 v[111:112], v[23:24], v[31:32], v[113:114]
	v_fma_f64 v[103:104], v[25:26], v[31:32], v[103:104]
	v_fma_f64 v[107:108], v[19:20], v[31:32], v[107:108]
	v_fma_f64 v[105:106], v[21:22], v[31:32], v[105:106]
	v_fma_f64 v[99:100], v[15:16], v[31:32], v[99:100]
	v_fma_f64 v[31:32], v[17:18], v[31:32], v[101:102]
	v_fma_f64 v[29:30], -v[29:30], v[33:34], v[87:88]
	v_fma_f64 v[27:28], v[27:28], v[33:34], v[109:110]
	v_fma_f64 v[25:26], -v[25:26], v[33:34], v[111:112]
	v_fma_f64 v[23:24], v[23:24], v[33:34], v[103:104]
	v_fma_f64 v[21:22], -v[21:22], v[33:34], v[107:108]
	v_fma_f64 v[19:20], v[19:20], v[33:34], v[105:106]
	v_fma_f64 v[17:18], -v[17:18], v[33:34], v[99:100]
	v_fma_f64 v[15:16], v[15:16], v[33:34], v[31:32]
	s_waitcnt vmcnt(10)
	v_fma_f64 v[29:30], v[47:48], v[51:52], v[29:30]
	v_fma_f64 v[27:28], v[49:50], v[51:52], v[27:28]
	v_fma_f64 v[25:26], v[43:44], v[51:52], v[25:26]
	v_fma_f64 v[23:24], v[45:46], v[51:52], v[23:24]
	v_fma_f64 v[21:22], v[39:40], v[51:52], v[21:22]
	v_fma_f64 v[19:20], v[41:42], v[51:52], v[19:20]
	v_fma_f64 v[17:18], v[35:36], v[51:52], v[17:18]
	v_fma_f64 v[15:16], v[37:38], v[51:52], v[15:16]
	v_fma_f64 v[29:30], -v[49:50], v[53:54], v[29:30]
	v_fma_f64 v[27:28], v[47:48], v[53:54], v[27:28]
	v_fma_f64 v[25:26], -v[45:46], v[53:54], v[25:26]
	v_fma_f64 v[23:24], v[43:44], v[53:54], v[23:24]
	v_fma_f64 v[21:22], -v[41:42], v[53:54], v[21:22]
	v_fma_f64 v[19:20], v[39:40], v[53:54], v[19:20]
	v_fma_f64 v[17:18], -v[37:38], v[53:54], v[17:18]
	v_fma_f64 v[15:16], v[35:36], v[53:54], v[15:16]
	;; [unrolled: 17-line block ×3, first 2 shown]
	s_waitcnt vmcnt(3)
	v_fma_f64 v[29:30], v[79:80], v[75:76], v[29:30]
	v_fma_f64 v[27:28], v[81:82], v[75:76], v[27:28]
	s_waitcnt vmcnt(2)
	v_fma_f64 v[25:26], v[83:84], v[75:76], v[25:26]
	v_fma_f64 v[23:24], v[85:86], v[75:76], v[23:24]
	;; [unrolled: 3-line block ×4, first 2 shown]
	v_fma_f64 v[111:112], -v[81:82], v[77:78], v[29:30]
	v_fma_f64 v[109:110], v[79:80], v[77:78], v[27:28]
	v_fma_f64 v[113:114], -v[85:86], v[77:78], v[25:26]
	v_fma_f64 v[103:104], v[83:84], v[77:78], v[23:24]
	;; [unrolled: 2-line block ×4, first 2 shown]
	s_andn2_b32 exec_lo, exec_lo, s7
	s_cbranch_execnz .LBB55_29
; %bb.30:
	s_or_b32 exec_lo, exec_lo, s7
.LBB55_31:
	s_or_b32 exec_lo, exec_lo, s6
	s_mov_b32 s6, exec_lo
	v_cmpx_lt_u64_e32 11, v[9:10]
	s_cbranch_execz .LBB55_35
; %bb.32:
	v_lshlrev_b64 v[9:10], 3, v[93:94]
	s_mov_b32 s7, 0
	v_add_co_u32 v9, vcc_lo, s12, v9
	v_add_co_ci_u32_e64 v10, null, s13, v10, vcc_lo
	v_add_co_u32 v73, vcc_lo, v9, 64
	v_add_co_ci_u32_e64 v74, null, 0, v10, vcc_lo
.LBB55_33:                              ; =>This Inner Loop Header: Depth=1
	global_load_dwordx2 v[75:76], v[73:74], off offset:-64
	s_clause 0xf
	global_load_dwordx4 v[9:12], v[97:98], off offset:48
	global_load_dwordx4 v[17:20], v[97:98], off offset:32
	;; [unrolled: 1-line block ×3, first 2 shown]
	global_load_dwordx4 v[45:48], v[97:98], off
	global_load_dwordx4 v[25:28], v[97:98], off offset:112
	global_load_dwordx4 v[49:52], v[97:98], off offset:96
	;; [unrolled: 1-line block ×12, first 2 shown]
	s_clause 0x2
	global_load_dwordx2 v[79:80], v[73:74], off offset:-32
	global_load_dwordx2 v[77:78], v[73:74], off
	global_load_dwordx2 v[147:148], v[73:74], off offset:32
	s_clause 0x7
	global_load_dwordx4 v[81:84], v[97:98], off offset:1072
	global_load_dwordx4 v[85:88], v[97:98], off offset:1056
	;; [unrolled: 1-line block ×8, first 2 shown]
	s_waitcnt vmcnt(27)
	v_sub_co_u32 v75, vcc_lo, v75, v91
	v_sub_co_ci_u32_e64 v76, null, v76, v92, vcc_lo
	v_lshlrev_b64 v[75:76], 6, v[75:76]
	v_add_co_u32 v75, vcc_lo, s2, v75
	v_add_co_ci_u32_e64 v76, null, s3, v76, vcc_lo
	v_add_co_u32 v153, vcc_lo, 0x800, v97
	v_add_co_ci_u32_e64 v154, null, 0, v98, vcc_lo
	s_clause 0x1
	global_load_dwordx4 v[139:142], v[75:76], off
	global_load_dwordx4 v[143:146], v[75:76], off offset:16
	s_waitcnt vmcnt(12)
	v_sub_co_u32 v79, vcc_lo, v79, v91
	v_sub_co_ci_u32_e64 v80, null, v80, v92, vcc_lo
	v_lshlrev_b64 v[79:80], 6, v[79:80]
	s_waitcnt vmcnt(1)
	v_fma_f64 v[103:104], v[35:36], v[139:140], v[103:104]
	v_fma_f64 v[107:108], v[17:18], v[139:140], v[107:108]
	;; [unrolled: 1-line block ×9, first 2 shown]
	v_fma_f64 v[107:108], -v[19:20], v[141:142], v[107:108]
	v_fma_f64 v[105:106], v[17:18], v[141:142], v[105:106]
	v_fma_f64 v[111:112], -v[47:48], v[141:142], v[111:112]
	v_fma_f64 v[109:110], v[45:46], v[141:142], v[109:110]
	v_fma_f64 v[113:114], -v[35:36], v[141:142], v[113:114]
	v_fma_f64 v[139:140], -v[11:12], v[141:142], v[99:100]
	v_fma_f64 v[141:142], v[9:10], v[141:142], v[101:102]
	s_clause 0x4
	global_load_dwordx4 v[45:48], v[97:98], off offset:1200
	global_load_dwordx4 v[33:36], v[97:98], off offset:1184
	;; [unrolled: 1-line block ×5, first 2 shown]
	s_waitcnt vmcnt(5)
	v_fma_f64 v[103:104], v[63:64], v[143:144], v[103:104]
	v_fma_f64 v[105:106], v[51:52], v[143:144], v[105:106]
	;; [unrolled: 1-line block ×9, first 2 shown]
	v_fma_f64 v[111:112], -v[67:68], v[145:146], v[111:112]
	v_fma_f64 v[109:110], v[65:66], v[145:146], v[109:110]
	global_load_dwordx4 v[65:68], v[97:98], off offset:1248
	v_fma_f64 v[113:114], -v[63:64], v[145:146], v[113:114]
	global_load_dwordx4 v[61:64], v[97:98], off offset:1232
	v_fma_f64 v[107:108], -v[51:52], v[145:146], v[103:104]
	v_fma_f64 v[103:104], v[25:26], v[143:144], v[139:140]
	global_load_dwordx4 v[49:52], v[97:98], off offset:1216
	v_fma_f64 v[141:142], v[25:26], v[145:146], v[105:106]
	v_add_co_u32 v97, s0, 0x1000, v97
	v_add_co_ci_u32_e64 v98, null, 0, v98, s0
	v_fma_f64 v[139:140], -v[27:28], v[145:146], v[103:104]
	s_clause 0x1
	global_load_dwordx4 v[25:28], v[75:76], off offset:32
	global_load_dwordx4 v[103:106], v[75:76], off offset:48
	s_waitcnt vmcnt(1)
	v_fma_f64 v[75:76], v[69:70], v[25:26], v[111:112]
	v_fma_f64 v[109:110], v[71:72], v[25:26], v[109:110]
	;; [unrolled: 1-line block ×8, first 2 shown]
	v_add_co_u32 v149, vcc_lo, s2, v79
	v_add_co_ci_u32_e64 v150, null, s3, v80, vcc_lo
	v_fma_f64 v[75:76], -v[71:72], v[27:28], v[75:76]
	v_fma_f64 v[109:110], v[69:70], v[27:28], v[109:110]
	v_fma_f64 v[111:112], -v[59:60], v[27:28], v[111:112]
	v_fma_f64 v[113:114], v[57:58], v[27:28], v[113:114]
	v_fma_f64 v[107:108], -v[39:40], v[27:28], v[107:108]
	v_fma_f64 v[143:144], v[37:38], v[27:28], v[143:144]
	v_fma_f64 v[139:140], -v[23:24], v[27:28], v[139:140]
	v_fma_f64 v[141:142], v[21:22], v[27:28], v[25:26]
	s_clause 0x4
	global_load_dwordx4 v[69:72], v[153:154], off
	global_load_dwordx4 v[37:40], v[153:154], off offset:32
	global_load_dwordx4 v[57:60], v[153:154], off offset:48
	;; [unrolled: 1-line block ×4, first 2 shown]
	s_waitcnt vmcnt(5)
	v_fma_f64 v[75:76], v[53:54], v[103:104], v[75:76]
	v_fma_f64 v[109:110], v[55:56], v[103:104], v[109:110]
	;; [unrolled: 1-line block ×8, first 2 shown]
	v_fma_f64 v[75:76], -v[55:56], v[105:106], v[75:76]
	v_fma_f64 v[109:110], v[53:54], v[105:106], v[109:110]
	global_load_dwordx4 v[53:56], v[153:154], off offset:96
	v_fma_f64 v[111:112], -v[43:44], v[105:106], v[111:112]
	v_fma_f64 v[113:114], v[41:42], v[105:106], v[113:114]
	global_load_dwordx4 v[41:44], v[153:154], off offset:80
	;; [unrolled: 3-line block ×3, first 2 shown]
	v_fma_f64 v[79:80], -v[15:16], v[105:106], v[79:80]
	v_fma_f64 v[139:140], v[13:14], v[105:106], v[103:104]
	s_clause 0x1
	global_load_dwordx4 v[13:16], v[149:150], off
	global_load_dwordx4 v[103:106], v[149:150], off offset:16
	s_waitcnt vmcnt(1)
	v_fma_f64 v[75:76], v[119:120], v[13:14], v[75:76]
	v_fma_f64 v[107:108], v[121:122], v[13:14], v[109:110]
	;; [unrolled: 1-line block ×5, first 2 shown]
	v_fma_f64 v[75:76], -v[121:122], v[15:16], v[75:76]
	v_fma_f64 v[119:120], v[119:120], v[15:16], v[107:108]
	v_fma_f64 v[121:122], -v[117:118], v[15:16], v[111:112]
	v_fma_f64 v[141:142], v[115:116], v[15:16], v[113:114]
	v_fma_f64 v[115:116], v[85:86], v[13:14], v[145:146]
	;; [unrolled: 1-line block ×4, first 2 shown]
	v_fma_f64 v[83:84], -v[83:84], v[15:16], v[79:80]
	s_clause 0x1
	global_load_dwordx4 v[107:110], v[153:154], off offset:176
	global_load_dwordx4 v[111:114], v[153:154], off offset:160
	s_waitcnt vmcnt(2)
	v_fma_f64 v[75:76], v[135:136], v[103:104], v[75:76]
	v_fma_f64 v[143:144], -v[87:88], v[15:16], v[115:116]
	v_fma_f64 v[145:146], v[85:86], v[15:16], v[117:118]
	v_fma_f64 v[139:140], v[81:82], v[15:16], v[13:14]
	;; [unrolled: 1-line block ×6, first 2 shown]
	s_clause 0x2
	global_load_dwordx4 v[85:88], v[153:154], off offset:144
	global_load_dwordx4 v[13:16], v[153:154], off offset:128
	;; [unrolled: 1-line block ×3, first 2 shown]
	v_fma_f64 v[75:76], -v[137:138], v[105:106], v[75:76]
	v_fma_f64 v[135:136], v[135:136], v[105:106], v[115:116]
	v_fma_f64 v[137:138], -v[133:134], v[105:106], v[119:120]
	v_fma_f64 v[141:142], v[131:132], v[105:106], v[121:122]
	v_fma_f64 v[131:132], v[127:128], v[103:104], v[143:144]
	;; [unrolled: 1-line block ×4, first 2 shown]
	s_clause 0x1
	global_load_dwordx4 v[115:118], v[153:154], off offset:224
	global_load_dwordx4 v[119:122], v[153:154], off offset:208
	v_fma_f64 v[83:84], -v[125:126], v[105:106], v[83:84]
	v_fma_f64 v[143:144], -v[129:130], v[105:106], v[131:132]
	v_fma_f64 v[145:146], v[127:128], v[105:106], v[133:134]
	global_load_dwordx4 v[127:130], v[153:154], off offset:192
	v_fma_f64 v[139:140], v[123:124], v[105:106], v[103:104]
	global_load_dwordx4 v[103:106], v[153:154], off offset:1072
	s_clause 0x1
	global_load_dwordx4 v[123:126], v[149:150], off offset:32
	global_load_dwordx4 v[131:134], v[149:150], off offset:48
	s_waitcnt vmcnt(1)
	v_fma_f64 v[75:76], v[9:10], v[123:124], v[75:76]
	v_fma_f64 v[135:136], v[11:12], v[123:124], v[135:136]
	v_fma_f64 v[149:150], -v[11:12], v[125:126], v[75:76]
	v_fma_f64 v[75:76], v[17:18], v[123:124], v[137:138]
	v_fma_f64 v[137:138], v[19:20], v[123:124], v[141:142]
	;; [unrolled: 1-line block ×3, first 2 shown]
	global_load_dwordx4 v[9:12], v[153:154], off offset:1056
	v_fma_f64 v[141:142], -v[19:20], v[125:126], v[75:76]
	v_fma_f64 v[75:76], v[33:34], v[123:124], v[143:144]
	v_fma_f64 v[143:144], v[35:36], v[123:124], v[145:146]
	v_fma_f64 v[137:138], v[17:18], v[125:126], v[137:138]
	s_waitcnt vmcnt(1)
	v_fma_f64 v[135:136], v[51:52], v[131:132], v[135:136]
	global_load_dwordx4 v[17:20], v[153:154], off offset:1040
	v_fma_f64 v[145:146], -v[35:36], v[125:126], v[75:76]
	v_fma_f64 v[75:76], v[45:46], v[123:124], v[83:84]
	v_fma_f64 v[83:84], v[47:48], v[123:124], v[139:140]
	;; [unrolled: 1-line block ×4, first 2 shown]
	global_load_dwordx4 v[33:36], v[153:154], off offset:1024
	v_fma_f64 v[135:136], v[49:50], v[133:134], v[135:136]
	v_fma_f64 v[123:124], -v[47:48], v[125:126], v[75:76]
	v_fma_f64 v[83:84], v[45:46], v[125:126], v[83:84]
	v_fma_f64 v[125:126], v[49:50], v[131:132], v[149:150]
	;; [unrolled: 1-line block ×3, first 2 shown]
	v_sub_co_u32 v75, vcc_lo, v77, v91
	v_sub_co_ci_u32_e64 v76, null, v78, v92, vcc_lo
	v_sub_co_u32 v77, vcc_lo, v147, v91
	v_sub_co_ci_u32_e64 v78, null, v148, v92, vcc_lo
	v_lshlrev_b64 v[75:76], 6, v[75:76]
	global_load_dwordx4 v[45:48], v[153:154], off offset:1136
	v_fma_f64 v[137:138], v[61:62], v[133:134], v[137:138]
	v_lshlrev_b64 v[77:78], 6, v[77:78]
	v_add_co_u32 v139, vcc_lo, s2, v75
	v_add_co_ci_u32_e64 v140, null, s3, v76, vcc_lo
	v_fma_f64 v[123:124], v[99:100], v[131:132], v[123:124]
	v_fma_f64 v[83:84], v[101:102], v[131:132], v[83:84]
	v_fma_f64 v[149:150], -v[51:52], v[133:134], v[125:126]
	v_fma_f64 v[125:126], v[61:62], v[131:132], v[141:142]
	v_add_co_u32 v147, vcc_lo, s2, v77
	v_add_co_ci_u32_e64 v148, null, s3, v78, vcc_lo
	s_clause 0x1
	global_load_dwordx4 v[75:78], v[153:154], off offset:1120
	global_load_dwordx4 v[49:52], v[153:154], off offset:1104
	v_fma_f64 v[143:144], v[65:66], v[133:134], v[143:144]
	v_add_co_u32 v93, vcc_lo, v93, 16
	v_add_co_ci_u32_e64 v94, null, 0, v94, vcc_lo
	v_add_co_u32 v73, vcc_lo, 0x80, v73
	v_add_co_ci_u32_e64 v74, null, 0, v74, vcc_lo
	v_cmp_ge_i64_e32 vcc_lo, v[93:94], v[95:96]
	v_fma_f64 v[83:84], v[99:100], v[133:134], v[83:84]
	v_fma_f64 v[141:142], -v[63:64], v[133:134], v[125:126]
	v_fma_f64 v[125:126], v[65:66], v[131:132], v[145:146]
	global_load_dwordx4 v[61:64], v[153:154], off offset:1088
	v_fma_f64 v[131:132], -v[101:102], v[133:134], v[123:124]
	s_or_b32 s7, vcc_lo, s7
	v_fma_f64 v[145:146], -v[67:68], v[133:134], v[125:126]
	global_load_dwordx4 v[65:68], v[153:154], off offset:1200
	s_clause 0x1
	global_load_dwordx4 v[99:102], v[139:140], off
	global_load_dwordx4 v[123:126], v[139:140], off offset:16
	s_waitcnt vmcnt(1)
	v_fma_f64 v[133:134], v[69:70], v[99:100], v[149:150]
	v_fma_f64 v[135:136], v[71:72], v[99:100], v[135:136]
	v_fma_f64 v[145:146], v[37:38], v[99:100], v[145:146]
	v_fma_f64 v[143:144], v[39:40], v[99:100], v[143:144]
	v_fma_f64 v[141:142], v[21:22], v[99:100], v[141:142]
	v_fma_f64 v[137:138], v[23:24], v[99:100], v[137:138]
	v_fma_f64 v[131:132], v[57:58], v[99:100], v[131:132]
	v_fma_f64 v[83:84], v[59:60], v[99:100], v[83:84]
	v_fma_f64 v[133:134], -v[71:72], v[101:102], v[133:134]
	v_fma_f64 v[135:136], v[69:70], v[101:102], v[135:136]
	global_load_dwordx4 v[69:72], v[139:140], off offset:32
	v_fma_f64 v[145:146], -v[39:40], v[101:102], v[145:146]
	v_fma_f64 v[143:144], v[37:38], v[101:102], v[143:144]
	global_load_dwordx4 v[37:40], v[139:140], off offset:48
	;; [unrolled: 3-line block ×3, first 2 shown]
	v_fma_f64 v[131:132], -v[59:60], v[101:102], v[131:132]
	v_fma_f64 v[83:84], v[57:58], v[101:102], v[83:84]
	s_clause 0x1
	global_load_dwordx4 v[57:60], v[147:148], off offset:16
	global_load_dwordx4 v[99:102], v[147:148], off
	s_waitcnt vmcnt(5)
	v_fma_f64 v[133:134], v[29:30], v[123:124], v[133:134]
	v_fma_f64 v[135:136], v[31:32], v[123:124], v[135:136]
	;; [unrolled: 1-line block ×6, first 2 shown]
	v_fma_f64 v[139:140], -v[31:32], v[125:126], v[133:134]
	v_fma_f64 v[133:134], v[41:42], v[123:124], v[141:142]
	v_fma_f64 v[135:136], v[29:30], v[125:126], v[135:136]
	global_load_dwordx4 v[29:32], v[153:154], off offset:1168
	v_fma_f64 v[143:144], v[53:54], v[125:126], v[143:144]
	v_fma_f64 v[137:138], v[41:42], v[125:126], v[137:138]
	v_fma_f64 v[149:150], -v[27:28], v[125:126], v[131:132]
	v_fma_f64 v[151:152], v[25:26], v[125:126], v[83:84]
	v_fma_f64 v[141:142], -v[43:44], v[125:126], v[133:134]
	v_fma_f64 v[133:134], v[53:54], v[123:124], v[145:146]
	global_load_dwordx4 v[41:44], v[153:154], off offset:1152
	v_fma_f64 v[145:146], -v[55:56], v[125:126], v[133:134]
	s_clause 0x1
	global_load_dwordx4 v[53:56], v[153:154], off offset:1232
	global_load_dwordx4 v[25:28], v[153:154], off offset:1216
	s_clause 0x1
	global_load_dwordx4 v[123:126], v[147:148], off offset:48
	global_load_dwordx4 v[131:134], v[147:148], off offset:32
	s_waitcnt vmcnt(10)
	v_fma_f64 v[83:84], v[13:14], v[69:70], v[139:140]
	v_fma_f64 v[135:136], v[15:16], v[69:70], v[135:136]
	;; [unrolled: 1-line block ×4, first 2 shown]
	v_fma_f64 v[139:140], -v[15:16], v[71:72], v[83:84]
	v_fma_f64 v[83:84], v[85:86], v[69:70], v[141:142]
	v_fma_f64 v[135:136], v[13:14], v[71:72], v[135:136]
	global_load_dwordx4 v[13:16], v[153:154], off offset:1248
	v_fma_f64 v[137:138], v[85:86], v[71:72], v[137:138]
	v_fma_f64 v[141:142], v[111:112], v[69:70], v[145:146]
	;; [unrolled: 1-line block ×5, first 2 shown]
	v_fma_f64 v[87:88], -v[87:88], v[71:72], v[83:84]
	global_load_dwordx4 v[83:86], v[153:154], off offset:1264
	v_fma_f64 v[113:114], -v[113:114], v[71:72], v[141:142]
	v_fma_f64 v[109:110], -v[109:110], v[71:72], v[145:146]
	v_fma_f64 v[69:70], v[107:108], v[71:72], v[69:70]
	s_waitcnt vmcnt(11)
	v_fma_f64 v[71:72], v[127:128], v[37:38], v[139:140]
	v_fma_f64 v[107:108], v[129:130], v[37:38], v[135:136]
	;; [unrolled: 1-line block ×8, first 2 shown]
	v_fma_f64 v[69:70], -v[129:130], v[39:40], v[71:72]
	v_fma_f64 v[71:72], v[127:128], v[39:40], v[107:108]
	v_fma_f64 v[107:108], v[119:120], v[39:40], v[135:136]
	;; [unrolled: 1-line block ×3, first 2 shown]
	v_fma_f64 v[87:88], -v[121:122], v[39:40], v[87:88]
	v_fma_f64 v[113:114], -v[117:118], v[39:40], v[113:114]
	;; [unrolled: 1-line block ×3, first 2 shown]
	v_fma_f64 v[37:38], v[79:80], v[39:40], v[37:38]
	s_waitcnt vmcnt(8)
	v_fma_f64 v[39:40], v[33:34], v[99:100], v[69:70]
	v_fma_f64 v[69:70], v[35:36], v[99:100], v[71:72]
	;; [unrolled: 1-line block ×8, first 2 shown]
	v_fma_f64 v[35:36], -v[35:36], v[101:102], v[39:40]
	v_fma_f64 v[33:34], v[33:34], v[101:102], v[69:70]
	v_fma_f64 v[17:18], v[17:18], v[101:102], v[79:80]
	v_fma_f64 v[9:10], v[9:10], v[101:102], v[107:108]
	v_fma_f64 v[19:20], -v[19:20], v[101:102], v[71:72]
	v_fma_f64 v[11:12], -v[11:12], v[101:102], v[87:88]
	;; [unrolled: 1-line block ×3, first 2 shown]
	v_fma_f64 v[37:38], v[103:104], v[101:102], v[37:38]
	v_fma_f64 v[35:36], v[61:62], v[57:58], v[35:36]
	;; [unrolled: 1-line block ×9, first 2 shown]
	v_fma_f64 v[35:36], -v[63:64], v[59:60], v[35:36]
	v_fma_f64 v[33:34], v[61:62], v[59:60], v[33:34]
	v_fma_f64 v[17:18], v[49:50], v[59:60], v[17:18]
	;; [unrolled: 1-line block ×3, first 2 shown]
	v_fma_f64 v[19:20], -v[51:52], v[59:60], v[19:20]
	v_fma_f64 v[11:12], -v[77:78], v[59:60], v[11:12]
	;; [unrolled: 1-line block ×3, first 2 shown]
	v_fma_f64 v[37:38], v[45:46], v[59:60], v[37:38]
	s_waitcnt vmcnt(2)
	v_fma_f64 v[35:36], v[41:42], v[131:132], v[35:36]
	v_fma_f64 v[33:34], v[43:44], v[131:132], v[33:34]
	;; [unrolled: 1-line block ×8, first 2 shown]
	v_fma_f64 v[35:36], -v[43:44], v[133:134], v[35:36]
	v_fma_f64 v[33:34], v[41:42], v[133:134], v[33:34]
	v_fma_f64 v[17:18], v[29:30], v[133:134], v[17:18]
	;; [unrolled: 1-line block ×3, first 2 shown]
	v_fma_f64 v[19:20], -v[31:32], v[133:134], v[19:20]
	v_fma_f64 v[11:12], -v[23:24], v[133:134], v[11:12]
	;; [unrolled: 1-line block ×3, first 2 shown]
	v_fma_f64 v[23:24], v[65:66], v[133:134], v[37:38]
	v_fma_f64 v[29:30], v[25:26], v[123:124], v[35:36]
	;; [unrolled: 1-line block ×5, first 2 shown]
	v_fma_f64 v[111:112], -v[27:28], v[125:126], v[29:30]
	v_fma_f64 v[109:110], v[25:26], v[125:126], v[31:32]
	v_fma_f64 v[103:104], v[53:54], v[125:126], v[17:18]
	v_fma_f64 v[113:114], -v[55:56], v[125:126], v[19:20]
	s_waitcnt vmcnt(1)
	v_fma_f64 v[11:12], v[13:14], v[123:124], v[11:12]
	v_fma_f64 v[9:10], v[15:16], v[123:124], v[9:10]
	s_waitcnt vmcnt(0)
	v_fma_f64 v[21:22], v[83:84], v[123:124], v[21:22]
	v_fma_f64 v[23:24], v[85:86], v[123:124], v[23:24]
	v_fma_f64 v[107:108], -v[15:16], v[125:126], v[11:12]
	v_fma_f64 v[105:106], v[13:14], v[125:126], v[9:10]
	v_fma_f64 v[99:100], -v[85:86], v[125:126], v[21:22]
	v_fma_f64 v[101:102], v[83:84], v[125:126], v[23:24]
	s_andn2_b32 exec_lo, exec_lo, s7
	s_cbranch_execnz .LBB55_33
; %bb.34:
	s_or_b32 exec_lo, exec_lo, s7
.LBB55_35:
	s_or_b32 exec_lo, exec_lo, s6
.LBB55_36:
	s_or_b32 exec_lo, exec_lo, s1
.LBB55_37:
	v_mbcnt_lo_u32_b32 v29, -1, 0
	v_xor_b32_e32 v9, 2, v29
	v_xor_b32_e32 v30, 1, v29
	v_cmp_gt_i32_e32 vcc_lo, 32, v9
	v_cndmask_b32_e32 v9, v29, v9, vcc_lo
	v_cmp_gt_i32_e32 vcc_lo, 32, v30
	v_lshlrev_b32_e32 v23, 2, v9
	v_cndmask_b32_e32 v29, v29, v30, vcc_lo
	v_cmp_eq_u32_e32 vcc_lo, 3, v0
	ds_bpermute_b32 v9, v23, v111
	ds_bpermute_b32 v10, v23, v112
	;; [unrolled: 1-line block ×16, first 2 shown]
	v_lshlrev_b32_e32 v34, 2, v29
	s_waitcnt lgkmcnt(14)
	v_add_f64 v[9:10], v[111:112], v[9:10]
	s_waitcnt lgkmcnt(12)
	v_add_f64 v[27:28], v[109:110], v[11:12]
	;; [unrolled: 2-line block ×8, first 2 shown]
	ds_bpermute_b32 v21, v34, v9
	ds_bpermute_b32 v22, v34, v10
	;; [unrolled: 1-line block ×16, first 2 shown]
	s_and_b32 exec_lo, exec_lo, vcc_lo
	s_cbranch_execz .LBB55_8
; %bb.38:
	s_waitcnt lgkmcnt(12)
	v_add_f64 v[27:28], v[27:28], v[39:40]
	s_waitcnt lgkmcnt(8)
	v_add_f64 v[23:24], v[23:24], v[37:38]
	;; [unrolled: 2-line block ×4, first 2 shown]
	v_add_f64 v[9:10], v[9:10], v[21:22]
	v_add_f64 v[11:12], v[11:12], v[25:26]
	;; [unrolled: 1-line block ×4, first 2 shown]
	v_cmp_eq_f64_e32 vcc_lo, 0, v[1:2]
	v_cmp_eq_f64_e64 s0, 0, v[3:4]
	s_load_dwordx2 s[2:3], s[4:5], 0x68
	v_mul_f64 v[13:14], v[27:28], -v[7:8]
	v_mul_f64 v[15:16], v[5:6], v[27:28]
	v_mul_f64 v[27:28], v[23:24], -v[7:8]
	v_mul_f64 v[23:24], v[5:6], v[23:24]
	;; [unrolled: 2-line block ×4, first 2 shown]
	s_and_b32 s0, vcc_lo, s0
	v_fma_f64 v[17:18], v[5:6], v[9:10], v[13:14]
	v_fma_f64 v[19:20], v[7:8], v[9:10], v[15:16]
	;; [unrolled: 1-line block ×8, first 2 shown]
	v_lshlrev_b64 v[21:22], 6, v[89:90]
	s_and_saveexec_b32 s1, s0
	s_xor_b32 s0, exec_lo, s1
	s_cbranch_execz .LBB55_40
; %bb.39:
	s_waitcnt lgkmcnt(0)
	v_add_co_u32 v0, vcc_lo, s2, v21
	v_add_co_ci_u32_e64 v1, null, s3, v22, vcc_lo
                                        ; implicit-def: $vgpr21_vgpr22
	global_store_dwordx4 v[0:1], v[17:20], off
	global_store_dwordx4 v[0:1], v[13:16], off offset:16
	global_store_dwordx4 v[0:1], v[9:12], off offset:32
	;; [unrolled: 1-line block ×3, first 2 shown]
                                        ; implicit-def: $vgpr3_vgpr4
                                        ; implicit-def: $vgpr17_vgpr18
                                        ; implicit-def: $vgpr13_vgpr14
                                        ; implicit-def: $vgpr9_vgpr10
                                        ; implicit-def: $vgpr5_vgpr6
.LBB55_40:
	s_andn2_saveexec_b32 s0, s0
	s_cbranch_execz .LBB55_8
; %bb.41:
	s_waitcnt lgkmcnt(0)
	v_add_co_u32 v37, vcc_lo, s2, v21
	v_add_co_ci_u32_e64 v38, null, s3, v22, vcc_lo
	s_clause 0x3
	global_load_dwordx4 v[21:24], v[37:38], off
	global_load_dwordx4 v[25:28], v[37:38], off offset:16
	global_load_dwordx4 v[29:32], v[37:38], off offset:32
	global_load_dwordx4 v[33:36], v[37:38], off offset:48
	s_waitcnt vmcnt(3)
	v_fma_f64 v[17:18], v[1:2], v[21:22], v[17:18]
	v_fma_f64 v[19:20], v[3:4], v[21:22], v[19:20]
	s_waitcnt vmcnt(2)
	v_fma_f64 v[13:14], v[1:2], v[25:26], v[13:14]
	v_fma_f64 v[15:16], v[3:4], v[25:26], v[15:16]
	;; [unrolled: 3-line block ×4, first 2 shown]
	v_fma_f64 v[5:6], -v[3:4], v[23:24], v[17:18]
	v_fma_f64 v[7:8], v[1:2], v[23:24], v[19:20]
	v_fma_f64 v[9:10], -v[3:4], v[27:28], v[13:14]
	v_fma_f64 v[11:12], v[1:2], v[27:28], v[15:16]
	;; [unrolled: 2-line block ×4, first 2 shown]
	global_store_dwordx4 v[37:38], v[5:8], off
	global_store_dwordx4 v[37:38], v[9:12], off offset:16
	global_store_dwordx4 v[37:38], v[13:16], off offset:32
	;; [unrolled: 1-line block ×3, first 2 shown]
	s_endpgm
	.section	.rodata,"a",@progbits
	.p2align	6, 0x0
	.amdhsa_kernel _ZN9rocsparseL18bsrxmvn_4x4_kernelILj128ELj4E21rocsparse_complex_numIdEllS2_S2_S2_EEvT3_20rocsparse_direction_NS_24const_host_device_scalarIT1_EES3_PKS3_PKT2_SC_S9_PKT4_PKT5_S7_PT6_21rocsparse_index_base_b
		.amdhsa_group_segment_fixed_size 0
		.amdhsa_private_segment_fixed_size 0
		.amdhsa_kernarg_size 120
		.amdhsa_user_sgpr_count 6
		.amdhsa_user_sgpr_private_segment_buffer 1
		.amdhsa_user_sgpr_dispatch_ptr 0
		.amdhsa_user_sgpr_queue_ptr 0
		.amdhsa_user_sgpr_kernarg_segment_ptr 1
		.amdhsa_user_sgpr_dispatch_id 0
		.amdhsa_user_sgpr_flat_scratch_init 0
		.amdhsa_user_sgpr_private_segment_size 0
		.amdhsa_wavefront_size32 1
		.amdhsa_uses_dynamic_stack 0
		.amdhsa_system_sgpr_private_segment_wavefront_offset 0
		.amdhsa_system_sgpr_workgroup_id_x 1
		.amdhsa_system_sgpr_workgroup_id_y 0
		.amdhsa_system_sgpr_workgroup_id_z 0
		.amdhsa_system_sgpr_workgroup_info 0
		.amdhsa_system_vgpr_workitem_id 0
		.amdhsa_next_free_vgpr 177
		.amdhsa_next_free_sgpr 16
		.amdhsa_reserve_vcc 1
		.amdhsa_reserve_flat_scratch 0
		.amdhsa_float_round_mode_32 0
		.amdhsa_float_round_mode_16_64 0
		.amdhsa_float_denorm_mode_32 3
		.amdhsa_float_denorm_mode_16_64 3
		.amdhsa_dx10_clamp 1
		.amdhsa_ieee_mode 1
		.amdhsa_fp16_overflow 0
		.amdhsa_workgroup_processor_mode 1
		.amdhsa_memory_ordered 1
		.amdhsa_forward_progress 1
		.amdhsa_shared_vgpr_count 0
		.amdhsa_exception_fp_ieee_invalid_op 0
		.amdhsa_exception_fp_denorm_src 0
		.amdhsa_exception_fp_ieee_div_zero 0
		.amdhsa_exception_fp_ieee_overflow 0
		.amdhsa_exception_fp_ieee_underflow 0
		.amdhsa_exception_fp_ieee_inexact 0
		.amdhsa_exception_int_div_zero 0
	.end_amdhsa_kernel
	.section	.text._ZN9rocsparseL18bsrxmvn_4x4_kernelILj128ELj4E21rocsparse_complex_numIdEllS2_S2_S2_EEvT3_20rocsparse_direction_NS_24const_host_device_scalarIT1_EES3_PKS3_PKT2_SC_S9_PKT4_PKT5_S7_PT6_21rocsparse_index_base_b,"axG",@progbits,_ZN9rocsparseL18bsrxmvn_4x4_kernelILj128ELj4E21rocsparse_complex_numIdEllS2_S2_S2_EEvT3_20rocsparse_direction_NS_24const_host_device_scalarIT1_EES3_PKS3_PKT2_SC_S9_PKT4_PKT5_S7_PT6_21rocsparse_index_base_b,comdat
.Lfunc_end55:
	.size	_ZN9rocsparseL18bsrxmvn_4x4_kernelILj128ELj4E21rocsparse_complex_numIdEllS2_S2_S2_EEvT3_20rocsparse_direction_NS_24const_host_device_scalarIT1_EES3_PKS3_PKT2_SC_S9_PKT4_PKT5_S7_PT6_21rocsparse_index_base_b, .Lfunc_end55-_ZN9rocsparseL18bsrxmvn_4x4_kernelILj128ELj4E21rocsparse_complex_numIdEllS2_S2_S2_EEvT3_20rocsparse_direction_NS_24const_host_device_scalarIT1_EES3_PKS3_PKT2_SC_S9_PKT4_PKT5_S7_PT6_21rocsparse_index_base_b
                                        ; -- End function
	.set _ZN9rocsparseL18bsrxmvn_4x4_kernelILj128ELj4E21rocsparse_complex_numIdEllS2_S2_S2_EEvT3_20rocsparse_direction_NS_24const_host_device_scalarIT1_EES3_PKS3_PKT2_SC_S9_PKT4_PKT5_S7_PT6_21rocsparse_index_base_b.num_vgpr, 177
	.set _ZN9rocsparseL18bsrxmvn_4x4_kernelILj128ELj4E21rocsparse_complex_numIdEllS2_S2_S2_EEvT3_20rocsparse_direction_NS_24const_host_device_scalarIT1_EES3_PKS3_PKT2_SC_S9_PKT4_PKT5_S7_PT6_21rocsparse_index_base_b.num_agpr, 0
	.set _ZN9rocsparseL18bsrxmvn_4x4_kernelILj128ELj4E21rocsparse_complex_numIdEllS2_S2_S2_EEvT3_20rocsparse_direction_NS_24const_host_device_scalarIT1_EES3_PKS3_PKT2_SC_S9_PKT4_PKT5_S7_PT6_21rocsparse_index_base_b.numbered_sgpr, 16
	.set _ZN9rocsparseL18bsrxmvn_4x4_kernelILj128ELj4E21rocsparse_complex_numIdEllS2_S2_S2_EEvT3_20rocsparse_direction_NS_24const_host_device_scalarIT1_EES3_PKS3_PKT2_SC_S9_PKT4_PKT5_S7_PT6_21rocsparse_index_base_b.num_named_barrier, 0
	.set _ZN9rocsparseL18bsrxmvn_4x4_kernelILj128ELj4E21rocsparse_complex_numIdEllS2_S2_S2_EEvT3_20rocsparse_direction_NS_24const_host_device_scalarIT1_EES3_PKS3_PKT2_SC_S9_PKT4_PKT5_S7_PT6_21rocsparse_index_base_b.private_seg_size, 0
	.set _ZN9rocsparseL18bsrxmvn_4x4_kernelILj128ELj4E21rocsparse_complex_numIdEllS2_S2_S2_EEvT3_20rocsparse_direction_NS_24const_host_device_scalarIT1_EES3_PKS3_PKT2_SC_S9_PKT4_PKT5_S7_PT6_21rocsparse_index_base_b.uses_vcc, 1
	.set _ZN9rocsparseL18bsrxmvn_4x4_kernelILj128ELj4E21rocsparse_complex_numIdEllS2_S2_S2_EEvT3_20rocsparse_direction_NS_24const_host_device_scalarIT1_EES3_PKS3_PKT2_SC_S9_PKT4_PKT5_S7_PT6_21rocsparse_index_base_b.uses_flat_scratch, 0
	.set _ZN9rocsparseL18bsrxmvn_4x4_kernelILj128ELj4E21rocsparse_complex_numIdEllS2_S2_S2_EEvT3_20rocsparse_direction_NS_24const_host_device_scalarIT1_EES3_PKS3_PKT2_SC_S9_PKT4_PKT5_S7_PT6_21rocsparse_index_base_b.has_dyn_sized_stack, 0
	.set _ZN9rocsparseL18bsrxmvn_4x4_kernelILj128ELj4E21rocsparse_complex_numIdEllS2_S2_S2_EEvT3_20rocsparse_direction_NS_24const_host_device_scalarIT1_EES3_PKS3_PKT2_SC_S9_PKT4_PKT5_S7_PT6_21rocsparse_index_base_b.has_recursion, 0
	.set _ZN9rocsparseL18bsrxmvn_4x4_kernelILj128ELj4E21rocsparse_complex_numIdEllS2_S2_S2_EEvT3_20rocsparse_direction_NS_24const_host_device_scalarIT1_EES3_PKS3_PKT2_SC_S9_PKT4_PKT5_S7_PT6_21rocsparse_index_base_b.has_indirect_call, 0
	.section	.AMDGPU.csdata,"",@progbits
; Kernel info:
; codeLenInByte = 10420
; TotalNumSgprs: 18
; NumVgprs: 177
; ScratchSize: 0
; MemoryBound: 1
; FloatMode: 240
; IeeeMode: 1
; LDSByteSize: 0 bytes/workgroup (compile time only)
; SGPRBlocks: 0
; VGPRBlocks: 22
; NumSGPRsForWavesPerEU: 18
; NumVGPRsForWavesPerEU: 177
; Occupancy: 5
; WaveLimiterHint : 1
; COMPUTE_PGM_RSRC2:SCRATCH_EN: 0
; COMPUTE_PGM_RSRC2:USER_SGPR: 6
; COMPUTE_PGM_RSRC2:TRAP_HANDLER: 0
; COMPUTE_PGM_RSRC2:TGID_X_EN: 1
; COMPUTE_PGM_RSRC2:TGID_Y_EN: 0
; COMPUTE_PGM_RSRC2:TGID_Z_EN: 0
; COMPUTE_PGM_RSRC2:TIDIG_COMP_CNT: 0
	.section	.text._ZN9rocsparseL18bsrxmvn_4x4_kernelILj128ELj8E21rocsparse_complex_numIdEllS2_S2_S2_EEvT3_20rocsparse_direction_NS_24const_host_device_scalarIT1_EES3_PKS3_PKT2_SC_S9_PKT4_PKT5_S7_PT6_21rocsparse_index_base_b,"axG",@progbits,_ZN9rocsparseL18bsrxmvn_4x4_kernelILj128ELj8E21rocsparse_complex_numIdEllS2_S2_S2_EEvT3_20rocsparse_direction_NS_24const_host_device_scalarIT1_EES3_PKS3_PKT2_SC_S9_PKT4_PKT5_S7_PT6_21rocsparse_index_base_b,comdat
	.globl	_ZN9rocsparseL18bsrxmvn_4x4_kernelILj128ELj8E21rocsparse_complex_numIdEllS2_S2_S2_EEvT3_20rocsparse_direction_NS_24const_host_device_scalarIT1_EES3_PKS3_PKT2_SC_S9_PKT4_PKT5_S7_PT6_21rocsparse_index_base_b ; -- Begin function _ZN9rocsparseL18bsrxmvn_4x4_kernelILj128ELj8E21rocsparse_complex_numIdEllS2_S2_S2_EEvT3_20rocsparse_direction_NS_24const_host_device_scalarIT1_EES3_PKS3_PKT2_SC_S9_PKT4_PKT5_S7_PT6_21rocsparse_index_base_b
	.p2align	8
	.type	_ZN9rocsparseL18bsrxmvn_4x4_kernelILj128ELj8E21rocsparse_complex_numIdEllS2_S2_S2_EEvT3_20rocsparse_direction_NS_24const_host_device_scalarIT1_EES3_PKS3_PKT2_SC_S9_PKT4_PKT5_S7_PT6_21rocsparse_index_base_b,@function
_ZN9rocsparseL18bsrxmvn_4x4_kernelILj128ELj8E21rocsparse_complex_numIdEllS2_S2_S2_EEvT3_20rocsparse_direction_NS_24const_host_device_scalarIT1_EES3_PKS3_PKT2_SC_S9_PKT4_PKT5_S7_PT6_21rocsparse_index_base_b: ; @_ZN9rocsparseL18bsrxmvn_4x4_kernelILj128ELj8E21rocsparse_complex_numIdEllS2_S2_S2_EEvT3_20rocsparse_direction_NS_24const_host_device_scalarIT1_EES3_PKS3_PKT2_SC_S9_PKT4_PKT5_S7_PT6_21rocsparse_index_base_b
; %bb.0:
	s_clause 0x1
	s_load_dwordx2 s[2:3], s[4:5], 0x70
	s_load_dwordx2 s[0:1], s[4:5], 0x10
	s_add_u32 s7, s4, 16
	s_addc_u32 s10, s5, 0
	s_add_u32 s11, s4, 0x58
	s_addc_u32 s12, s5, 0
	s_load_dwordx2 s[8:9], s[4:5], 0x58
	s_waitcnt lgkmcnt(0)
	s_bitcmp1_b32 s3, 0
	s_cselect_b32 s0, s7, s0
	s_cselect_b32 s1, s10, s1
	v_mov_b32_e32 v1, s0
	v_mov_b32_e32 v2, s1
	s_cselect_b32 s0, s11, s8
	s_cselect_b32 s1, s12, s9
	flat_load_dwordx4 v[5:8], v[1:2]
	v_mov_b32_e32 v1, s0
	v_mov_b32_e32 v2, s1
	flat_load_dwordx4 v[1:4], v[1:2]
	s_waitcnt vmcnt(1) lgkmcnt(1)
	v_cmp_eq_f64_e32 vcc_lo, 0, v[5:6]
	v_cmp_eq_f64_e64 s0, 0, v[7:8]
	s_and_b32 s3, vcc_lo, s0
	s_mov_b32 s0, -1
	s_and_saveexec_b32 s1, s3
	s_cbranch_execz .LBB56_2
; %bb.1:
	s_waitcnt vmcnt(0) lgkmcnt(0)
	v_cmp_neq_f64_e32 vcc_lo, 1.0, v[1:2]
	v_cmp_neq_f64_e64 s0, 0, v[3:4]
	s_or_b32 s0, vcc_lo, s0
	s_orn2_b32 s0, s0, exec_lo
.LBB56_2:
	s_or_b32 exec_lo, exec_lo, s1
	s_and_saveexec_b32 s1, s0
	s_cbranch_execz .LBB56_8
; %bb.3:
	s_load_dwordx2 s[0:1], s[4:5], 0x28
	v_lshrrev_b32_e32 v9, 3, v0
	v_mov_b32_e32 v10, 0
	v_lshl_or_b32 v9, s6, 4, v9
	s_waitcnt lgkmcnt(0)
	s_cmp_lg_u64 s[0:1], 0
	s_cbranch_scc0 .LBB56_9
; %bb.4:
	s_load_dwordx2 s[6:7], s[4:5], 0x20
                                        ; implicit-def: $vgpr73_vgpr74
                                        ; implicit-def: $vgpr75_vgpr76
	s_waitcnt lgkmcnt(0)
	v_cmp_gt_i64_e32 vcc_lo, s[6:7], v[9:10]
	s_mov_b32 s7, 0
	s_mov_b32 s6, 0
	s_and_saveexec_b32 s3, vcc_lo
	s_xor_b32 s8, exec_lo, s3
	s_cbranch_execz .LBB56_6
; %bb.5:
	v_lshlrev_b64 v[11:12], 3, v[9:10]
	s_mov_b32 s3, 0
	s_mov_b32 s6, exec_lo
	v_mov_b32_e32 v76, s3
	v_mov_b32_e32 v75, s2
	v_add_co_u32 v11, vcc_lo, s0, v11
	v_add_co_ci_u32_e64 v12, null, s1, v12, vcc_lo
	global_load_dwordx2 v[11:12], v[11:12], off
	s_waitcnt vmcnt(0)
	v_sub_co_u32 v73, vcc_lo, v11, s2
	v_subrev_co_ci_u32_e64 v74, null, 0, v12, vcc_lo
.LBB56_6:
	s_or_b32 exec_lo, exec_lo, s8
	s_and_b32 vcc_lo, exec_lo, s7
	s_cbranch_vccnz .LBB56_10
.LBB56_7:
	s_and_b32 exec_lo, exec_lo, s6
	s_cbranch_execnz .LBB56_13
.LBB56_8:
	s_endpgm
.LBB56_9:
	s_mov_b32 s6, 0
                                        ; implicit-def: $vgpr73_vgpr74
                                        ; implicit-def: $vgpr75_vgpr76
	s_cbranch_execz .LBB56_7
.LBB56_10:
	s_load_dwordx2 s[0:1], s[4:5], 0x0
	s_waitcnt lgkmcnt(0)
	v_cmp_gt_i64_e32 vcc_lo, s[0:1], v[9:10]
	s_and_saveexec_b32 s0, vcc_lo
; %bb.11:
	s_mov_b32 s3, 0
	s_or_b32 s6, s6, exec_lo
; %bb.12:
	s_or_b32 exec_lo, exec_lo, s0
	v_mov_b32_e32 v76, s3
	v_mov_b32_e32 v74, v10
	;; [unrolled: 1-line block ×4, first 2 shown]
	s_and_b32 exec_lo, exec_lo, s6
	s_cbranch_execz .LBB56_8
.LBB56_13:
	s_load_dwordx8 s[8:15], s[4:5], 0x30
	v_lshlrev_b64 v[9:10], 3, v[73:74]
	v_and_b32_e32 v0, 7, v0
	s_clause 0x1
	s_load_dword s1, s[4:5], 0x8
	s_load_dwordx2 s[2:3], s[4:5], 0x50
	s_waitcnt lgkmcnt(0)
	v_add_co_u32 v11, vcc_lo, s8, v9
	v_add_co_ci_u32_e64 v12, null, s9, v10, vcc_lo
	v_add_co_u32 v9, vcc_lo, s10, v9
	v_add_co_ci_u32_e64 v10, null, s11, v10, vcc_lo
	;; [unrolled: 2-line block ×3, first 2 shown]
	global_load_dwordx2 v[99:100], v[11:12], off
	s_cmp_eq_u64 s[10:11], 0
	s_cselect_b32 vcc_lo, -1, 0
	s_cmp_eq_u32 s1, 1
	v_cndmask_b32_e32 v10, v10, v14, vcc_lo
	v_cndmask_b32_e32 v9, v9, v13, vcc_lo
	global_load_dwordx2 v[9:10], v[9:10], off
	s_waitcnt vmcnt(1)
	v_sub_co_u32 v11, vcc_lo, v99, v75
	v_sub_co_ci_u32_e64 v12, null, v100, v76, vcc_lo
	v_add_co_u32 v77, vcc_lo, v11, v0
	v_add_co_ci_u32_e64 v78, null, 0, v12, vcc_lo
	s_waitcnt vmcnt(0)
	v_sub_co_u32 v79, vcc_lo, v9, v75
	v_sub_co_ci_u32_e64 v80, null, v10, v76, vcc_lo
	v_lshlrev_b64 v[9:10], 8, v[77:78]
	v_cmp_lt_i64_e64 s0, v[77:78], v[79:80]
	v_add_co_u32 v81, vcc_lo, s14, v9
	v_add_co_ci_u32_e64 v82, null, s15, v10, vcc_lo
	s_cbranch_scc1 .LBB56_25
; %bb.14:
	v_mov_b32_e32 v93, 0
	v_mov_b32_e32 v95, 0
	v_mov_b32_e32 v83, 0
	v_mov_b32_e32 v85, 0
	v_mov_b32_e32 v89, 0
	v_mov_b32_e32 v87, 0
	v_mov_b32_e32 v97, 0
	v_mov_b32_e32 v91, 0
	v_mov_b32_e32 v94, 0
	v_mov_b32_e32 v96, 0
	v_mov_b32_e32 v84, 0
	v_mov_b32_e32 v86, 0
	v_mov_b32_e32 v90, 0
	v_mov_b32_e32 v88, 0
	v_mov_b32_e32 v98, 0
	v_mov_b32_e32 v92, 0
	s_and_saveexec_b32 s6, s0
	s_cbranch_execz .LBB56_24
; %bb.15:
	v_or_b32_e32 v9, 8, v0
	v_not_b32_e32 v13, v99
	v_not_b32_e32 v11, v100
	v_mov_b32_e32 v91, 0
	v_mov_b32_e32 v97, 0
	v_sub_co_u32 v9, vcc_lo, v9, v75
	v_sub_co_ci_u32_e64 v10, null, 0, v76, vcc_lo
	v_mov_b32_e32 v87, 0
	v_add_co_u32 v9, vcc_lo, v9, v99
	v_add_co_ci_u32_e64 v10, null, v10, v100, vcc_lo
	v_sub_co_u32 v14, vcc_lo, v75, v0
	v_subrev_co_ci_u32_e64 v15, null, 0, v76, vcc_lo
	v_cmp_gt_i64_e32 vcc_lo, v[9:10], v[79:80]
	v_add_co_u32 v13, s1, v14, v13
	v_add_co_ci_u32_e64 v11, null, v15, v11, s1
	v_mov_b32_e32 v89, 0
	v_cndmask_b32_e32 v9, v79, v9, vcc_lo
	v_cndmask_b32_e32 v10, v80, v10, vcc_lo
	v_mov_b32_e32 v85, 0
	v_mov_b32_e32 v83, 0
	;; [unrolled: 1-line block ×3, first 2 shown]
	v_add_co_u32 v9, vcc_lo, v13, v9
	v_mov_b32_e32 v93, 0
	v_mov_b32_e32 v104, v82
	;; [unrolled: 1-line block ×8, first 2 shown]
	v_add_co_ci_u32_e64 v10, null, v11, v10, vcc_lo
	v_and_b32_e32 v11, 24, v9
	v_mov_b32_e32 v86, 0
	v_mov_b32_e32 v84, 0
	;; [unrolled: 1-line block ×6, first 2 shown]
	s_mov_b32 s7, exec_lo
	v_cmpx_ne_u64_e32 24, v[11:12]
	s_cbranch_execz .LBB56_19
; %bb.16:
	v_lshrrev_b32_e32 v13, 3, v9
	v_lshlrev_b64 v[11:12], 3, v[77:78]
	v_mov_b32_e32 v93, 0
	v_mov_b32_e32 v102, v78
	;; [unrolled: 1-line block ×3, first 2 shown]
	v_add_nc_u32_e32 v13, 1, v13
	v_mov_b32_e32 v83, 0
	v_add_co_u32 v11, vcc_lo, s12, v11
	v_mov_b32_e32 v85, 0
	v_and_b32_e32 v13, 3, v13
	v_mov_b32_e32 v89, 0
	v_mov_b32_e32 v87, 0
	;; [unrolled: 1-line block ×4, first 2 shown]
	v_sub_co_u32 v13, s1, 0, v13
	v_mov_b32_e32 v104, v82
	v_mov_b32_e32 v94, 0
	;; [unrolled: 1-line block ×5, first 2 shown]
	v_add_co_ci_u32_e64 v12, null, s13, v12, vcc_lo
	v_sub_co_ci_u32_e64 v14, null, 0, 0, s1
	v_mov_b32_e32 v86, 0
	v_mov_b32_e32 v90, 0
	;; [unrolled: 1-line block ×6, first 2 shown]
	s_mov_b32 s8, 0
.LBB56_17:                              ; =>This Inner Loop Header: Depth=1
	global_load_dwordx2 v[43:44], v[11:12], off
	s_clause 0x6
	global_load_dwordx4 v[15:18], v[103:104], off offset:16
	global_load_dwordx4 v[19:22], v[103:104], off
	global_load_dwordx4 v[23:26], v[103:104], off offset:80
	global_load_dwordx4 v[27:30], v[103:104], off offset:64
	;; [unrolled: 1-line block ×5, first 2 shown]
	v_add_co_u32 v11, s1, v11, 64
	v_add_co_ci_u32_e64 v12, null, 0, v12, s1
	s_waitcnt vmcnt(7)
	v_sub_co_u32 v43, vcc_lo, v43, v75
	v_sub_co_ci_u32_e64 v44, null, v44, v76, vcc_lo
	v_lshlrev_b64 v[43:44], 6, v[43:44]
	v_add_co_u32 v71, vcc_lo, s2, v43
	v_add_co_ci_u32_e64 v72, null, s3, v44, vcc_lo
	global_load_dwordx4 v[43:46], v[71:72], off
	global_load_dwordx4 v[47:50], v[103:104], off offset:208
	global_load_dwordx4 v[51:54], v[71:72], off offset:16
	s_clause 0x6
	global_load_dwordx4 v[55:58], v[103:104], off offset:48
	global_load_dwordx4 v[59:62], v[103:104], off offset:32
	;; [unrolled: 1-line block ×10, first 2 shown]
	v_add_co_u32 v103, vcc_lo, 0x800, v103
	v_add_co_ci_u32_e64 v104, null, 0, v104, vcc_lo
	v_add_co_u32 v13, vcc_lo, v13, 1
	v_add_co_ci_u32_e64 v14, null, 0, v14, vcc_lo
	v_add_co_u32 v101, vcc_lo, v101, 8
	v_add_co_ci_u32_e64 v102, null, 0, v102, vcc_lo
	v_cmp_eq_u64_e32 vcc_lo, 0, v[13:14]
	s_or_b32 s8, vcc_lo, s8
	s_waitcnt vmcnt(12)
	v_fma_f64 v[71:72], v[19:20], v[43:44], v[95:96]
	v_fma_f64 v[93:94], v[21:22], v[43:44], v[93:94]
	v_fma_f64 v[95:96], v[27:28], v[43:44], v[97:98]
	v_fma_f64 v[91:92], v[29:30], v[43:44], v[91:92]
	v_fma_f64 v[89:90], v[35:36], v[43:44], v[89:90]
	v_fma_f64 v[87:88], v[37:38], v[43:44], v[87:88]
	v_fma_f64 v[83:84], v[39:40], v[43:44], v[83:84]
	v_fma_f64 v[43:44], v[41:42], v[43:44], v[85:86]
	v_fma_f64 v[21:22], -v[21:22], v[45:46], v[71:72]
	v_fma_f64 v[19:20], v[19:20], v[45:46], v[93:94]
	v_fma_f64 v[29:30], -v[29:30], v[45:46], v[95:96]
	v_fma_f64 v[27:28], v[27:28], v[45:46], v[91:92]
	v_fma_f64 v[37:38], -v[37:38], v[45:46], v[89:90]
	v_fma_f64 v[35:36], v[35:36], v[45:46], v[87:88]
	v_fma_f64 v[41:42], -v[41:42], v[45:46], v[83:84]
	v_fma_f64 v[39:40], v[39:40], v[45:46], v[43:44]
	s_waitcnt vmcnt(10)
	v_fma_f64 v[21:22], v[15:16], v[51:52], v[21:22]
	v_fma_f64 v[19:20], v[17:18], v[51:52], v[19:20]
	v_fma_f64 v[29:30], v[23:24], v[51:52], v[29:30]
	v_fma_f64 v[27:28], v[25:26], v[51:52], v[27:28]
	v_fma_f64 v[37:38], v[31:32], v[51:52], v[37:38]
	v_fma_f64 v[35:36], v[33:34], v[51:52], v[35:36]
	v_fma_f64 v[41:42], v[47:48], v[51:52], v[41:42]
	v_fma_f64 v[39:40], v[49:50], v[51:52], v[39:40]
	v_fma_f64 v[17:18], -v[17:18], v[53:54], v[21:22]
	v_fma_f64 v[15:16], v[15:16], v[53:54], v[19:20]
	v_fma_f64 v[19:20], -v[25:26], v[53:54], v[29:30]
	v_fma_f64 v[21:22], v[23:24], v[53:54], v[27:28]
	v_fma_f64 v[23:24], -v[33:34], v[53:54], v[37:38]
	v_fma_f64 v[25:26], v[31:32], v[53:54], v[35:36]
	v_fma_f64 v[27:28], -v[49:50], v[53:54], v[41:42]
	v_fma_f64 v[29:30], v[47:48], v[53:54], v[39:40]
	;; [unrolled: 17-line block ×4, first 2 shown]
	s_andn2_b32 exec_lo, exec_lo, s8
	s_cbranch_execnz .LBB56_17
; %bb.18:
	s_or_b32 exec_lo, exec_lo, s8
.LBB56_19:
	s_or_b32 exec_lo, exec_lo, s7
	s_mov_b32 s7, exec_lo
	v_cmpx_lt_u64_e32 23, v[9:10]
	s_cbranch_execz .LBB56_23
; %bb.20:
	v_lshlrev_b64 v[9:10], 3, v[101:102]
	s_mov_b32 s8, 0
	v_add_co_u32 v9, vcc_lo, s12, v9
	v_add_co_ci_u32_e64 v10, null, s13, v10, vcc_lo
	v_add_co_u32 v105, vcc_lo, 0x80, v9
	v_add_co_ci_u32_e64 v106, null, 0, v10, vcc_lo
.LBB56_21:                              ; =>This Inner Loop Header: Depth=1
	global_load_dwordx2 v[111:112], v[105:106], off offset:-128
	s_clause 0xf
	global_load_dwordx4 v[9:12], v[103:104], off offset:48
	global_load_dwordx4 v[17:20], v[103:104], off offset:32
	;; [unrolled: 1-line block ×3, first 2 shown]
	global_load_dwordx4 v[41:44], v[103:104], off
	global_load_dwordx4 v[13:16], v[103:104], off offset:112
	global_load_dwordx4 v[33:36], v[103:104], off offset:96
	global_load_dwordx4 v[45:48], v[103:104], off offset:80
	global_load_dwordx4 v[57:60], v[103:104], off offset:64
	global_load_dwordx4 v[21:24], v[103:104], off offset:176
	global_load_dwordx4 v[37:40], v[103:104], off offset:160
	global_load_dwordx4 v[53:56], v[103:104], off offset:144
	global_load_dwordx4 v[65:68], v[103:104], off offset:128
	global_load_dwordx4 v[29:32], v[103:104], off offset:240
	global_load_dwordx4 v[49:52], v[103:104], off offset:224
	global_load_dwordx4 v[61:64], v[103:104], off offset:208
	global_load_dwordx4 v[69:72], v[103:104], off offset:192
	s_clause 0x2
	global_load_dwordx2 v[163:164], v[105:106], off offset:-64
	global_load_dwordx2 v[107:108], v[105:106], off
	global_load_dwordx2 v[113:114], v[105:106], off offset:64
	v_add_co_u32 v165, vcc_lo, 0x800, v103
	v_add_co_ci_u32_e64 v166, null, 0, v104, vcc_lo
	v_add_co_u32 v167, vcc_lo, v103, 0x1000
	v_add_co_ci_u32_e64 v168, null, 0, v104, vcc_lo
	v_add_co_u32 v169, vcc_lo, 0x1000, v103
	v_add_co_ci_u32_e64 v170, null, 0, v104, vcc_lo
	v_add_co_u32 v109, vcc_lo, 0x1800, v103
	v_add_co_ci_u32_e64 v110, null, 0, v104, vcc_lo
	s_clause 0x9
	global_load_dwordx4 v[115:118], v[165:166], off offset:32
	global_load_dwordx4 v[119:122], v[165:166], off offset:16
	;; [unrolled: 1-line block ×10, first 2 shown]
	v_add_co_u32 v103, s1, 0x2000, v103
	v_add_co_ci_u32_e64 v104, null, 0, v104, s1
	s_waitcnt vmcnt(29)
	v_sub_co_u32 v111, vcc_lo, v111, v75
	v_sub_co_ci_u32_e64 v112, null, v112, v76, vcc_lo
	v_lshlrev_b64 v[111:112], 6, v[111:112]
	v_add_co_u32 v111, vcc_lo, s2, v111
	v_add_co_ci_u32_e64 v112, null, s3, v112, vcc_lo
	s_clause 0x1
	global_load_dwordx4 v[155:158], v[111:112], off
	global_load_dwordx4 v[159:162], v[111:112], off offset:16
	s_waitcnt vmcnt(1)
	v_fma_f64 v[95:96], v[41:42], v[155:156], v[95:96]
	v_fma_f64 v[93:94], v[43:44], v[155:156], v[93:94]
	;; [unrolled: 1-line block ×8, first 2 shown]
	v_fma_f64 v[43:44], -v[43:44], v[157:158], v[95:96]
	v_fma_f64 v[41:42], v[41:42], v[157:158], v[93:94]
	v_fma_f64 v[97:98], -v[59:60], v[157:158], v[97:98]
	v_fma_f64 v[91:92], v[57:58], v[157:158], v[91:92]
	s_clause 0x1
	global_load_dwordx4 v[93:96], v[165:166], off offset:240
	global_load_dwordx4 v[57:60], v[165:166], off offset:224
	v_fma_f64 v[171:172], -v[67:68], v[157:158], v[89:90]
	v_fma_f64 v[173:174], v[65:66], v[157:158], v[87:88]
	global_load_dwordx4 v[65:68], v[165:166], off offset:208
	v_fma_f64 v[175:176], -v[71:72], v[157:158], v[83:84]
	v_fma_f64 v[177:178], v[69:70], v[157:158], v[85:86]
	s_clause 0x3
	global_load_dwordx4 v[69:72], v[165:166], off offset:176
	global_load_dwordx4 v[83:86], v[165:166], off offset:192
	global_load_dwordx4 v[87:90], v[167:168], off offset:-2048
	global_load_dwordx4 v[155:158], v[167:168], off
	s_waitcnt vmcnt(7)
	v_fma_f64 v[43:44], v[25:26], v[159:160], v[43:44]
	v_fma_f64 v[41:42], v[27:28], v[159:160], v[41:42]
	v_fma_f64 v[165:166], -v[27:28], v[161:162], v[43:44]
	v_fma_f64 v[179:180], v[25:26], v[161:162], v[41:42]
	v_fma_f64 v[25:26], v[45:46], v[159:160], v[97:98]
	;; [unrolled: 1-line block ×5, first 2 shown]
	v_fma_f64 v[91:92], -v[47:48], v[161:162], v[25:26]
	v_fma_f64 v[97:98], v[45:46], v[161:162], v[27:28]
	v_fma_f64 v[45:46], v[61:62], v[159:160], v[175:176]
	;; [unrolled: 1-line block ×3, first 2 shown]
	global_load_dwordx4 v[25:28], v[169:170], off offset:48
	v_fma_f64 v[167:168], -v[55:56], v[161:162], v[41:42]
	v_fma_f64 v[171:172], v[53:54], v[161:162], v[43:44]
	global_load_dwordx4 v[41:44], v[169:170], off offset:32
	v_fma_f64 v[159:160], -v[63:64], v[161:162], v[45:46]
	v_fma_f64 v[161:162], v[61:62], v[161:162], v[47:48]
	global_load_dwordx4 v[45:48], v[169:170], off offset:16
	s_clause 0x1
	global_load_dwordx4 v[53:56], v[111:112], off offset:32
	global_load_dwordx4 v[61:64], v[111:112], off offset:48
	s_waitcnt vmcnt(1)
	v_fma_f64 v[111:112], v[17:18], v[53:54], v[165:166]
	v_fma_f64 v[165:166], v[19:20], v[53:54], v[179:180]
	;; [unrolled: 1-line block ×8, first 2 shown]
	v_fma_f64 v[111:112], -v[19:20], v[55:56], v[111:112]
	v_fma_f64 v[165:166], v[17:18], v[55:56], v[165:166]
	v_fma_f64 v[91:92], -v[35:36], v[55:56], v[91:92]
	v_fma_f64 v[97:98], v[33:34], v[55:56], v[97:98]
	;; [unrolled: 2-line block ×4, first 2 shown]
	v_sub_co_u32 v53, vcc_lo, v163, v75
	v_sub_co_ci_u32_e64 v54, null, v164, v76, vcc_lo
	s_clause 0x3
	global_load_dwordx4 v[17:20], v[169:170], off offset:112
	global_load_dwordx4 v[33:36], v[169:170], off offset:96
	;; [unrolled: 1-line block ×4, first 2 shown]
	v_lshlrev_b64 v[53:54], 6, v[53:54]
	s_waitcnt vmcnt(4)
	v_fma_f64 v[111:112], v[9:10], v[61:62], v[111:112]
	v_fma_f64 v[165:166], v[11:12], v[61:62], v[165:166]
	;; [unrolled: 1-line block ×8, first 2 shown]
	v_add_co_u32 v163, vcc_lo, s2, v53
	v_add_co_ci_u32_e64 v164, null, s3, v54, vcc_lo
	global_load_dwordx4 v[53:56], v[169:170], off offset:176
	v_fma_f64 v[111:112], -v[11:12], v[63:64], v[111:112]
	v_fma_f64 v[165:166], v[9:10], v[63:64], v[165:166]
	global_load_dwordx4 v[9:12], v[169:170], off offset:160
	v_fma_f64 v[91:92], -v[15:16], v[63:64], v[91:92]
	v_fma_f64 v[97:98], v[13:14], v[63:64], v[97:98]
	;; [unrolled: 3-line block ×4, first 2 shown]
	s_clause 0x1
	global_load_dwordx4 v[29:32], v[163:164], off
	global_load_dwordx4 v[61:64], v[163:164], off offset:16
	s_waitcnt vmcnt(1)
	v_fma_f64 v[111:112], v[87:88], v[29:30], v[111:112]
	v_fma_f64 v[165:166], v[89:90], v[29:30], v[165:166]
	;; [unrolled: 1-line block ×8, first 2 shown]
	v_fma_f64 v[111:112], -v[89:90], v[31:32], v[111:112]
	v_fma_f64 v[165:166], v[87:88], v[31:32], v[165:166]
	v_fma_f64 v[91:92], -v[137:138], v[31:32], v[91:92]
	v_fma_f64 v[97:98], v[135:136], v[31:32], v[97:98]
	;; [unrolled: 2-line block ×4, first 2 shown]
	s_clause 0x4
	global_load_dwordx4 v[87:90], v[169:170], off offset:240
	global_load_dwordx4 v[135:138], v[169:170], off offset:224
	;; [unrolled: 1-line block ×4, first 2 shown]
	global_load_dwordx4 v[83:86], v[109:110], off
	s_waitcnt vmcnt(5)
	v_fma_f64 v[111:112], v[119:120], v[61:62], v[111:112]
	v_fma_f64 v[165:166], v[121:122], v[61:62], v[165:166]
	;; [unrolled: 1-line block ×8, first 2 shown]
	v_fma_f64 v[111:112], -v[121:122], v[63:64], v[111:112]
	v_fma_f64 v[165:166], v[119:120], v[63:64], v[165:166]
	global_load_dwordx4 v[119:122], v[109:110], off offset:48
	v_fma_f64 v[91:92], -v[129:130], v[63:64], v[91:92]
	v_fma_f64 v[97:98], v[127:128], v[63:64], v[97:98]
	global_load_dwordx4 v[127:130], v[109:110], off offset:32
	;; [unrolled: 3-line block ×4, first 2 shown]
	s_clause 0x1
	global_load_dwordx4 v[65:68], v[163:164], off offset:32
	global_load_dwordx4 v[159:162], v[163:164], off offset:48
	s_waitcnt vmcnt(1)
	v_fma_f64 v[111:112], v[115:116], v[65:66], v[111:112]
	v_fma_f64 v[163:164], v[117:118], v[65:66], v[165:166]
	;; [unrolled: 1-line block ×8, first 2 shown]
	v_fma_f64 v[111:112], -v[117:118], v[67:68], v[111:112]
	v_fma_f64 v[163:164], v[115:116], v[67:68], v[163:164]
	v_fma_f64 v[91:92], -v[125:126], v[67:68], v[91:92]
	v_fma_f64 v[97:98], v[123:124], v[67:68], v[97:98]
	;; [unrolled: 2-line block ×4, first 2 shown]
	v_sub_co_u32 v65, vcc_lo, v107, v75
	v_sub_co_ci_u32_e64 v66, null, v108, v76, vcc_lo
	s_clause 0x2
	global_load_dwordx4 v[115:118], v[109:110], off offset:64
	global_load_dwordx4 v[139:142], v[109:110], off offset:128
	;; [unrolled: 1-line block ×3, first 2 shown]
	v_lshlrev_b64 v[65:66], 6, v[65:66]
	global_load_dwordx4 v[57:60], v[109:110], off offset:208
	v_add_co_u32 v107, vcc_lo, s2, v65
	v_add_co_ci_u32_e64 v108, null, s3, v66, vcc_lo
	s_waitcnt vmcnt(4)
	v_fma_f64 v[111:112], v[131:132], v[159:160], v[111:112]
	v_fma_f64 v[163:164], v[133:134], v[159:160], v[163:164]
	;; [unrolled: 1-line block ×3, first 2 shown]
	global_load_dwordx4 v[65:68], v[107:108], off
	v_fma_f64 v[97:98], v[149:150], v[159:160], v[97:98]
	v_sub_co_u32 v113, vcc_lo, v113, v75
	v_sub_co_ci_u32_e64 v114, null, v114, v76, vcc_lo
	v_fma_f64 v[111:112], -v[133:134], v[161:162], v[111:112]
	v_fma_f64 v[163:164], v[131:132], v[161:162], v[163:164]
	global_load_dwordx4 v[131:134], v[107:108], off offset:16
	v_fma_f64 v[173:174], -v[149:150], v[161:162], v[91:92]
	v_fma_f64 v[175:176], v[147:148], v[161:162], v[97:98]
	v_fma_f64 v[91:92], v[69:70], v[159:160], v[165:166]
	;; [unrolled: 1-line block ×3, first 2 shown]
	global_load_dwordx4 v[147:150], v[109:110], off offset:192
	v_fma_f64 v[165:166], -v[71:72], v[161:162], v[91:92]
	v_fma_f64 v[167:168], v[69:70], v[161:162], v[97:98]
	global_load_dwordx4 v[69:72], v[107:108], off offset:32
	v_fma_f64 v[91:92], v[93:94], v[159:160], v[169:170]
	v_fma_f64 v[97:98], v[95:96], v[159:160], v[171:172]
	v_fma_f64 v[169:170], -v[95:96], v[161:162], v[91:92]
	v_fma_f64 v[171:172], v[93:94], v[161:162], v[97:98]
	s_clause 0x1
	global_load_dwordx4 v[159:162], v[109:110], off offset:112
	global_load_dwordx4 v[91:94], v[109:110], off offset:96
	s_waitcnt vmcnt(5)
	v_fma_f64 v[95:96], v[155:156], v[65:66], v[111:112]
	v_fma_f64 v[97:98], v[157:158], v[65:66], v[163:164]
	v_fma_f64 v[163:164], v[21:22], v[65:66], v[165:166]
	v_fma_f64 v[165:166], v[23:24], v[65:66], v[167:168]
	v_fma_f64 v[167:168], v[29:30], v[65:66], v[169:170]
	v_fma_f64 v[111:112], -v[157:158], v[67:68], v[95:96]
	v_fma_f64 v[155:156], v[155:156], v[67:68], v[97:98]
	global_load_dwordx4 v[95:98], v[107:108], off offset:48
	v_lshlrev_b64 v[107:108], 6, v[113:114]
	v_fma_f64 v[157:158], v[51:52], v[65:66], v[175:176]
	v_fma_f64 v[163:164], -v[23:24], v[67:68], v[163:164]
	v_fma_f64 v[165:166], v[21:22], v[67:68], v[165:166]
	v_fma_f64 v[167:168], -v[31:32], v[67:68], v[167:168]
	v_add_co_u32 v113, vcc_lo, s2, v107
	v_add_co_ci_u32_e64 v114, null, s3, v108, vcc_lo
	v_fma_f64 v[107:108], v[49:50], v[65:66], v[173:174]
	v_fma_f64 v[65:66], v[31:32], v[65:66], v[171:172]
	v_add_co_u32 v101, vcc_lo, v101, 32
	global_load_dwordx4 v[21:24], v[113:114], off offset:16
	v_add_co_ci_u32_e64 v102, null, 0, v102, vcc_lo
	v_add_co_u32 v105, vcc_lo, 0x100, v105
	s_waitcnt vmcnt(6)
	v_fma_f64 v[111:112], v[45:46], v[131:132], v[111:112]
	v_fma_f64 v[155:156], v[47:48], v[131:132], v[155:156]
	v_add_co_ci_u32_e64 v106, null, 0, v106, vcc_lo
	v_fma_f64 v[157:158], v[49:50], v[67:68], v[157:158]
	v_fma_f64 v[163:164], v[13:14], v[131:132], v[163:164]
	;; [unrolled: 1-line block ×3, first 2 shown]
	v_cmp_ge_i64_e32 vcc_lo, v[101:102], v[79:80]
	v_fma_f64 v[107:108], -v[51:52], v[67:68], v[107:108]
	global_load_dwordx4 v[49:52], v[113:114], off
	v_fma_f64 v[169:170], v[29:30], v[67:68], v[65:66]
	s_clause 0x1
	global_load_dwordx4 v[29:32], v[109:110], off offset:160
	global_load_dwordx4 v[65:68], v[109:110], off offset:224
	s_or_b32 s8, vcc_lo, s8
	v_fma_f64 v[111:112], -v[47:48], v[133:134], v[111:112]
	v_fma_f64 v[155:156], v[45:46], v[133:134], v[155:156]
	global_load_dwordx4 v[45:48], v[113:114], off offset:32
	v_fma_f64 v[157:158], v[39:40], v[131:132], v[157:158]
	v_fma_f64 v[163:164], -v[15:16], v[133:134], v[163:164]
	v_fma_f64 v[165:166], v[13:14], v[133:134], v[165:166]
	v_fma_f64 v[107:108], v[37:38], v[131:132], v[107:108]
	s_waitcnt vmcnt(8)
	v_fma_f64 v[111:112], v[41:42], v[69:70], v[111:112]
	v_fma_f64 v[157:158], v[37:38], v[133:134], v[157:158]
	v_fma_f64 v[171:172], -v[39:40], v[133:134], v[107:108]
	s_clause 0x1
	global_load_dwordx4 v[37:40], v[109:110], off offset:176
	global_load_dwordx4 v[107:110], v[109:110], off offset:240
	;; [unrolled: 1-line block ×3, first 2 shown]
	v_fma_f64 v[113:114], v[151:152], v[131:132], v[167:168]
	v_fma_f64 v[131:132], v[153:154], v[131:132], v[169:170]
	v_fma_f64 v[113:114], -v[153:154], v[133:134], v[113:114]
	v_fma_f64 v[131:132], v[151:152], v[133:134], v[131:132]
	v_fma_f64 v[133:134], v[43:44], v[69:70], v[155:156]
	;; [unrolled: 1-line block ×6, first 2 shown]
	v_fma_f64 v[43:44], -v[43:44], v[71:72], v[111:112]
	v_fma_f64 v[113:114], v[135:136], v[69:70], v[113:114]
	v_fma_f64 v[69:70], v[137:138], v[69:70], v[131:132]
	;; [unrolled: 1-line block ×3, first 2 shown]
	v_fma_f64 v[35:36], -v[35:36], v[71:72], v[151:152]
	v_fma_f64 v[33:34], v[33:34], v[71:72], v[153:154]
	v_fma_f64 v[11:12], -v[11:12], v[71:72], v[155:156]
	v_fma_f64 v[9:10], v[9:10], v[71:72], v[157:158]
	;; [unrolled: 2-line block ×3, first 2 shown]
	s_waitcnt vmcnt(8)
	v_fma_f64 v[43:44], v[25:26], v[95:96], v[43:44]
	v_fma_f64 v[41:42], v[27:28], v[95:96], v[41:42]
	v_fma_f64 v[35:36], v[17:18], v[95:96], v[35:36]
	v_fma_f64 v[33:34], v[19:20], v[95:96], v[33:34]
	v_fma_f64 v[11:12], v[53:54], v[95:96], v[11:12]
	v_fma_f64 v[9:10], v[55:56], v[95:96], v[9:10]
	v_fma_f64 v[71:72], v[87:88], v[95:96], v[111:112]
	v_fma_f64 v[69:70], v[89:90], v[95:96], v[69:70]
	v_fma_f64 v[27:28], -v[27:28], v[97:98], v[43:44]
	v_fma_f64 v[25:26], v[25:26], v[97:98], v[41:42]
	v_fma_f64 v[19:20], -v[19:20], v[97:98], v[35:36]
	v_fma_f64 v[17:18], v[17:18], v[97:98], v[33:34]
	;; [unrolled: 2-line block ×4, first 2 shown]
	s_waitcnt vmcnt(6)
	v_fma_f64 v[27:28], v[83:84], v[49:50], v[27:28]
	v_fma_f64 v[25:26], v[85:86], v[49:50], v[25:26]
	;; [unrolled: 1-line block ×8, first 2 shown]
	v_fma_f64 v[27:28], -v[85:86], v[51:52], v[27:28]
	v_fma_f64 v[25:26], v[83:84], v[51:52], v[25:26]
	v_fma_f64 v[19:20], -v[117:118], v[51:52], v[19:20]
	v_fma_f64 v[17:18], v[115:116], v[51:52], v[17:18]
	;; [unrolled: 2-line block ×4, first 2 shown]
	v_fma_f64 v[27:28], v[143:144], v[21:22], v[27:28]
	v_fma_f64 v[25:26], v[145:146], v[21:22], v[25:26]
	;; [unrolled: 1-line block ×8, first 2 shown]
	v_fma_f64 v[27:28], -v[145:146], v[23:24], v[27:28]
	v_fma_f64 v[25:26], v[143:144], v[23:24], v[25:26]
	v_fma_f64 v[19:20], -v[63:64], v[23:24], v[19:20]
	v_fma_f64 v[17:18], v[61:62], v[23:24], v[17:18]
	;; [unrolled: 2-line block ×4, first 2 shown]
	s_waitcnt vmcnt(3)
	v_fma_f64 v[23:24], v[127:128], v[45:46], v[27:28]
	v_fma_f64 v[25:26], v[129:130], v[45:46], v[25:26]
	;; [unrolled: 1-line block ×8, first 2 shown]
	v_fma_f64 v[23:24], -v[129:130], v[47:48], v[23:24]
	v_fma_f64 v[25:26], v[127:128], v[47:48], v[25:26]
	v_fma_f64 v[19:20], -v[93:94], v[47:48], v[19:20]
	v_fma_f64 v[17:18], v[91:92], v[47:48], v[17:18]
	;; [unrolled: 2-line block ×4, first 2 shown]
	s_waitcnt vmcnt(0)
	v_fma_f64 v[23:24], v[119:120], v[13:14], v[23:24]
	v_fma_f64 v[25:26], v[121:122], v[13:14], v[25:26]
	;; [unrolled: 1-line block ×8, first 2 shown]
	v_fma_f64 v[95:96], -v[121:122], v[15:16], v[23:24]
	v_fma_f64 v[93:94], v[119:120], v[15:16], v[25:26]
	v_fma_f64 v[97:98], -v[161:162], v[15:16], v[19:20]
	v_fma_f64 v[91:92], v[159:160], v[15:16], v[17:18]
	v_fma_f64 v[89:90], -v[39:40], v[15:16], v[11:12]
	v_fma_f64 v[87:88], v[37:38], v[15:16], v[9:10]
	v_fma_f64 v[83:84], -v[109:110], v[15:16], v[27:28]
	v_fma_f64 v[85:86], v[107:108], v[15:16], v[13:14]
	s_andn2_b32 exec_lo, exec_lo, s8
	s_cbranch_execnz .LBB56_21
; %bb.22:
	s_or_b32 exec_lo, exec_lo, s8
.LBB56_23:
	s_or_b32 exec_lo, exec_lo, s7
.LBB56_24:
	s_or_b32 exec_lo, exec_lo, s6
	s_cbranch_execz .LBB56_26
	s_branch .LBB56_37
.LBB56_25:
                                        ; implicit-def: $vgpr93_vgpr94
                                        ; implicit-def: $vgpr95_vgpr96
                                        ; implicit-def: $vgpr83_vgpr84
                                        ; implicit-def: $vgpr85_vgpr86
                                        ; implicit-def: $vgpr89_vgpr90
                                        ; implicit-def: $vgpr87_vgpr88
                                        ; implicit-def: $vgpr97_vgpr98
                                        ; implicit-def: $vgpr91_vgpr92
.LBB56_26:
	v_mov_b32_e32 v93, 0
	v_mov_b32_e32 v95, 0
	;; [unrolled: 1-line block ×16, first 2 shown]
	s_and_saveexec_b32 s1, s0
	s_cbranch_execz .LBB56_36
; %bb.27:
	v_or_b32_e32 v9, 8, v0
	v_not_b32_e32 v13, v99
	v_sub_co_u32 v14, s0, v75, v0
	v_not_b32_e32 v11, v100
	v_sub_co_u32 v9, vcc_lo, v9, v75
	v_sub_co_ci_u32_e64 v10, null, 0, v76, vcc_lo
	v_subrev_co_ci_u32_e64 v15, null, 0, v76, s0
	v_add_co_u32 v9, vcc_lo, v9, v99
	v_add_co_ci_u32_e64 v10, null, v10, v100, vcc_lo
	v_add_co_u32 v13, s0, v14, v13
	v_add_co_ci_u32_e64 v11, null, v15, v11, s0
	v_cmp_gt_i64_e32 vcc_lo, v[9:10], v[79:80]
	v_mov_b32_e32 v91, 0
	v_mov_b32_e32 v97, 0
	;; [unrolled: 1-line block ×5, first 2 shown]
	v_cndmask_b32_e32 v9, v79, v9, vcc_lo
	v_cndmask_b32_e32 v10, v80, v10, vcc_lo
	v_mov_b32_e32 v83, 0
	v_mov_b32_e32 v95, 0
	;; [unrolled: 1-line block ×3, first 2 shown]
	v_add_co_u32 v9, vcc_lo, v13, v9
	v_mov_b32_e32 v12, 0
	v_mov_b32_e32 v92, 0
	;; [unrolled: 1-line block ×4, first 2 shown]
	v_add_co_ci_u32_e64 v10, null, v11, v10, vcc_lo
	v_and_b32_e32 v11, 24, v9
	v_mov_b32_e32 v90, 0
	v_mov_b32_e32 v86, 0
	;; [unrolled: 1-line block ×5, first 2 shown]
	s_mov_b32 s6, exec_lo
	v_cmpx_ne_u64_e32 24, v[11:12]
	s_cbranch_execz .LBB56_31
; %bb.28:
	v_lshrrev_b32_e32 v13, 3, v9
	v_lshlrev_b64 v[11:12], 3, v[77:78]
	v_mov_b32_e32 v93, 0
	v_mov_b32_e32 v95, 0
	;; [unrolled: 1-line block ×3, first 2 shown]
	v_add_nc_u32_e32 v13, 1, v13
	v_mov_b32_e32 v85, 0
	v_add_co_u32 v11, vcc_lo, s12, v11
	v_mov_b32_e32 v89, 0
	v_and_b32_e32 v13, 3, v13
	v_mov_b32_e32 v87, 0
	v_mov_b32_e32 v97, 0
	;; [unrolled: 1-line block ×4, first 2 shown]
	v_sub_co_u32 v13, s0, 0, v13
	v_mov_b32_e32 v96, 0
	v_mov_b32_e32 v84, 0
	v_add_co_ci_u32_e64 v12, null, s13, v12, vcc_lo
	v_mov_b32_e32 v86, 0
	v_mov_b32_e32 v90, 0
	;; [unrolled: 1-line block ×5, first 2 shown]
	v_sub_co_ci_u32_e64 v14, null, 0, 0, s0
	s_mov_b32 s7, 0
.LBB56_29:                              ; =>This Inner Loop Header: Depth=1
	global_load_dwordx2 v[31:32], v[11:12], off
	s_clause 0x3
	global_load_dwordx4 v[15:18], v[81:82], off offset:48
	global_load_dwordx4 v[19:22], v[81:82], off offset:32
	global_load_dwordx4 v[23:26], v[81:82], off offset:16
	global_load_dwordx4 v[27:30], v[81:82], off
	v_add_co_u32 v11, s0, v11, 64
	v_add_co_ci_u32_e64 v12, null, 0, v12, s0
	s_waitcnt vmcnt(4)
	v_sub_co_u32 v31, vcc_lo, v31, v75
	v_sub_co_ci_u32_e64 v32, null, v32, v76, vcc_lo
	v_lshlrev_b64 v[31:32], 6, v[31:32]
	v_add_co_u32 v71, vcc_lo, s2, v31
	v_add_co_ci_u32_e64 v72, null, s3, v32, vcc_lo
	global_load_dwordx4 v[31:34], v[71:72], off
	s_clause 0x3
	global_load_dwordx4 v[35:38], v[81:82], off offset:112
	global_load_dwordx4 v[39:42], v[81:82], off offset:96
	;; [unrolled: 1-line block ×5, first 2 shown]
	s_clause 0x3
	global_load_dwordx4 v[55:58], v[81:82], off offset:176
	global_load_dwordx4 v[59:62], v[81:82], off offset:160
	;; [unrolled: 1-line block ×4, first 2 shown]
	s_clause 0x1
	global_load_dwordx4 v[99:102], v[71:72], off offset:32
	global_load_dwordx4 v[103:106], v[71:72], off offset:48
	s_clause 0x3
	global_load_dwordx4 v[107:110], v[81:82], off offset:192
	global_load_dwordx4 v[111:114], v[81:82], off offset:208
	;; [unrolled: 1-line block ×4, first 2 shown]
	v_add_co_u32 v81, vcc_lo, 0x800, v81
	v_add_co_ci_u32_e64 v82, null, 0, v82, vcc_lo
	v_add_co_u32 v13, vcc_lo, v13, 1
	v_add_co_ci_u32_e64 v14, null, 0, v14, vcc_lo
	;; [unrolled: 2-line block ×3, first 2 shown]
	v_cmp_eq_u64_e32 vcc_lo, 0, v[13:14]
	s_or_b32 s7, vcc_lo, s7
	s_waitcnt vmcnt(15)
	v_fma_f64 v[71:72], v[27:28], v[31:32], v[95:96]
	v_fma_f64 v[93:94], v[29:30], v[31:32], v[93:94]
	v_fma_f64 v[95:96], v[23:24], v[31:32], v[97:98]
	v_fma_f64 v[91:92], v[25:26], v[31:32], v[91:92]
	v_fma_f64 v[89:90], v[19:20], v[31:32], v[89:90]
	v_fma_f64 v[87:88], v[21:22], v[31:32], v[87:88]
	v_fma_f64 v[83:84], v[15:16], v[31:32], v[83:84]
	v_fma_f64 v[31:32], v[17:18], v[31:32], v[85:86]
	v_fma_f64 v[29:30], -v[29:30], v[33:34], v[71:72]
	v_fma_f64 v[27:28], v[27:28], v[33:34], v[93:94]
	v_fma_f64 v[25:26], -v[25:26], v[33:34], v[95:96]
	v_fma_f64 v[23:24], v[23:24], v[33:34], v[91:92]
	v_fma_f64 v[21:22], -v[21:22], v[33:34], v[89:90]
	v_fma_f64 v[19:20], v[19:20], v[33:34], v[87:88]
	v_fma_f64 v[17:18], -v[17:18], v[33:34], v[83:84]
	v_fma_f64 v[15:16], v[15:16], v[33:34], v[31:32]
	s_waitcnt vmcnt(10)
	v_fma_f64 v[29:30], v[47:48], v[51:52], v[29:30]
	v_fma_f64 v[27:28], v[49:50], v[51:52], v[27:28]
	v_fma_f64 v[25:26], v[43:44], v[51:52], v[25:26]
	v_fma_f64 v[23:24], v[45:46], v[51:52], v[23:24]
	v_fma_f64 v[21:22], v[39:40], v[51:52], v[21:22]
	v_fma_f64 v[19:20], v[41:42], v[51:52], v[19:20]
	v_fma_f64 v[17:18], v[35:36], v[51:52], v[17:18]
	v_fma_f64 v[15:16], v[37:38], v[51:52], v[15:16]
	v_fma_f64 v[29:30], -v[49:50], v[53:54], v[29:30]
	v_fma_f64 v[27:28], v[47:48], v[53:54], v[27:28]
	v_fma_f64 v[25:26], -v[45:46], v[53:54], v[25:26]
	v_fma_f64 v[23:24], v[43:44], v[53:54], v[23:24]
	v_fma_f64 v[21:22], -v[41:42], v[53:54], v[21:22]
	v_fma_f64 v[19:20], v[39:40], v[53:54], v[19:20]
	v_fma_f64 v[17:18], -v[37:38], v[53:54], v[17:18]
	v_fma_f64 v[15:16], v[35:36], v[53:54], v[15:16]
	;; [unrolled: 17-line block ×3, first 2 shown]
	s_waitcnt vmcnt(3)
	v_fma_f64 v[29:30], v[107:108], v[103:104], v[29:30]
	v_fma_f64 v[27:28], v[109:110], v[103:104], v[27:28]
	s_waitcnt vmcnt(2)
	v_fma_f64 v[25:26], v[111:112], v[103:104], v[25:26]
	v_fma_f64 v[23:24], v[113:114], v[103:104], v[23:24]
	;; [unrolled: 3-line block ×4, first 2 shown]
	v_fma_f64 v[95:96], -v[109:110], v[105:106], v[29:30]
	v_fma_f64 v[93:94], v[107:108], v[105:106], v[27:28]
	v_fma_f64 v[97:98], -v[113:114], v[105:106], v[25:26]
	v_fma_f64 v[91:92], v[111:112], v[105:106], v[23:24]
	;; [unrolled: 2-line block ×4, first 2 shown]
	s_andn2_b32 exec_lo, exec_lo, s7
	s_cbranch_execnz .LBB56_29
; %bb.30:
	s_or_b32 exec_lo, exec_lo, s7
.LBB56_31:
	s_or_b32 exec_lo, exec_lo, s6
	s_mov_b32 s6, exec_lo
	v_cmpx_lt_u64_e32 23, v[9:10]
	s_cbranch_execz .LBB56_35
; %bb.32:
	v_lshlrev_b64 v[9:10], 3, v[77:78]
	s_mov_b32 s7, 0
	v_add_co_u32 v9, vcc_lo, s12, v9
	v_add_co_ci_u32_e64 v10, null, s13, v10, vcc_lo
	v_add_co_u32 v99, vcc_lo, 0x80, v9
	v_add_co_ci_u32_e64 v100, null, 0, v10, vcc_lo
.LBB56_33:                              ; =>This Inner Loop Header: Depth=1
	global_load_dwordx2 v[103:104], v[99:100], off offset:-128
	s_clause 0xf
	global_load_dwordx4 v[9:12], v[81:82], off offset:48
	global_load_dwordx4 v[17:20], v[81:82], off offset:32
	;; [unrolled: 1-line block ×3, first 2 shown]
	global_load_dwordx4 v[49:52], v[81:82], off
	global_load_dwordx4 v[29:32], v[81:82], off offset:112
	global_load_dwordx4 v[45:48], v[81:82], off offset:96
	;; [unrolled: 1-line block ×12, first 2 shown]
	v_add_co_u32 v139, vcc_lo, 0x800, v81
	v_add_co_ci_u32_e64 v140, null, 0, v82, vcc_lo
	v_add_co_u32 v141, vcc_lo, v81, 0x1000
	v_add_co_ci_u32_e64 v142, null, 0, v82, vcc_lo
	;; [unrolled: 2-line block ×4, first 2 shown]
	s_clause 0x2
	global_load_dwordx2 v[145:146], v[99:100], off offset:-64
	global_load_dwordx2 v[105:106], v[99:100], off
	global_load_dwordx2 v[147:148], v[99:100], off offset:64
	s_clause 0x5
	global_load_dwordx4 v[107:110], v[139:140], off offset:48
	global_load_dwordx4 v[111:114], v[139:140], off offset:32
	;; [unrolled: 1-line block ×6, first 2 shown]
	v_add_co_u32 v81, s0, 0x2000, v81
	v_add_co_ci_u32_e64 v82, null, 0, v82, s0
	s_waitcnt vmcnt(25)
	v_sub_co_u32 v103, vcc_lo, v103, v75
	v_sub_co_ci_u32_e64 v104, null, v104, v76, vcc_lo
	v_lshlrev_b64 v[103:104], 6, v[103:104]
	v_add_co_u32 v103, vcc_lo, s2, v103
	v_add_co_ci_u32_e64 v104, null, s3, v104, vcc_lo
	s_clause 0x1
	global_load_dwordx4 v[131:134], v[103:104], off
	global_load_dwordx4 v[135:138], v[103:104], off offset:16
	s_waitcnt vmcnt(1)
	v_fma_f64 v[93:94], v[51:52], v[131:132], v[93:94]
	v_fma_f64 v[97:98], v[33:34], v[131:132], v[97:98]
	;; [unrolled: 1-line block ×9, first 2 shown]
	v_fma_f64 v[97:98], -v[35:36], v[133:134], v[97:98]
	v_fma_f64 v[91:92], v[33:34], v[133:134], v[91:92]
	v_fma_f64 v[95:96], -v[51:52], v[133:134], v[95:96]
	v_fma_f64 v[89:90], -v[19:20], v[133:134], v[89:90]
	v_fma_f64 v[87:88], v[17:18], v[133:134], v[87:88]
	v_fma_f64 v[131:132], -v[11:12], v[133:134], v[83:84]
	v_fma_f64 v[133:134], v[9:10], v[133:134], v[85:86]
	s_clause 0x4
	global_load_dwordx4 v[49:52], v[139:140], off offset:64
	global_load_dwordx4 v[17:20], v[139:140], off offset:144
	;; [unrolled: 1-line block ×5, first 2 shown]
	s_waitcnt vmcnt(5)
	v_fma_f64 v[93:94], v[67:68], v[135:136], v[93:94]
	v_fma_f64 v[91:92], v[59:60], v[135:136], v[91:92]
	;; [unrolled: 1-line block ×9, first 2 shown]
	v_fma_f64 v[95:96], -v[67:68], v[137:138], v[95:96]
	global_load_dwordx4 v[65:68], v[139:140], off offset:224
	v_fma_f64 v[155:156], -v[47:48], v[137:138], v[89:90]
	v_fma_f64 v[157:158], v[45:46], v[137:138], v[87:88]
	v_fma_f64 v[151:152], -v[59:60], v[137:138], v[93:94]
	v_fma_f64 v[93:94], v[31:32], v[135:136], v[133:134]
	s_clause 0x2
	global_load_dwordx4 v[57:60], v[139:140], off offset:208
	global_load_dwordx4 v[45:48], v[139:140], off offset:176
	;; [unrolled: 1-line block ×3, first 2 shown]
	v_fma_f64 v[131:132], -v[31:32], v[137:138], v[91:92]
	v_fma_f64 v[133:134], v[29:30], v[137:138], v[93:94]
	s_clause 0x1
	global_load_dwordx4 v[29:32], v[103:104], off offset:32
	global_load_dwordx4 v[91:94], v[103:104], off offset:48
	s_waitcnt vmcnt(1)
	v_fma_f64 v[95:96], v[69:70], v[29:30], v[95:96]
	v_fma_f64 v[97:98], v[71:72], v[29:30], v[149:150]
	;; [unrolled: 1-line block ×6, first 2 shown]
	v_fma_f64 v[103:104], -v[71:72], v[31:32], v[95:96]
	v_fma_f64 v[135:136], v[69:70], v[31:32], v[97:98]
	s_clause 0x1
	global_load_dwordx4 v[69:72], v[141:142], off offset:-2048
	global_load_dwordx4 v[95:98], v[141:142], off
	v_fma_f64 v[141:142], v[41:42], v[29:30], v[155:156]
	v_fma_f64 v[29:30], v[27:28], v[29:30], v[133:134]
	v_fma_f64 v[137:138], -v[63:64], v[31:32], v[137:138]
	v_fma_f64 v[139:140], v[61:62], v[31:32], v[139:140]
	v_fma_f64 v[149:150], v[41:42], v[31:32], v[149:150]
	v_fma_f64 v[131:132], -v[27:28], v[31:32], v[131:132]
	global_load_dwordx4 v[61:64], v[143:144], off offset:48
	s_waitcnt vmcnt(3)
	v_fma_f64 v[103:104], v[53:54], v[91:92], v[103:104]
	v_fma_f64 v[135:136], v[55:56], v[91:92], v[135:136]
	v_fma_f64 v[141:142], -v[43:44], v[31:32], v[141:142]
	v_fma_f64 v[133:134], v[25:26], v[31:32], v[29:30]
	v_fma_f64 v[137:138], v[37:38], v[91:92], v[137:138]
	;; [unrolled: 1-line block ×5, first 2 shown]
	v_sub_co_u32 v29, vcc_lo, v145, v75
	v_sub_co_ci_u32_e64 v30, null, v146, v76, vcc_lo
	s_clause 0x1
	global_load_dwordx4 v[41:44], v[143:144], off offset:32
	global_load_dwordx4 v[25:28], v[143:144], off offset:16
	v_lshlrev_b64 v[29:30], 6, v[29:30]
	v_add_co_u32 v145, vcc_lo, s2, v29
	v_add_co_ci_u32_e64 v146, null, s3, v30, vcc_lo
	v_fma_f64 v[141:142], v[21:22], v[91:92], v[141:142]
	v_fma_f64 v[91:92], v[15:16], v[91:92], v[133:134]
	global_load_dwordx4 v[29:32], v[143:144], off offset:112
	v_fma_f64 v[103:104], -v[55:56], v[93:94], v[103:104]
	v_fma_f64 v[135:136], v[53:54], v[93:94], v[135:136]
	global_load_dwordx4 v[53:56], v[143:144], off offset:96
	v_fma_f64 v[137:138], -v[39:40], v[93:94], v[137:138]
	v_fma_f64 v[139:140], v[37:38], v[93:94], v[139:140]
	global_load_dwordx4 v[37:40], v[143:144], off offset:80
	v_fma_f64 v[149:150], v[21:22], v[93:94], v[149:150]
	v_fma_f64 v[131:132], -v[15:16], v[93:94], v[131:132]
	v_fma_f64 v[141:142], -v[23:24], v[93:94], v[141:142]
	global_load_dwordx4 v[21:24], v[143:144], off offset:64
	v_fma_f64 v[133:134], v[13:14], v[93:94], v[91:92]
	s_clause 0x1
	global_load_dwordx4 v[13:16], v[145:146], off
	global_load_dwordx4 v[91:94], v[145:146], off offset:16
	s_waitcnt vmcnt(1)
	v_fma_f64 v[103:104], v[69:70], v[13:14], v[103:104]
	v_fma_f64 v[135:136], v[71:72], v[13:14], v[135:136]
	;; [unrolled: 1-line block ×8, first 2 shown]
	v_fma_f64 v[103:104], -v[71:72], v[15:16], v[103:104]
	v_fma_f64 v[135:136], v[69:70], v[15:16], v[135:136]
	v_fma_f64 v[137:138], -v[117:118], v[15:16], v[137:138]
	v_fma_f64 v[139:140], v[115:116], v[15:16], v[139:140]
	;; [unrolled: 2-line block ×4, first 2 shown]
	s_clause 0x4
	global_load_dwordx4 v[69:72], v[143:144], off offset:160
	global_load_dwordx4 v[115:118], v[143:144], off offset:144
	;; [unrolled: 1-line block ×5, first 2 shown]
	s_waitcnt vmcnt(5)
	v_fma_f64 v[103:104], v[49:50], v[91:92], v[103:104]
	v_fma_f64 v[135:136], v[51:52], v[91:92], v[135:136]
	;; [unrolled: 1-line block ×8, first 2 shown]
	v_fma_f64 v[103:104], -v[51:52], v[93:94], v[103:104]
	v_fma_f64 v[135:136], v[49:50], v[93:94], v[135:136]
	global_load_dwordx4 v[49:52], v[143:144], off offset:208
	v_fma_f64 v[137:138], -v[129:130], v[93:94], v[137:138]
	v_fma_f64 v[139:140], v[127:128], v[93:94], v[139:140]
	global_load_dwordx4 v[127:130], v[143:144], off offset:176
	;; [unrolled: 3-line block ×3, first 2 shown]
	v_fma_f64 v[143:144], -v[121:122], v[93:94], v[131:132]
	v_fma_f64 v[151:152], v[119:120], v[93:94], v[91:92]
	global_load_dwordx4 v[91:94], v[101:102], off
	s_clause 0x1
	global_load_dwordx4 v[119:122], v[145:146], off offset:32
	global_load_dwordx4 v[131:134], v[145:146], off offset:48
	s_waitcnt vmcnt(1)
	v_fma_f64 v[103:104], v[9:10], v[119:120], v[103:104]
	v_fma_f64 v[135:136], v[11:12], v[119:120], v[135:136]
	v_fma_f64 v[145:146], -v[11:12], v[121:122], v[103:104]
	v_fma_f64 v[103:104], v[17:18], v[119:120], v[137:138]
	v_fma_f64 v[137:138], v[19:20], v[119:120], v[139:140]
	;; [unrolled: 1-line block ×3, first 2 shown]
	global_load_dwordx4 v[9:12], v[101:102], off offset:48
	v_fma_f64 v[139:140], -v[19:20], v[121:122], v[103:104]
	v_fma_f64 v[103:104], v[33:34], v[119:120], v[141:142]
	v_fma_f64 v[141:142], v[35:36], v[119:120], v[149:150]
	;; [unrolled: 1-line block ×3, first 2 shown]
	s_waitcnt vmcnt(1)
	v_fma_f64 v[135:136], v[89:90], v[131:132], v[135:136]
	global_load_dwordx4 v[17:20], v[101:102], off offset:32
	v_fma_f64 v[149:150], -v[35:36], v[121:122], v[103:104]
	v_fma_f64 v[103:104], v[45:46], v[119:120], v[143:144]
	v_fma_f64 v[119:120], v[47:48], v[119:120], v[151:152]
	;; [unrolled: 1-line block ×4, first 2 shown]
	global_load_dwordx4 v[33:36], v[101:102], off offset:16
	v_fma_f64 v[135:136], v[87:88], v[133:134], v[135:136]
	v_fma_f64 v[143:144], -v[47:48], v[121:122], v[103:104]
	v_fma_f64 v[119:120], v[45:46], v[121:122], v[119:120]
	v_fma_f64 v[121:122], v[87:88], v[131:132], v[145:146]
	;; [unrolled: 1-line block ×3, first 2 shown]
	v_sub_co_u32 v103, vcc_lo, v105, v75
	v_sub_co_ci_u32_e64 v104, null, v106, v76, vcc_lo
	v_sub_co_u32 v105, vcc_lo, v147, v75
	v_sub_co_ci_u32_e64 v106, null, v148, v76, vcc_lo
	v_lshlrev_b64 v[103:104], 6, v[103:104]
	global_load_dwordx4 v[45:48], v[101:102], off offset:112
	v_fma_f64 v[137:138], v[57:58], v[133:134], v[137:138]
	v_lshlrev_b64 v[105:106], 6, v[105:106]
	v_add_co_u32 v147, vcc_lo, s2, v103
	v_add_co_ci_u32_e64 v148, null, s3, v104, vcc_lo
	v_add_co_u32 v151, vcc_lo, s2, v105
	v_fma_f64 v[145:146], -v[89:90], v[133:134], v[121:122]
	v_fma_f64 v[121:122], v[57:58], v[131:132], v[139:140]
	v_fma_f64 v[119:120], v[85:86], v[131:132], v[119:120]
	v_add_co_ci_u32_e64 v152, null, s3, v106, vcc_lo
	s_clause 0x1
	global_load_dwordx4 v[103:106], v[101:102], off offset:96
	global_load_dwordx4 v[87:90], v[101:102], off offset:80
	v_fma_f64 v[141:142], v[65:66], v[133:134], v[141:142]
	v_add_co_u32 v77, vcc_lo, v77, 32
	v_add_co_ci_u32_e64 v78, null, 0, v78, vcc_lo
	v_add_co_u32 v99, vcc_lo, 0x100, v99
	v_add_co_ci_u32_e64 v100, null, 0, v100, vcc_lo
	v_cmp_ge_i64_e32 vcc_lo, v[77:78], v[79:80]
	s_or_b32 s7, vcc_lo, s7
	v_fma_f64 v[139:140], -v[59:60], v[133:134], v[121:122]
	v_fma_f64 v[121:122], v[65:66], v[131:132], v[149:150]
	global_load_dwordx4 v[57:60], v[101:102], off offset:64
	v_fma_f64 v[149:150], -v[67:68], v[133:134], v[121:122]
	v_fma_f64 v[121:122], v[83:84], v[131:132], v[143:144]
	global_load_dwordx4 v[65:68], v[101:102], off offset:176
	v_fma_f64 v[131:132], -v[85:86], v[133:134], v[121:122]
	v_fma_f64 v[133:134], v[83:84], v[133:134], v[119:120]
	s_clause 0x1
	global_load_dwordx4 v[83:86], v[147:148], off
	global_load_dwordx4 v[119:122], v[147:148], off offset:16
	s_waitcnt vmcnt(1)
	v_fma_f64 v[143:144], v[95:96], v[83:84], v[145:146]
	v_fma_f64 v[135:136], v[97:98], v[83:84], v[135:136]
	;; [unrolled: 1-line block ×8, first 2 shown]
	v_fma_f64 v[143:144], -v[97:98], v[85:86], v[143:144]
	v_fma_f64 v[135:136], v[95:96], v[85:86], v[135:136]
	global_load_dwordx4 v[95:98], v[147:148], off offset:32
	v_fma_f64 v[145:146], -v[43:44], v[85:86], v[145:146]
	v_fma_f64 v[141:142], v[41:42], v[85:86], v[141:142]
	global_load_dwordx4 v[41:44], v[147:148], off offset:48
	;; [unrolled: 3-line block ×3, first 2 shown]
	v_fma_f64 v[131:132], -v[63:64], v[85:86], v[131:132]
	v_fma_f64 v[133:134], v[61:62], v[85:86], v[83:84]
	s_clause 0x1
	global_load_dwordx4 v[61:64], v[151:152], off offset:16
	global_load_dwordx4 v[83:86], v[151:152], off
	s_waitcnt vmcnt(5)
	v_fma_f64 v[143:144], v[21:22], v[119:120], v[143:144]
	v_fma_f64 v[135:136], v[23:24], v[119:120], v[135:136]
	;; [unrolled: 1-line block ×8, first 2 shown]
	v_fma_f64 v[143:144], -v[23:24], v[121:122], v[143:144]
	v_fma_f64 v[135:136], v[21:22], v[121:122], v[135:136]
	global_load_dwordx4 v[21:24], v[101:102], off offset:144
	v_fma_f64 v[145:146], -v[55:56], v[121:122], v[145:146]
	v_fma_f64 v[141:142], v[53:54], v[121:122], v[141:142]
	global_load_dwordx4 v[53:56], v[101:102], off offset:208
	;; [unrolled: 3-line block ×4, first 2 shown]
	s_clause 0x1
	global_load_dwordx4 v[119:122], v[151:152], off offset:48
	global_load_dwordx4 v[131:134], v[151:152], off offset:32
	s_waitcnt vmcnt(10)
	v_fma_f64 v[143:144], v[111:112], v[95:96], v[143:144]
	v_fma_f64 v[135:136], v[113:114], v[95:96], v[135:136]
	;; [unrolled: 1-line block ×5, first 2 shown]
	v_fma_f64 v[143:144], -v[113:114], v[97:98], v[143:144]
	v_fma_f64 v[135:136], v[111:112], v[97:98], v[135:136]
	global_load_dwordx4 v[111:114], v[101:102], off offset:224
	v_fma_f64 v[139:140], -v[117:118], v[97:98], v[139:140]
	v_fma_f64 v[137:138], v[115:116], v[97:98], v[137:138]
	global_load_dwordx4 v[115:118], v[101:102], off offset:240
	v_fma_f64 v[101:102], v[69:70], v[95:96], v[145:146]
	v_fma_f64 v[145:146], v[127:128], v[95:96], v[147:148]
	;; [unrolled: 1-line block ×4, first 2 shown]
	v_fma_f64 v[71:72], -v[71:72], v[97:98], v[101:102]
	v_fma_f64 v[101:102], -v[129:130], v[97:98], v[145:146]
	v_fma_f64 v[95:96], v[127:128], v[97:98], v[95:96]
	s_waitcnt vmcnt(11)
	v_fma_f64 v[97:98], v[123:124], v[41:42], v[143:144]
	v_fma_f64 v[127:128], v[125:126], v[41:42], v[135:136]
	;; [unrolled: 1-line block ×8, first 2 shown]
	v_fma_f64 v[95:96], -v[125:126], v[43:44], v[97:98]
	v_fma_f64 v[97:98], v[123:124], v[43:44], v[127:128]
	v_fma_f64 v[51:52], -v[51:52], v[43:44], v[129:130]
	v_fma_f64 v[49:50], v[49:50], v[43:44], v[135:136]
	v_fma_f64 v[69:70], v[107:108], v[43:44], v[69:70]
	v_fma_f64 v[71:72], -v[109:110], v[43:44], v[71:72]
	v_fma_f64 v[15:16], -v[15:16], v[43:44], v[101:102]
	v_fma_f64 v[13:14], v[13:14], v[43:44], v[41:42]
	s_waitcnt vmcnt(8)
	v_fma_f64 v[41:42], v[91:92], v[83:84], v[95:96]
	v_fma_f64 v[43:44], v[93:94], v[83:84], v[97:98]
	;; [unrolled: 1-line block ×8, first 2 shown]
	v_fma_f64 v[41:42], -v[93:94], v[85:86], v[41:42]
	v_fma_f64 v[43:44], v[91:92], v[85:86], v[43:44]
	v_fma_f64 v[35:36], -v[35:36], v[85:86], v[51:52]
	v_fma_f64 v[33:34], v[33:34], v[85:86], v[49:50]
	v_fma_f64 v[17:18], v[17:18], v[85:86], v[69:70]
	v_fma_f64 v[19:20], -v[19:20], v[85:86], v[71:72]
	v_fma_f64 v[11:12], -v[11:12], v[85:86], v[15:16]
	v_fma_f64 v[9:10], v[9:10], v[85:86], v[13:14]
	v_fma_f64 v[13:14], v[57:58], v[61:62], v[41:42]
	;; [unrolled: 1-line block ×9, first 2 shown]
	v_fma_f64 v[13:14], -v[59:60], v[63:64], v[13:14]
	v_fma_f64 v[15:16], v[57:58], v[63:64], v[15:16]
	v_fma_f64 v[35:36], -v[89:90], v[63:64], v[35:36]
	v_fma_f64 v[33:34], v[87:88], v[63:64], v[33:34]
	v_fma_f64 v[17:18], v[103:104], v[63:64], v[17:18]
	v_fma_f64 v[19:20], -v[105:106], v[63:64], v[19:20]
	v_fma_f64 v[11:12], -v[47:48], v[63:64], v[11:12]
	v_fma_f64 v[9:10], v[45:46], v[63:64], v[9:10]
	s_waitcnt vmcnt(2)
	v_fma_f64 v[13:14], v[37:38], v[131:132], v[13:14]
	v_fma_f64 v[15:16], v[39:40], v[131:132], v[15:16]
	;; [unrolled: 1-line block ×8, first 2 shown]
	v_fma_f64 v[13:14], -v[39:40], v[133:134], v[13:14]
	v_fma_f64 v[15:16], v[37:38], v[133:134], v[15:16]
	v_fma_f64 v[23:24], -v[23:24], v[133:134], v[35:36]
	v_fma_f64 v[21:22], v[21:22], v[133:134], v[33:34]
	v_fma_f64 v[17:18], v[25:26], v[133:134], v[17:18]
	v_fma_f64 v[19:20], -v[27:28], v[133:134], v[19:20]
	v_fma_f64 v[11:12], -v[67:68], v[133:134], v[11:12]
	v_fma_f64 v[9:10], v[65:66], v[133:134], v[9:10]
	v_fma_f64 v[13:14], v[29:30], v[119:120], v[13:14]
	v_fma_f64 v[15:16], v[31:32], v[119:120], v[15:16]
	v_fma_f64 v[23:24], v[53:54], v[119:120], v[23:24]
	v_fma_f64 v[21:22], v[55:56], v[119:120], v[21:22]
	v_fma_f64 v[95:96], -v[31:32], v[121:122], v[13:14]
	v_fma_f64 v[93:94], v[29:30], v[121:122], v[15:16]
	v_fma_f64 v[97:98], -v[55:56], v[121:122], v[23:24]
	v_fma_f64 v[91:92], v[53:54], v[121:122], v[21:22]
	s_waitcnt vmcnt(1)
	v_fma_f64 v[19:20], v[111:112], v[119:120], v[19:20]
	v_fma_f64 v[17:18], v[113:114], v[119:120], v[17:18]
	s_waitcnt vmcnt(0)
	v_fma_f64 v[11:12], v[115:116], v[119:120], v[11:12]
	v_fma_f64 v[9:10], v[117:118], v[119:120], v[9:10]
	v_fma_f64 v[89:90], -v[113:114], v[121:122], v[19:20]
	v_fma_f64 v[87:88], v[111:112], v[121:122], v[17:18]
	v_fma_f64 v[83:84], -v[117:118], v[121:122], v[11:12]
	v_fma_f64 v[85:86], v[115:116], v[121:122], v[9:10]
	s_andn2_b32 exec_lo, exec_lo, s7
	s_cbranch_execnz .LBB56_33
; %bb.34:
	s_or_b32 exec_lo, exec_lo, s7
.LBB56_35:
	s_or_b32 exec_lo, exec_lo, s6
.LBB56_36:
	s_or_b32 exec_lo, exec_lo, s1
.LBB56_37:
	v_mbcnt_lo_u32_b32 v41, -1, 0
	v_xor_b32_e32 v9, 4, v41
	v_xor_b32_e32 v25, 2, v41
	v_cmp_gt_i32_e32 vcc_lo, 32, v9
	v_cndmask_b32_e32 v9, v41, v9, vcc_lo
	v_cmp_gt_i32_e32 vcc_lo, 32, v25
	v_lshlrev_b32_e32 v24, 2, v9
	v_cndmask_b32_e32 v27, v41, v25, vcc_lo
	ds_bpermute_b32 v9, v24, v95
	ds_bpermute_b32 v10, v24, v96
	;; [unrolled: 1-line block ×16, first 2 shown]
	v_lshlrev_b32_e32 v40, 2, v27
	s_waitcnt lgkmcnt(14)
	v_add_f64 v[9:10], v[95:96], v[9:10]
	s_waitcnt lgkmcnt(12)
	v_add_f64 v[11:12], v[93:94], v[11:12]
	;; [unrolled: 2-line block ×8, first 2 shown]
	ds_bpermute_b32 v23, v40, v9
	ds_bpermute_b32 v24, v40, v10
	;; [unrolled: 1-line block ×16, first 2 shown]
	s_waitcnt lgkmcnt(14)
	v_add_f64 v[9:10], v[9:10], v[23:24]
	s_waitcnt lgkmcnt(12)
	v_add_f64 v[27:28], v[11:12], v[27:28]
	;; [unrolled: 2-line block ×3, first 2 shown]
	v_xor_b32_e32 v29, 1, v41
	s_waitcnt lgkmcnt(8)
	v_add_f64 v[23:24], v[15:16], v[31:32]
	s_waitcnt lgkmcnt(6)
	v_add_f64 v[13:14], v[17:18], v[33:34]
	;; [unrolled: 2-line block ×3, first 2 shown]
	v_cmp_gt_i32_e32 vcc_lo, 32, v29
	s_waitcnt lgkmcnt(2)
	v_add_f64 v[15:16], v[21:22], v[37:38]
	s_waitcnt lgkmcnt(0)
	v_add_f64 v[19:20], v[25:26], v[39:40]
	v_cndmask_b32_e32 v29, v41, v29, vcc_lo
	v_cmp_eq_u32_e32 vcc_lo, 7, v0
	v_lshlrev_b32_e32 v34, 2, v29
	ds_bpermute_b32 v21, v34, v9
	ds_bpermute_b32 v22, v34, v10
	;; [unrolled: 1-line block ×16, first 2 shown]
	s_and_b32 exec_lo, exec_lo, vcc_lo
	s_cbranch_execz .LBB56_8
; %bb.38:
	s_waitcnt lgkmcnt(12)
	v_add_f64 v[27:28], v[27:28], v[39:40]
	s_waitcnt lgkmcnt(8)
	v_add_f64 v[23:24], v[23:24], v[37:38]
	;; [unrolled: 2-line block ×4, first 2 shown]
	v_add_f64 v[9:10], v[9:10], v[21:22]
	v_add_f64 v[11:12], v[11:12], v[25:26]
	;; [unrolled: 1-line block ×4, first 2 shown]
	v_cmp_eq_f64_e32 vcc_lo, 0, v[1:2]
	v_cmp_eq_f64_e64 s0, 0, v[3:4]
	s_load_dwordx2 s[2:3], s[4:5], 0x68
	v_mul_f64 v[13:14], v[27:28], -v[7:8]
	v_mul_f64 v[15:16], v[5:6], v[27:28]
	v_mul_f64 v[27:28], v[23:24], -v[7:8]
	v_mul_f64 v[23:24], v[5:6], v[23:24]
	;; [unrolled: 2-line block ×4, first 2 shown]
	s_and_b32 s0, vcc_lo, s0
	v_fma_f64 v[17:18], v[5:6], v[9:10], v[13:14]
	v_fma_f64 v[19:20], v[7:8], v[9:10], v[15:16]
	v_fma_f64 v[13:14], v[5:6], v[11:12], v[27:28]
	v_fma_f64 v[15:16], v[7:8], v[11:12], v[23:24]
	v_fma_f64 v[9:10], v[5:6], v[21:22], v[29:30]
	v_fma_f64 v[11:12], v[7:8], v[21:22], v[31:32]
	v_fma_f64 v[5:6], v[5:6], v[25:26], v[33:34]
	v_fma_f64 v[7:8], v[7:8], v[25:26], v[35:36]
	v_lshlrev_b64 v[21:22], 6, v[73:74]
	s_and_saveexec_b32 s1, s0
	s_xor_b32 s0, exec_lo, s1
	s_cbranch_execz .LBB56_40
; %bb.39:
	s_waitcnt lgkmcnt(0)
	v_add_co_u32 v0, vcc_lo, s2, v21
	v_add_co_ci_u32_e64 v1, null, s3, v22, vcc_lo
                                        ; implicit-def: $vgpr21_vgpr22
	global_store_dwordx4 v[0:1], v[17:20], off
	global_store_dwordx4 v[0:1], v[13:16], off offset:16
	global_store_dwordx4 v[0:1], v[9:12], off offset:32
	;; [unrolled: 1-line block ×3, first 2 shown]
                                        ; implicit-def: $vgpr3_vgpr4
                                        ; implicit-def: $vgpr17_vgpr18
                                        ; implicit-def: $vgpr13_vgpr14
                                        ; implicit-def: $vgpr9_vgpr10
                                        ; implicit-def: $vgpr5_vgpr6
.LBB56_40:
	s_andn2_saveexec_b32 s0, s0
	s_cbranch_execz .LBB56_8
; %bb.41:
	s_waitcnt lgkmcnt(0)
	v_add_co_u32 v37, vcc_lo, s2, v21
	v_add_co_ci_u32_e64 v38, null, s3, v22, vcc_lo
	s_clause 0x3
	global_load_dwordx4 v[21:24], v[37:38], off
	global_load_dwordx4 v[25:28], v[37:38], off offset:16
	global_load_dwordx4 v[29:32], v[37:38], off offset:32
	;; [unrolled: 1-line block ×3, first 2 shown]
	s_waitcnt vmcnt(3)
	v_fma_f64 v[17:18], v[1:2], v[21:22], v[17:18]
	v_fma_f64 v[19:20], v[3:4], v[21:22], v[19:20]
	s_waitcnt vmcnt(2)
	v_fma_f64 v[13:14], v[1:2], v[25:26], v[13:14]
	v_fma_f64 v[15:16], v[3:4], v[25:26], v[15:16]
	s_waitcnt vmcnt(1)
	v_fma_f64 v[21:22], v[1:2], v[29:30], v[9:10]
	v_fma_f64 v[25:26], v[3:4], v[29:30], v[11:12]
	s_waitcnt vmcnt(0)
	v_fma_f64 v[29:30], v[1:2], v[33:34], v[5:6]
	v_fma_f64 v[33:34], v[3:4], v[33:34], v[7:8]
	v_fma_f64 v[5:6], -v[3:4], v[23:24], v[17:18]
	v_fma_f64 v[7:8], v[1:2], v[23:24], v[19:20]
	v_fma_f64 v[9:10], -v[3:4], v[27:28], v[13:14]
	v_fma_f64 v[11:12], v[1:2], v[27:28], v[15:16]
	;; [unrolled: 2-line block ×4, first 2 shown]
	global_store_dwordx4 v[37:38], v[5:8], off
	global_store_dwordx4 v[37:38], v[9:12], off offset:16
	global_store_dwordx4 v[37:38], v[13:16], off offset:32
	;; [unrolled: 1-line block ×3, first 2 shown]
	s_endpgm
	.section	.rodata,"a",@progbits
	.p2align	6, 0x0
	.amdhsa_kernel _ZN9rocsparseL18bsrxmvn_4x4_kernelILj128ELj8E21rocsparse_complex_numIdEllS2_S2_S2_EEvT3_20rocsparse_direction_NS_24const_host_device_scalarIT1_EES3_PKS3_PKT2_SC_S9_PKT4_PKT5_S7_PT6_21rocsparse_index_base_b
		.amdhsa_group_segment_fixed_size 0
		.amdhsa_private_segment_fixed_size 0
		.amdhsa_kernarg_size 120
		.amdhsa_user_sgpr_count 6
		.amdhsa_user_sgpr_private_segment_buffer 1
		.amdhsa_user_sgpr_dispatch_ptr 0
		.amdhsa_user_sgpr_queue_ptr 0
		.amdhsa_user_sgpr_kernarg_segment_ptr 1
		.amdhsa_user_sgpr_dispatch_id 0
		.amdhsa_user_sgpr_flat_scratch_init 0
		.amdhsa_user_sgpr_private_segment_size 0
		.amdhsa_wavefront_size32 1
		.amdhsa_uses_dynamic_stack 0
		.amdhsa_system_sgpr_private_segment_wavefront_offset 0
		.amdhsa_system_sgpr_workgroup_id_x 1
		.amdhsa_system_sgpr_workgroup_id_y 0
		.amdhsa_system_sgpr_workgroup_id_z 0
		.amdhsa_system_sgpr_workgroup_info 0
		.amdhsa_system_vgpr_workitem_id 0
		.amdhsa_next_free_vgpr 181
		.amdhsa_next_free_sgpr 16
		.amdhsa_reserve_vcc 1
		.amdhsa_reserve_flat_scratch 0
		.amdhsa_float_round_mode_32 0
		.amdhsa_float_round_mode_16_64 0
		.amdhsa_float_denorm_mode_32 3
		.amdhsa_float_denorm_mode_16_64 3
		.amdhsa_dx10_clamp 1
		.amdhsa_ieee_mode 1
		.amdhsa_fp16_overflow 0
		.amdhsa_workgroup_processor_mode 1
		.amdhsa_memory_ordered 1
		.amdhsa_forward_progress 1
		.amdhsa_shared_vgpr_count 0
		.amdhsa_exception_fp_ieee_invalid_op 0
		.amdhsa_exception_fp_denorm_src 0
		.amdhsa_exception_fp_ieee_div_zero 0
		.amdhsa_exception_fp_ieee_overflow 0
		.amdhsa_exception_fp_ieee_underflow 0
		.amdhsa_exception_fp_ieee_inexact 0
		.amdhsa_exception_int_div_zero 0
	.end_amdhsa_kernel
	.section	.text._ZN9rocsparseL18bsrxmvn_4x4_kernelILj128ELj8E21rocsparse_complex_numIdEllS2_S2_S2_EEvT3_20rocsparse_direction_NS_24const_host_device_scalarIT1_EES3_PKS3_PKT2_SC_S9_PKT4_PKT5_S7_PT6_21rocsparse_index_base_b,"axG",@progbits,_ZN9rocsparseL18bsrxmvn_4x4_kernelILj128ELj8E21rocsparse_complex_numIdEllS2_S2_S2_EEvT3_20rocsparse_direction_NS_24const_host_device_scalarIT1_EES3_PKS3_PKT2_SC_S9_PKT4_PKT5_S7_PT6_21rocsparse_index_base_b,comdat
.Lfunc_end56:
	.size	_ZN9rocsparseL18bsrxmvn_4x4_kernelILj128ELj8E21rocsparse_complex_numIdEllS2_S2_S2_EEvT3_20rocsparse_direction_NS_24const_host_device_scalarIT1_EES3_PKS3_PKT2_SC_S9_PKT4_PKT5_S7_PT6_21rocsparse_index_base_b, .Lfunc_end56-_ZN9rocsparseL18bsrxmvn_4x4_kernelILj128ELj8E21rocsparse_complex_numIdEllS2_S2_S2_EEvT3_20rocsparse_direction_NS_24const_host_device_scalarIT1_EES3_PKS3_PKT2_SC_S9_PKT4_PKT5_S7_PT6_21rocsparse_index_base_b
                                        ; -- End function
	.set _ZN9rocsparseL18bsrxmvn_4x4_kernelILj128ELj8E21rocsparse_complex_numIdEllS2_S2_S2_EEvT3_20rocsparse_direction_NS_24const_host_device_scalarIT1_EES3_PKS3_PKT2_SC_S9_PKT4_PKT5_S7_PT6_21rocsparse_index_base_b.num_vgpr, 181
	.set _ZN9rocsparseL18bsrxmvn_4x4_kernelILj128ELj8E21rocsparse_complex_numIdEllS2_S2_S2_EEvT3_20rocsparse_direction_NS_24const_host_device_scalarIT1_EES3_PKS3_PKT2_SC_S9_PKT4_PKT5_S7_PT6_21rocsparse_index_base_b.num_agpr, 0
	.set _ZN9rocsparseL18bsrxmvn_4x4_kernelILj128ELj8E21rocsparse_complex_numIdEllS2_S2_S2_EEvT3_20rocsparse_direction_NS_24const_host_device_scalarIT1_EES3_PKS3_PKT2_SC_S9_PKT4_PKT5_S7_PT6_21rocsparse_index_base_b.numbered_sgpr, 16
	.set _ZN9rocsparseL18bsrxmvn_4x4_kernelILj128ELj8E21rocsparse_complex_numIdEllS2_S2_S2_EEvT3_20rocsparse_direction_NS_24const_host_device_scalarIT1_EES3_PKS3_PKT2_SC_S9_PKT4_PKT5_S7_PT6_21rocsparse_index_base_b.num_named_barrier, 0
	.set _ZN9rocsparseL18bsrxmvn_4x4_kernelILj128ELj8E21rocsparse_complex_numIdEllS2_S2_S2_EEvT3_20rocsparse_direction_NS_24const_host_device_scalarIT1_EES3_PKS3_PKT2_SC_S9_PKT4_PKT5_S7_PT6_21rocsparse_index_base_b.private_seg_size, 0
	.set _ZN9rocsparseL18bsrxmvn_4x4_kernelILj128ELj8E21rocsparse_complex_numIdEllS2_S2_S2_EEvT3_20rocsparse_direction_NS_24const_host_device_scalarIT1_EES3_PKS3_PKT2_SC_S9_PKT4_PKT5_S7_PT6_21rocsparse_index_base_b.uses_vcc, 1
	.set _ZN9rocsparseL18bsrxmvn_4x4_kernelILj128ELj8E21rocsparse_complex_numIdEllS2_S2_S2_EEvT3_20rocsparse_direction_NS_24const_host_device_scalarIT1_EES3_PKS3_PKT2_SC_S9_PKT4_PKT5_S7_PT6_21rocsparse_index_base_b.uses_flat_scratch, 0
	.set _ZN9rocsparseL18bsrxmvn_4x4_kernelILj128ELj8E21rocsparse_complex_numIdEllS2_S2_S2_EEvT3_20rocsparse_direction_NS_24const_host_device_scalarIT1_EES3_PKS3_PKT2_SC_S9_PKT4_PKT5_S7_PT6_21rocsparse_index_base_b.has_dyn_sized_stack, 0
	.set _ZN9rocsparseL18bsrxmvn_4x4_kernelILj128ELj8E21rocsparse_complex_numIdEllS2_S2_S2_EEvT3_20rocsparse_direction_NS_24const_host_device_scalarIT1_EES3_PKS3_PKT2_SC_S9_PKT4_PKT5_S7_PT6_21rocsparse_index_base_b.has_recursion, 0
	.set _ZN9rocsparseL18bsrxmvn_4x4_kernelILj128ELj8E21rocsparse_complex_numIdEllS2_S2_S2_EEvT3_20rocsparse_direction_NS_24const_host_device_scalarIT1_EES3_PKS3_PKT2_SC_S9_PKT4_PKT5_S7_PT6_21rocsparse_index_base_b.has_indirect_call, 0
	.section	.AMDGPU.csdata,"",@progbits
; Kernel info:
; codeLenInByte = 10780
; TotalNumSgprs: 18
; NumVgprs: 181
; ScratchSize: 0
; MemoryBound: 1
; FloatMode: 240
; IeeeMode: 1
; LDSByteSize: 0 bytes/workgroup (compile time only)
; SGPRBlocks: 0
; VGPRBlocks: 22
; NumSGPRsForWavesPerEU: 18
; NumVGPRsForWavesPerEU: 181
; Occupancy: 5
; WaveLimiterHint : 1
; COMPUTE_PGM_RSRC2:SCRATCH_EN: 0
; COMPUTE_PGM_RSRC2:USER_SGPR: 6
; COMPUTE_PGM_RSRC2:TRAP_HANDLER: 0
; COMPUTE_PGM_RSRC2:TGID_X_EN: 1
; COMPUTE_PGM_RSRC2:TGID_Y_EN: 0
; COMPUTE_PGM_RSRC2:TGID_Z_EN: 0
; COMPUTE_PGM_RSRC2:TIDIG_COMP_CNT: 0
	.section	.text._ZN9rocsparseL18bsrxmvn_4x4_kernelILj128ELj16E21rocsparse_complex_numIdEllS2_S2_S2_EEvT3_20rocsparse_direction_NS_24const_host_device_scalarIT1_EES3_PKS3_PKT2_SC_S9_PKT4_PKT5_S7_PT6_21rocsparse_index_base_b,"axG",@progbits,_ZN9rocsparseL18bsrxmvn_4x4_kernelILj128ELj16E21rocsparse_complex_numIdEllS2_S2_S2_EEvT3_20rocsparse_direction_NS_24const_host_device_scalarIT1_EES3_PKS3_PKT2_SC_S9_PKT4_PKT5_S7_PT6_21rocsparse_index_base_b,comdat
	.globl	_ZN9rocsparseL18bsrxmvn_4x4_kernelILj128ELj16E21rocsparse_complex_numIdEllS2_S2_S2_EEvT3_20rocsparse_direction_NS_24const_host_device_scalarIT1_EES3_PKS3_PKT2_SC_S9_PKT4_PKT5_S7_PT6_21rocsparse_index_base_b ; -- Begin function _ZN9rocsparseL18bsrxmvn_4x4_kernelILj128ELj16E21rocsparse_complex_numIdEllS2_S2_S2_EEvT3_20rocsparse_direction_NS_24const_host_device_scalarIT1_EES3_PKS3_PKT2_SC_S9_PKT4_PKT5_S7_PT6_21rocsparse_index_base_b
	.p2align	8
	.type	_ZN9rocsparseL18bsrxmvn_4x4_kernelILj128ELj16E21rocsparse_complex_numIdEllS2_S2_S2_EEvT3_20rocsparse_direction_NS_24const_host_device_scalarIT1_EES3_PKS3_PKT2_SC_S9_PKT4_PKT5_S7_PT6_21rocsparse_index_base_b,@function
_ZN9rocsparseL18bsrxmvn_4x4_kernelILj128ELj16E21rocsparse_complex_numIdEllS2_S2_S2_EEvT3_20rocsparse_direction_NS_24const_host_device_scalarIT1_EES3_PKS3_PKT2_SC_S9_PKT4_PKT5_S7_PT6_21rocsparse_index_base_b: ; @_ZN9rocsparseL18bsrxmvn_4x4_kernelILj128ELj16E21rocsparse_complex_numIdEllS2_S2_S2_EEvT3_20rocsparse_direction_NS_24const_host_device_scalarIT1_EES3_PKS3_PKT2_SC_S9_PKT4_PKT5_S7_PT6_21rocsparse_index_base_b
; %bb.0:
	s_clause 0x1
	s_load_dwordx2 s[2:3], s[4:5], 0x70
	s_load_dwordx2 s[0:1], s[4:5], 0x10
	s_add_u32 s7, s4, 16
	s_addc_u32 s10, s5, 0
	s_add_u32 s11, s4, 0x58
	s_addc_u32 s12, s5, 0
	s_load_dwordx2 s[8:9], s[4:5], 0x58
	s_waitcnt lgkmcnt(0)
	s_bitcmp1_b32 s3, 0
	s_cselect_b32 s0, s7, s0
	s_cselect_b32 s1, s10, s1
	v_mov_b32_e32 v1, s0
	v_mov_b32_e32 v2, s1
	s_cselect_b32 s0, s11, s8
	s_cselect_b32 s1, s12, s9
	flat_load_dwordx4 v[5:8], v[1:2]
	v_mov_b32_e32 v1, s0
	v_mov_b32_e32 v2, s1
	flat_load_dwordx4 v[1:4], v[1:2]
	s_waitcnt vmcnt(1) lgkmcnt(1)
	v_cmp_eq_f64_e32 vcc_lo, 0, v[5:6]
	v_cmp_eq_f64_e64 s0, 0, v[7:8]
	s_and_b32 s3, vcc_lo, s0
	s_mov_b32 s0, -1
	s_and_saveexec_b32 s1, s3
	s_cbranch_execz .LBB57_2
; %bb.1:
	s_waitcnt vmcnt(0) lgkmcnt(0)
	v_cmp_neq_f64_e32 vcc_lo, 1.0, v[1:2]
	v_cmp_neq_f64_e64 s0, 0, v[3:4]
	s_or_b32 s0, vcc_lo, s0
	s_orn2_b32 s0, s0, exec_lo
.LBB57_2:
	s_or_b32 exec_lo, exec_lo, s1
	s_and_saveexec_b32 s1, s0
	s_cbranch_execz .LBB57_8
; %bb.3:
	s_load_dwordx2 s[0:1], s[4:5], 0x28
	v_lshrrev_b32_e32 v9, 4, v0
	v_mov_b32_e32 v10, 0
	v_lshl_or_b32 v9, s6, 3, v9
	s_waitcnt lgkmcnt(0)
	s_cmp_lg_u64 s[0:1], 0
	s_cbranch_scc0 .LBB57_9
; %bb.4:
	s_load_dwordx2 s[6:7], s[4:5], 0x20
                                        ; implicit-def: $vgpr77_vgpr78
                                        ; implicit-def: $vgpr79_vgpr80
	s_waitcnt lgkmcnt(0)
	v_cmp_gt_i64_e32 vcc_lo, s[6:7], v[9:10]
	s_mov_b32 s7, 0
	s_mov_b32 s6, 0
	s_and_saveexec_b32 s3, vcc_lo
	s_xor_b32 s8, exec_lo, s3
	s_cbranch_execz .LBB57_6
; %bb.5:
	v_lshlrev_b64 v[11:12], 3, v[9:10]
	s_mov_b32 s3, 0
	s_mov_b32 s6, exec_lo
	v_mov_b32_e32 v80, s3
	v_mov_b32_e32 v79, s2
	v_add_co_u32 v11, vcc_lo, s0, v11
	v_add_co_ci_u32_e64 v12, null, s1, v12, vcc_lo
	global_load_dwordx2 v[11:12], v[11:12], off
	s_waitcnt vmcnt(0)
	v_sub_co_u32 v77, vcc_lo, v11, s2
	v_subrev_co_ci_u32_e64 v78, null, 0, v12, vcc_lo
.LBB57_6:
	s_or_b32 exec_lo, exec_lo, s8
	s_and_b32 vcc_lo, exec_lo, s7
	s_cbranch_vccnz .LBB57_10
.LBB57_7:
	s_and_b32 exec_lo, exec_lo, s6
	s_cbranch_execnz .LBB57_13
.LBB57_8:
	s_endpgm
.LBB57_9:
	s_mov_b32 s6, 0
                                        ; implicit-def: $vgpr77_vgpr78
                                        ; implicit-def: $vgpr79_vgpr80
	s_cbranch_execz .LBB57_7
.LBB57_10:
	s_load_dwordx2 s[0:1], s[4:5], 0x0
	s_waitcnt lgkmcnt(0)
	v_cmp_gt_i64_e32 vcc_lo, s[0:1], v[9:10]
	s_and_saveexec_b32 s0, vcc_lo
; %bb.11:
	s_mov_b32 s3, 0
	s_or_b32 s6, s6, exec_lo
; %bb.12:
	s_or_b32 exec_lo, exec_lo, s0
	v_mov_b32_e32 v80, s3
	v_mov_b32_e32 v78, v10
	;; [unrolled: 1-line block ×4, first 2 shown]
	s_and_b32 exec_lo, exec_lo, s6
	s_cbranch_execz .LBB57_8
.LBB57_13:
	s_load_dwordx8 s[8:15], s[4:5], 0x30
	v_lshlrev_b64 v[9:10], 3, v[77:78]
	v_and_b32_e32 v0, 15, v0
	s_clause 0x1
	s_load_dword s1, s[4:5], 0x8
	s_load_dwordx2 s[2:3], s[4:5], 0x50
	s_waitcnt lgkmcnt(0)
	v_add_co_u32 v11, vcc_lo, s8, v9
	v_add_co_ci_u32_e64 v12, null, s9, v10, vcc_lo
	v_add_co_u32 v9, vcc_lo, s10, v9
	v_add_co_ci_u32_e64 v10, null, s11, v10, vcc_lo
	;; [unrolled: 2-line block ×3, first 2 shown]
	global_load_dwordx2 v[103:104], v[11:12], off
	s_cmp_eq_u64 s[10:11], 0
	s_cselect_b32 vcc_lo, -1, 0
	s_cmp_eq_u32 s1, 1
	v_cndmask_b32_e32 v10, v10, v14, vcc_lo
	v_cndmask_b32_e32 v9, v9, v13, vcc_lo
	global_load_dwordx2 v[9:10], v[9:10], off
	s_waitcnt vmcnt(1)
	v_sub_co_u32 v11, vcc_lo, v103, v79
	v_sub_co_ci_u32_e64 v12, null, v104, v80, vcc_lo
	v_add_co_u32 v81, vcc_lo, v11, v0
	v_add_co_ci_u32_e64 v82, null, 0, v12, vcc_lo
	s_waitcnt vmcnt(0)
	v_sub_co_u32 v83, vcc_lo, v9, v79
	v_sub_co_ci_u32_e64 v84, null, v10, v80, vcc_lo
	v_lshlrev_b64 v[9:10], 8, v[81:82]
	v_cmp_lt_i64_e64 s0, v[81:82], v[83:84]
	v_add_co_u32 v85, vcc_lo, s14, v9
	v_add_co_ci_u32_e64 v86, null, s15, v10, vcc_lo
	s_cbranch_scc1 .LBB57_25
; %bb.14:
	v_mov_b32_e32 v97, 0
	v_mov_b32_e32 v99, 0
	;; [unrolled: 1-line block ×16, first 2 shown]
	s_and_saveexec_b32 s6, s0
	s_cbranch_execz .LBB57_24
; %bb.15:
	v_or_b32_e32 v9, 16, v0
	v_not_b32_e32 v13, v103
	v_not_b32_e32 v11, v104
	v_mov_b32_e32 v91, 0
	v_mov_b32_e32 v101, 0
	v_sub_co_u32 v9, vcc_lo, v9, v79
	v_sub_co_ci_u32_e64 v10, null, 0, v80, vcc_lo
	v_mov_b32_e32 v93, 0
	v_add_co_u32 v9, vcc_lo, v9, v103
	v_add_co_ci_u32_e64 v10, null, v10, v104, vcc_lo
	v_sub_co_u32 v14, vcc_lo, v79, v0
	v_subrev_co_ci_u32_e64 v15, null, 0, v80, vcc_lo
	v_cmp_gt_i64_e32 vcc_lo, v[9:10], v[83:84]
	v_add_co_u32 v13, s1, v14, v13
	v_add_co_ci_u32_e64 v11, null, v15, v11, s1
	v_mov_b32_e32 v95, 0
	v_cndmask_b32_e32 v9, v83, v9, vcc_lo
	v_cndmask_b32_e32 v10, v84, v10, vcc_lo
	v_mov_b32_e32 v89, 0
	v_mov_b32_e32 v87, 0
	;; [unrolled: 1-line block ×3, first 2 shown]
	v_add_co_u32 v9, vcc_lo, v13, v9
	v_mov_b32_e32 v97, 0
	v_mov_b32_e32 v108, v86
	;; [unrolled: 1-line block ×8, first 2 shown]
	v_add_co_ci_u32_e64 v10, null, v11, v10, vcc_lo
	v_and_b32_e32 v11, 48, v9
	v_mov_b32_e32 v90, 0
	v_mov_b32_e32 v88, 0
	;; [unrolled: 1-line block ×6, first 2 shown]
	s_mov_b32 s7, exec_lo
	v_cmpx_ne_u64_e32 48, v[11:12]
	s_cbranch_execz .LBB57_19
; %bb.16:
	v_lshrrev_b32_e32 v13, 4, v9
	v_lshlrev_b64 v[11:12], 3, v[81:82]
	v_mov_b32_e32 v97, 0
	v_mov_b32_e32 v106, v82
	;; [unrolled: 1-line block ×3, first 2 shown]
	v_add_nc_u32_e32 v13, 1, v13
	v_mov_b32_e32 v87, 0
	v_add_co_u32 v11, vcc_lo, s12, v11
	v_mov_b32_e32 v89, 0
	v_and_b32_e32 v13, 3, v13
	v_mov_b32_e32 v95, 0
	v_mov_b32_e32 v93, 0
	;; [unrolled: 1-line block ×4, first 2 shown]
	v_sub_co_u32 v13, s1, 0, v13
	v_mov_b32_e32 v108, v86
	v_mov_b32_e32 v98, 0
	;; [unrolled: 1-line block ×5, first 2 shown]
	v_add_co_ci_u32_e64 v12, null, s13, v12, vcc_lo
	v_sub_co_ci_u32_e64 v14, null, 0, 0, s1
	v_mov_b32_e32 v90, 0
	v_mov_b32_e32 v96, 0
	;; [unrolled: 1-line block ×6, first 2 shown]
	s_mov_b32 s8, 0
.LBB57_17:                              ; =>This Inner Loop Header: Depth=1
	global_load_dwordx2 v[43:44], v[11:12], off
	s_clause 0x6
	global_load_dwordx4 v[15:18], v[107:108], off offset:16
	global_load_dwordx4 v[19:22], v[107:108], off
	global_load_dwordx4 v[23:26], v[107:108], off offset:80
	global_load_dwordx4 v[27:30], v[107:108], off offset:64
	;; [unrolled: 1-line block ×5, first 2 shown]
	v_add_co_u32 v11, s1, 0x80, v11
	v_add_co_ci_u32_e64 v12, null, 0, v12, s1
	s_waitcnt vmcnt(7)
	v_sub_co_u32 v43, vcc_lo, v43, v79
	v_sub_co_ci_u32_e64 v44, null, v44, v80, vcc_lo
	v_lshlrev_b64 v[43:44], 6, v[43:44]
	v_add_co_u32 v75, vcc_lo, s2, v43
	v_add_co_ci_u32_e64 v76, null, s3, v44, vcc_lo
	global_load_dwordx4 v[43:46], v[75:76], off
	global_load_dwordx4 v[47:50], v[107:108], off offset:208
	global_load_dwordx4 v[51:54], v[75:76], off offset:16
	s_clause 0x6
	global_load_dwordx4 v[55:58], v[107:108], off offset:48
	global_load_dwordx4 v[59:62], v[107:108], off offset:32
	;; [unrolled: 1-line block ×10, first 2 shown]
	v_add_co_u32 v107, vcc_lo, 0x1000, v107
	v_add_co_ci_u32_e64 v108, null, 0, v108, vcc_lo
	v_add_co_u32 v13, vcc_lo, v13, 1
	v_add_co_ci_u32_e64 v14, null, 0, v14, vcc_lo
	;; [unrolled: 2-line block ×3, first 2 shown]
	v_cmp_eq_u64_e32 vcc_lo, 0, v[13:14]
	s_or_b32 s8, vcc_lo, s8
	s_waitcnt vmcnt(12)
	v_fma_f64 v[75:76], v[19:20], v[43:44], v[99:100]
	v_fma_f64 v[97:98], v[21:22], v[43:44], v[97:98]
	v_fma_f64 v[99:100], v[27:28], v[43:44], v[101:102]
	v_fma_f64 v[91:92], v[29:30], v[43:44], v[91:92]
	v_fma_f64 v[95:96], v[35:36], v[43:44], v[95:96]
	v_fma_f64 v[93:94], v[37:38], v[43:44], v[93:94]
	v_fma_f64 v[87:88], v[39:40], v[43:44], v[87:88]
	v_fma_f64 v[43:44], v[41:42], v[43:44], v[89:90]
	v_fma_f64 v[21:22], -v[21:22], v[45:46], v[75:76]
	v_fma_f64 v[19:20], v[19:20], v[45:46], v[97:98]
	v_fma_f64 v[29:30], -v[29:30], v[45:46], v[99:100]
	v_fma_f64 v[27:28], v[27:28], v[45:46], v[91:92]
	v_fma_f64 v[37:38], -v[37:38], v[45:46], v[95:96]
	v_fma_f64 v[35:36], v[35:36], v[45:46], v[93:94]
	v_fma_f64 v[41:42], -v[41:42], v[45:46], v[87:88]
	v_fma_f64 v[39:40], v[39:40], v[45:46], v[43:44]
	s_waitcnt vmcnt(10)
	v_fma_f64 v[21:22], v[15:16], v[51:52], v[21:22]
	v_fma_f64 v[19:20], v[17:18], v[51:52], v[19:20]
	v_fma_f64 v[29:30], v[23:24], v[51:52], v[29:30]
	v_fma_f64 v[27:28], v[25:26], v[51:52], v[27:28]
	v_fma_f64 v[37:38], v[31:32], v[51:52], v[37:38]
	v_fma_f64 v[35:36], v[33:34], v[51:52], v[35:36]
	v_fma_f64 v[41:42], v[47:48], v[51:52], v[41:42]
	v_fma_f64 v[39:40], v[49:50], v[51:52], v[39:40]
	v_fma_f64 v[17:18], -v[17:18], v[53:54], v[21:22]
	v_fma_f64 v[15:16], v[15:16], v[53:54], v[19:20]
	v_fma_f64 v[19:20], -v[25:26], v[53:54], v[29:30]
	v_fma_f64 v[21:22], v[23:24], v[53:54], v[27:28]
	v_fma_f64 v[23:24], -v[33:34], v[53:54], v[37:38]
	v_fma_f64 v[25:26], v[31:32], v[53:54], v[35:36]
	v_fma_f64 v[27:28], -v[49:50], v[53:54], v[41:42]
	v_fma_f64 v[29:30], v[47:48], v[53:54], v[39:40]
	;; [unrolled: 17-line block ×4, first 2 shown]
	s_andn2_b32 exec_lo, exec_lo, s8
	s_cbranch_execnz .LBB57_17
; %bb.18:
	s_or_b32 exec_lo, exec_lo, s8
.LBB57_19:
	s_or_b32 exec_lo, exec_lo, s7
	s_mov_b32 s7, exec_lo
	v_cmpx_lt_u64_e32 47, v[9:10]
	s_cbranch_execz .LBB57_23
; %bb.20:
	v_lshlrev_b64 v[9:10], 3, v[105:106]
	s_mov_b32 s8, 0
	v_add_co_u32 v9, vcc_lo, s12, v9
	v_add_co_ci_u32_e64 v10, null, s13, v10, vcc_lo
	v_add_co_u32 v109, vcc_lo, 0x100, v9
	v_add_co_ci_u32_e64 v110, null, 0, v10, vcc_lo
.LBB57_21:                              ; =>This Inner Loop Header: Depth=1
	global_load_dwordx2 v[115:116], v[109:110], off offset:-256
	s_clause 0xf
	global_load_dwordx4 v[9:12], v[107:108], off offset:48
	global_load_dwordx4 v[17:20], v[107:108], off offset:32
	;; [unrolled: 1-line block ×3, first 2 shown]
	global_load_dwordx4 v[41:44], v[107:108], off
	global_load_dwordx4 v[13:16], v[107:108], off offset:112
	global_load_dwordx4 v[33:36], v[107:108], off offset:96
	;; [unrolled: 1-line block ×12, first 2 shown]
	s_clause 0x2
	global_load_dwordx2 v[167:168], v[109:110], off offset:-128
	global_load_dwordx2 v[111:112], v[109:110], off
	global_load_dwordx2 v[117:118], v[109:110], off offset:128
	v_add_co_u32 v169, vcc_lo, 0x1000, v107
	v_add_co_ci_u32_e64 v170, null, 0, v108, vcc_lo
	v_add_co_u32 v171, vcc_lo, 0x2000, v107
	v_add_co_ci_u32_e64 v172, null, 0, v108, vcc_lo
	;; [unrolled: 2-line block ×3, first 2 shown]
	s_clause 0xa
	global_load_dwordx4 v[69:72], v[169:170], off offset:48
	global_load_dwordx4 v[119:122], v[169:170], off offset:32
	global_load_dwordx4 v[123:126], v[169:170], off
	global_load_dwordx4 v[127:130], v[169:170], off offset:16
	global_load_dwordx4 v[131:134], v[169:170], off offset:112
	;; [unrolled: 1-line block ×8, first 2 shown]
	v_add_co_u32 v107, s1, 0x4000, v107
	v_add_co_ci_u32_e64 v108, null, 0, v108, s1
	s_waitcnt vmcnt(30)
	v_sub_co_u32 v115, vcc_lo, v115, v79
	v_sub_co_ci_u32_e64 v116, null, v116, v80, vcc_lo
	v_lshlrev_b64 v[115:116], 6, v[115:116]
	v_add_co_u32 v115, vcc_lo, s2, v115
	v_add_co_ci_u32_e64 v116, null, s3, v116, vcc_lo
	s_clause 0x1
	global_load_dwordx4 v[159:162], v[115:116], off
	global_load_dwordx4 v[163:166], v[115:116], off offset:16
	s_waitcnt vmcnt(1)
	v_fma_f64 v[99:100], v[41:42], v[159:160], v[99:100]
	v_fma_f64 v[97:98], v[43:44], v[159:160], v[97:98]
	;; [unrolled: 1-line block ×7, first 2 shown]
	v_fma_f64 v[43:44], -v[43:44], v[161:162], v[99:100]
	v_fma_f64 v[41:42], v[41:42], v[161:162], v[97:98]
	v_fma_f64 v[101:102], -v[59:60], v[161:162], v[101:102]
	v_fma_f64 v[173:174], v[57:58], v[161:162], v[91:92]
	v_fma_f64 v[91:92], v[65:66], v[159:160], v[95:96]
	s_clause 0x1
	global_load_dwordx4 v[97:100], v[169:170], off offset:128
	global_load_dwordx4 v[57:60], v[169:170], off offset:240
	v_fma_f64 v[175:176], v[65:66], v[161:162], v[93:94]
	v_fma_f64 v[159:160], -v[75:76], v[161:162], v[87:88]
	s_waitcnt vmcnt(2)
	v_fma_f64 v[43:44], v[25:26], v[163:164], v[43:44]
	v_fma_f64 v[41:42], v[27:28], v[163:164], v[41:42]
	v_fma_f64 v[95:96], -v[67:68], v[161:162], v[91:92]
	global_load_dwordx4 v[65:68], v[169:170], off offset:224
	v_fma_f64 v[161:162], v[73:74], v[161:162], v[89:90]
	s_clause 0x2
	global_load_dwordx4 v[73:76], v[169:170], off offset:208
	global_load_dwordx4 v[87:90], v[169:170], off offset:192
	global_load_dwordx4 v[91:94], v[171:172], off
	v_fma_f64 v[169:170], -v[27:28], v[165:166], v[43:44]
	v_fma_f64 v[177:178], v[25:26], v[165:166], v[41:42]
	v_fma_f64 v[25:26], v[45:46], v[163:164], v[101:102]
	;; [unrolled: 1-line block ×5, first 2 shown]
	v_fma_f64 v[101:102], -v[47:48], v[165:166], v[25:26]
	v_fma_f64 v[173:174], v[45:46], v[165:166], v[27:28]
	v_fma_f64 v[45:46], v[61:62], v[163:164], v[159:160]
	;; [unrolled: 1-line block ×3, first 2 shown]
	global_load_dwordx4 v[25:28], v[171:172], off offset:48
	v_fma_f64 v[95:96], -v[55:56], v[165:166], v[41:42]
	v_fma_f64 v[175:176], v[53:54], v[165:166], v[43:44]
	global_load_dwordx4 v[41:44], v[171:172], off offset:32
	v_fma_f64 v[159:160], -v[63:64], v[165:166], v[45:46]
	v_fma_f64 v[161:162], v[61:62], v[165:166], v[47:48]
	global_load_dwordx4 v[45:48], v[171:172], off offset:16
	s_clause 0x1
	global_load_dwordx4 v[53:56], v[115:116], off offset:32
	global_load_dwordx4 v[61:64], v[115:116], off offset:48
	s_waitcnt vmcnt(1)
	v_fma_f64 v[115:116], v[17:18], v[53:54], v[169:170]
	v_fma_f64 v[163:164], v[19:20], v[53:54], v[177:178]
	;; [unrolled: 1-line block ×8, first 2 shown]
	v_fma_f64 v[115:116], -v[19:20], v[55:56], v[115:116]
	v_fma_f64 v[163:164], v[17:18], v[55:56], v[163:164]
	v_fma_f64 v[101:102], -v[35:36], v[55:56], v[101:102]
	v_fma_f64 v[165:166], v[33:34], v[55:56], v[165:166]
	v_fma_f64 v[95:96], -v[39:40], v[55:56], v[95:96]
	v_fma_f64 v[169:170], v[37:38], v[55:56], v[169:170]
	v_fma_f64 v[159:160], -v[51:52], v[55:56], v[159:160]
	v_fma_f64 v[161:162], v[49:50], v[55:56], v[53:54]
	v_sub_co_u32 v53, vcc_lo, v167, v79
	v_sub_co_ci_u32_e64 v54, null, v168, v80, vcc_lo
	s_clause 0x3
	global_load_dwordx4 v[17:20], v[171:172], off offset:112
	global_load_dwordx4 v[33:36], v[171:172], off offset:96
	;; [unrolled: 1-line block ×4, first 2 shown]
	v_lshlrev_b64 v[53:54], 6, v[53:54]
	s_waitcnt vmcnt(4)
	v_fma_f64 v[115:116], v[9:10], v[61:62], v[115:116]
	v_fma_f64 v[163:164], v[11:12], v[61:62], v[163:164]
	;; [unrolled: 1-line block ×8, first 2 shown]
	v_add_co_u32 v167, vcc_lo, s2, v53
	v_add_co_ci_u32_e64 v168, null, s3, v54, vcc_lo
	global_load_dwordx4 v[53:56], v[171:172], off offset:176
	v_fma_f64 v[115:116], -v[11:12], v[63:64], v[115:116]
	v_fma_f64 v[163:164], v[9:10], v[63:64], v[163:164]
	global_load_dwordx4 v[9:12], v[171:172], off offset:160
	v_fma_f64 v[101:102], -v[15:16], v[63:64], v[101:102]
	v_fma_f64 v[165:166], v[13:14], v[63:64], v[165:166]
	;; [unrolled: 3-line block ×4, first 2 shown]
	s_clause 0x1
	global_load_dwordx4 v[29:32], v[167:168], off
	global_load_dwordx4 v[61:64], v[167:168], off offset:16
	s_waitcnt vmcnt(1)
	v_fma_f64 v[115:116], v[123:124], v[29:30], v[115:116]
	v_fma_f64 v[95:96], v[97:98], v[29:30], v[95:96]
	;; [unrolled: 1-line block ×6, first 2 shown]
	v_fma_f64 v[115:116], -v[125:126], v[31:32], v[115:116]
	v_fma_f64 v[173:174], -v[99:100], v[31:32], v[95:96]
	v_fma_f64 v[99:100], v[87:88], v[29:30], v[159:160]
	v_fma_f64 v[163:164], v[123:124], v[31:32], v[163:164]
	v_fma_f64 v[101:102], -v[145:146], v[31:32], v[101:102]
	v_fma_f64 v[165:166], v[143:144], v[31:32], v[165:166]
	v_fma_f64 v[169:170], v[97:98], v[31:32], v[169:170]
	;; [unrolled: 1-line block ×3, first 2 shown]
	s_clause 0x2
	global_load_dwordx4 v[123:126], v[171:172], off offset:240
	global_load_dwordx4 v[143:146], v[171:172], off offset:224
	;; [unrolled: 1-line block ×3, first 2 shown]
	v_fma_f64 v[159:160], -v[89:90], v[31:32], v[99:100]
	s_waitcnt vmcnt(3)
	v_fma_f64 v[99:100], v[127:128], v[61:62], v[115:116]
	v_fma_f64 v[115:116], v[129:130], v[61:62], v[163:164]
	;; [unrolled: 1-line block ×3, first 2 shown]
	s_clause 0x1
	global_load_dwordx4 v[29:32], v[171:172], off offset:192
	global_load_dwordx4 v[87:90], v[113:114], off
	v_fma_f64 v[163:164], -v[129:130], v[63:64], v[99:100]
	v_fma_f64 v[99:100], v[139:140], v[61:62], v[101:102]
	v_fma_f64 v[101:102], v[141:142], v[61:62], v[165:166]
	;; [unrolled: 1-line block ×3, first 2 shown]
	global_load_dwordx4 v[127:130], v[113:114], off offset:48
	v_fma_f64 v[165:166], -v[141:142], v[63:64], v[99:100]
	v_fma_f64 v[141:142], v[157:158], v[61:62], v[169:170]
	v_fma_f64 v[171:172], v[139:140], v[63:64], v[101:102]
	;; [unrolled: 1-line block ×3, first 2 shown]
	global_load_dwordx4 v[99:102], v[113:114], off offset:32
	v_fma_f64 v[173:174], v[155:156], v[63:64], v[141:142]
	v_fma_f64 v[155:156], v[73:74], v[61:62], v[159:160]
	;; [unrolled: 1-line block ×3, first 2 shown]
	v_fma_f64 v[169:170], -v[157:158], v[63:64], v[139:140]
	global_load_dwordx4 v[139:142], v[113:114], off offset:16
	v_fma_f64 v[159:160], -v[75:76], v[63:64], v[155:156]
	v_fma_f64 v[161:162], v[73:74], v[63:64], v[61:62]
	global_load_dwordx4 v[61:64], v[113:114], off offset:80
	s_clause 0x1
	global_load_dwordx4 v[73:76], v[167:168], off offset:32
	global_load_dwordx4 v[155:158], v[167:168], off offset:48
	s_waitcnt vmcnt(1)
	v_fma_f64 v[163:164], v[119:120], v[73:74], v[163:164]
	v_fma_f64 v[115:116], v[121:122], v[73:74], v[115:116]
	;; [unrolled: 1-line block ×8, first 2 shown]
	v_fma_f64 v[163:164], -v[121:122], v[75:76], v[163:164]
	v_fma_f64 v[115:116], v[119:120], v[75:76], v[115:116]
	v_fma_f64 v[165:166], -v[137:138], v[75:76], v[165:166]
	v_fma_f64 v[167:168], v[135:136], v[75:76], v[167:168]
	;; [unrolled: 2-line block ×4, first 2 shown]
	v_sub_co_u32 v73, vcc_lo, v111, v79
	v_sub_co_ci_u32_e64 v74, null, v112, v80, vcc_lo
	s_clause 0x2
	global_load_dwordx4 v[119:122], v[113:114], off offset:64
	global_load_dwordx4 v[151:154], v[113:114], off offset:128
	;; [unrolled: 1-line block ×3, first 2 shown]
	v_lshlrev_b64 v[73:74], 6, v[73:74]
	global_load_dwordx4 v[65:68], v[113:114], off offset:208
	v_add_co_u32 v111, vcc_lo, s2, v73
	v_add_co_ci_u32_e64 v112, null, s3, v74, vcc_lo
	s_waitcnt vmcnt(4)
	v_fma_f64 v[163:164], v[69:70], v[155:156], v[163:164]
	v_fma_f64 v[115:116], v[71:72], v[155:156], v[115:116]
	;; [unrolled: 1-line block ×3, first 2 shown]
	global_load_dwordx4 v[73:76], v[111:112], off
	v_fma_f64 v[171:172], v[149:150], v[155:156], v[171:172]
	v_fma_f64 v[165:166], v[131:132], v[155:156], v[165:166]
	;; [unrolled: 1-line block ×5, first 2 shown]
	v_sub_co_u32 v117, vcc_lo, v117, v79
	v_sub_co_ci_u32_e64 v118, null, v118, v80, vcc_lo
	v_fma_f64 v[163:164], -v[71:72], v[157:158], v[163:164]
	v_fma_f64 v[115:116], v[69:70], v[157:158], v[115:116]
	global_load_dwordx4 v[69:72], v[111:112], off offset:16
	v_fma_f64 v[169:170], -v[149:150], v[157:158], v[169:170]
	v_fma_f64 v[171:172], v[147:148], v[157:158], v[171:172]
	global_load_dwordx4 v[147:150], v[111:112], off offset:32
	;; [unrolled: 3-line block ×3, first 2 shown]
	v_fma_f64 v[159:160], -v[59:60], v[157:158], v[159:160]
	v_fma_f64 v[161:162], v[57:58], v[157:158], v[155:156]
	s_clause 0x1
	global_load_dwordx4 v[57:60], v[113:114], off offset:112
	global_load_dwordx4 v[155:158], v[113:114], off offset:96
	s_waitcnt vmcnt(5)
	v_fma_f64 v[163:164], v[91:92], v[73:74], v[163:164]
	v_fma_f64 v[115:116], v[93:94], v[73:74], v[115:116]
	;; [unrolled: 1-line block ×3, first 2 shown]
	v_fma_f64 v[163:164], -v[93:94], v[75:76], v[163:164]
	v_fma_f64 v[115:116], v[91:92], v[75:76], v[115:116]
	global_load_dwordx4 v[91:94], v[111:112], off offset:48
	v_lshlrev_b64 v[111:112], 6, v[117:118]
	v_fma_f64 v[159:160], -v[31:32], v[75:76], v[159:160]
	v_add_co_u32 v117, vcc_lo, s2, v111
	v_add_co_ci_u32_e64 v118, null, s3, v112, vcc_lo
	v_fma_f64 v[111:112], v[49:50], v[73:74], v[165:166]
	v_fma_f64 v[165:166], v[51:52], v[73:74], v[167:168]
	;; [unrolled: 1-line block ×5, first 2 shown]
	v_add_co_u32 v105, vcc_lo, v105, 64
	v_add_co_ci_u32_e64 v106, null, 0, v106, vcc_lo
	s_waitcnt vmcnt(5)
	v_fma_f64 v[163:164], v[45:46], v[69:70], v[163:164]
	v_fma_f64 v[115:116], v[47:48], v[69:70], v[115:116]
	v_add_co_u32 v109, vcc_lo, 0x200, v109
	v_add_co_ci_u32_e64 v110, null, 0, v110, vcc_lo
	v_cmp_ge_i64_e32 vcc_lo, v[105:106], v[83:84]
	s_or_b32 s8, vcc_lo, s8
	v_fma_f64 v[111:112], -v[51:52], v[75:76], v[111:112]
	v_fma_f64 v[165:166], v[49:50], v[75:76], v[165:166]
	global_load_dwordx4 v[49:52], v[117:118], off
	v_fma_f64 v[167:168], -v[23:24], v[75:76], v[167:168]
	v_fma_f64 v[169:170], v[21:22], v[75:76], v[169:170]
	global_load_dwordx4 v[21:24], v[117:118], off offset:16
	v_fma_f64 v[161:162], v[29:30], v[75:76], v[73:74]
	s_clause 0x1
	global_load_dwordx4 v[29:32], v[113:114], off offset:160
	global_load_dwordx4 v[73:76], v[113:114], off offset:224
	v_fma_f64 v[163:164], -v[47:48], v[71:72], v[163:164]
	v_fma_f64 v[115:116], v[45:46], v[71:72], v[115:116]
	global_load_dwordx4 v[45:48], v[117:118], off offset:32
	v_fma_f64 v[111:112], v[37:38], v[69:70], v[111:112]
	v_fma_f64 v[165:166], v[39:40], v[69:70], v[165:166]
	;; [unrolled: 1-line block ×4, first 2 shown]
	v_fma_f64 v[171:172], -v[39:40], v[71:72], v[111:112]
	v_fma_f64 v[165:166], v[37:38], v[71:72], v[165:166]
	s_clause 0x1
	global_load_dwordx4 v[37:40], v[113:114], off offset:176
	global_load_dwordx4 v[111:114], v[113:114], off offset:240
	v_fma_f64 v[167:168], -v[15:16], v[71:72], v[167:168]
	v_fma_f64 v[169:170], v[13:14], v[71:72], v[169:170]
	global_load_dwordx4 v[13:16], v[117:118], off offset:48
	v_fma_f64 v[117:118], v[95:96], v[69:70], v[159:160]
	v_fma_f64 v[69:70], v[97:98], v[69:70], v[161:162]
	s_waitcnt vmcnt(12)
	v_fma_f64 v[159:160], v[9:10], v[147:148], v[167:168]
	v_fma_f64 v[161:162], v[11:12], v[147:148], v[169:170]
	v_fma_f64 v[97:98], -v[97:98], v[71:72], v[117:118]
	v_fma_f64 v[69:70], v[95:96], v[71:72], v[69:70]
	v_fma_f64 v[71:72], v[41:42], v[147:148], v[163:164]
	;; [unrolled: 1-line block ×5, first 2 shown]
	v_fma_f64 v[11:12], -v[11:12], v[149:150], v[159:160]
	v_fma_f64 v[9:10], v[9:10], v[149:150], v[161:162]
	v_fma_f64 v[97:98], v[143:144], v[147:148], v[97:98]
	;; [unrolled: 1-line block ×3, first 2 shown]
	v_fma_f64 v[43:44], -v[43:44], v[149:150], v[71:72]
	v_fma_f64 v[41:42], v[41:42], v[149:150], v[95:96]
	v_fma_f64 v[35:36], -v[35:36], v[149:150], v[115:116]
	v_fma_f64 v[33:34], v[33:34], v[149:150], v[117:118]
	v_fma_f64 v[71:72], -v[145:146], v[149:150], v[97:98]
	v_fma_f64 v[69:70], v[143:144], v[149:150], v[69:70]
	s_waitcnt vmcnt(8)
	v_fma_f64 v[43:44], v[25:26], v[91:92], v[43:44]
	v_fma_f64 v[41:42], v[27:28], v[91:92], v[41:42]
	v_fma_f64 v[35:36], v[17:18], v[91:92], v[35:36]
	v_fma_f64 v[33:34], v[19:20], v[91:92], v[33:34]
	v_fma_f64 v[11:12], v[53:54], v[91:92], v[11:12]
	v_fma_f64 v[9:10], v[55:56], v[91:92], v[9:10]
	v_fma_f64 v[71:72], v[123:124], v[91:92], v[71:72]
	v_fma_f64 v[69:70], v[125:126], v[91:92], v[69:70]
	v_fma_f64 v[27:28], -v[27:28], v[93:94], v[43:44]
	v_fma_f64 v[25:26], v[25:26], v[93:94], v[41:42]
	v_fma_f64 v[19:20], -v[19:20], v[93:94], v[35:36]
	v_fma_f64 v[17:18], v[17:18], v[93:94], v[33:34]
	v_fma_f64 v[11:12], -v[55:56], v[93:94], v[11:12]
	v_fma_f64 v[9:10], v[53:54], v[93:94], v[9:10]
	v_fma_f64 v[33:34], -v[125:126], v[93:94], v[71:72]
	v_fma_f64 v[35:36], v[123:124], v[93:94], v[69:70]
	s_waitcnt vmcnt(7)
	v_fma_f64 v[27:28], v[87:88], v[49:50], v[27:28]
	v_fma_f64 v[25:26], v[89:90], v[49:50], v[25:26]
	v_fma_f64 v[19:20], v[119:120], v[49:50], v[19:20]
	v_fma_f64 v[17:18], v[121:122], v[49:50], v[17:18]
	v_fma_f64 v[11:12], v[151:152], v[49:50], v[11:12]
	v_fma_f64 v[9:10], v[153:154], v[49:50], v[9:10]
	v_fma_f64 v[33:34], v[131:132], v[49:50], v[33:34]
	v_fma_f64 v[35:36], v[133:134], v[49:50], v[35:36]
	v_fma_f64 v[27:28], -v[89:90], v[51:52], v[27:28]
	v_fma_f64 v[25:26], v[87:88], v[51:52], v[25:26]
	;; [unrolled: 17-line block ×5, first 2 shown]
	v_fma_f64 v[101:102], -v[59:60], v[15:16], v[19:20]
	v_fma_f64 v[91:92], v[57:58], v[15:16], v[17:18]
	v_fma_f64 v[95:96], -v[39:40], v[15:16], v[11:12]
	v_fma_f64 v[93:94], v[37:38], v[15:16], v[9:10]
	v_fma_f64 v[87:88], -v[113:114], v[15:16], v[27:28]
	v_fma_f64 v[89:90], v[111:112], v[15:16], v[13:14]
	s_andn2_b32 exec_lo, exec_lo, s8
	s_cbranch_execnz .LBB57_21
; %bb.22:
	s_or_b32 exec_lo, exec_lo, s8
.LBB57_23:
	s_or_b32 exec_lo, exec_lo, s7
.LBB57_24:
	s_or_b32 exec_lo, exec_lo, s6
	s_cbranch_execz .LBB57_26
	s_branch .LBB57_37
.LBB57_25:
                                        ; implicit-def: $vgpr97_vgpr98
                                        ; implicit-def: $vgpr99_vgpr100
                                        ; implicit-def: $vgpr87_vgpr88
                                        ; implicit-def: $vgpr89_vgpr90
                                        ; implicit-def: $vgpr95_vgpr96
                                        ; implicit-def: $vgpr93_vgpr94
                                        ; implicit-def: $vgpr101_vgpr102
                                        ; implicit-def: $vgpr91_vgpr92
.LBB57_26:
	v_mov_b32_e32 v97, 0
	v_mov_b32_e32 v99, 0
	;; [unrolled: 1-line block ×16, first 2 shown]
	s_and_saveexec_b32 s1, s0
	s_cbranch_execz .LBB57_36
; %bb.27:
	v_or_b32_e32 v9, 16, v0
	v_not_b32_e32 v13, v103
	v_sub_co_u32 v14, s0, v79, v0
	v_not_b32_e32 v11, v104
	v_sub_co_u32 v9, vcc_lo, v9, v79
	v_sub_co_ci_u32_e64 v10, null, 0, v80, vcc_lo
	v_subrev_co_ci_u32_e64 v15, null, 0, v80, s0
	v_add_co_u32 v9, vcc_lo, v9, v103
	v_add_co_ci_u32_e64 v10, null, v10, v104, vcc_lo
	v_add_co_u32 v13, s0, v14, v13
	v_add_co_ci_u32_e64 v11, null, v15, v11, s0
	v_cmp_gt_i64_e32 vcc_lo, v[9:10], v[83:84]
	v_mov_b32_e32 v91, 0
	v_mov_b32_e32 v101, 0
	v_mov_b32_e32 v93, 0
	v_mov_b32_e32 v95, 0
	v_mov_b32_e32 v89, 0
	v_cndmask_b32_e32 v9, v83, v9, vcc_lo
	v_cndmask_b32_e32 v10, v84, v10, vcc_lo
	v_mov_b32_e32 v87, 0
	v_mov_b32_e32 v99, 0
	;; [unrolled: 1-line block ×3, first 2 shown]
	v_add_co_u32 v9, vcc_lo, v13, v9
	v_mov_b32_e32 v12, 0
	v_mov_b32_e32 v92, 0
	;; [unrolled: 1-line block ×4, first 2 shown]
	v_add_co_ci_u32_e64 v10, null, v11, v10, vcc_lo
	v_and_b32_e32 v11, 48, v9
	v_mov_b32_e32 v96, 0
	v_mov_b32_e32 v90, 0
	;; [unrolled: 1-line block ×5, first 2 shown]
	s_mov_b32 s6, exec_lo
	v_cmpx_ne_u64_e32 48, v[11:12]
	s_cbranch_execz .LBB57_31
; %bb.28:
	v_lshrrev_b32_e32 v13, 4, v9
	v_lshlrev_b64 v[11:12], 3, v[81:82]
	v_mov_b32_e32 v97, 0
	v_mov_b32_e32 v99, 0
	;; [unrolled: 1-line block ×3, first 2 shown]
	v_add_nc_u32_e32 v13, 1, v13
	v_mov_b32_e32 v89, 0
	v_add_co_u32 v11, vcc_lo, s12, v11
	v_mov_b32_e32 v95, 0
	v_and_b32_e32 v13, 3, v13
	v_mov_b32_e32 v93, 0
	v_mov_b32_e32 v101, 0
	v_mov_b32_e32 v91, 0
	v_mov_b32_e32 v98, 0
	v_sub_co_u32 v13, s0, 0, v13
	v_mov_b32_e32 v100, 0
	v_mov_b32_e32 v88, 0
	v_add_co_ci_u32_e64 v12, null, s13, v12, vcc_lo
	v_mov_b32_e32 v90, 0
	v_mov_b32_e32 v96, 0
	;; [unrolled: 1-line block ×5, first 2 shown]
	v_sub_co_ci_u32_e64 v14, null, 0, 0, s0
	s_mov_b32 s7, 0
.LBB57_29:                              ; =>This Inner Loop Header: Depth=1
	global_load_dwordx2 v[31:32], v[11:12], off
	s_clause 0x3
	global_load_dwordx4 v[15:18], v[85:86], off offset:48
	global_load_dwordx4 v[19:22], v[85:86], off offset:32
	;; [unrolled: 1-line block ×3, first 2 shown]
	global_load_dwordx4 v[27:30], v[85:86], off
	v_add_co_u32 v11, s0, 0x80, v11
	v_add_co_ci_u32_e64 v12, null, 0, v12, s0
	s_waitcnt vmcnt(4)
	v_sub_co_u32 v31, vcc_lo, v31, v79
	v_sub_co_ci_u32_e64 v32, null, v32, v80, vcc_lo
	v_lshlrev_b64 v[31:32], 6, v[31:32]
	v_add_co_u32 v75, vcc_lo, s2, v31
	v_add_co_ci_u32_e64 v76, null, s3, v32, vcc_lo
	global_load_dwordx4 v[31:34], v[75:76], off
	s_clause 0x3
	global_load_dwordx4 v[35:38], v[85:86], off offset:112
	global_load_dwordx4 v[39:42], v[85:86], off offset:96
	;; [unrolled: 1-line block ×5, first 2 shown]
	s_clause 0x3
	global_load_dwordx4 v[55:58], v[85:86], off offset:176
	global_load_dwordx4 v[59:62], v[85:86], off offset:160
	;; [unrolled: 1-line block ×4, first 2 shown]
	s_clause 0x1
	global_load_dwordx4 v[71:74], v[75:76], off offset:32
	global_load_dwordx4 v[103:106], v[75:76], off offset:48
	s_clause 0x3
	global_load_dwordx4 v[107:110], v[85:86], off offset:192
	global_load_dwordx4 v[111:114], v[85:86], off offset:208
	;; [unrolled: 1-line block ×4, first 2 shown]
	v_add_co_u32 v85, vcc_lo, 0x1000, v85
	v_add_co_ci_u32_e64 v86, null, 0, v86, vcc_lo
	v_add_co_u32 v13, vcc_lo, v13, 1
	v_add_co_ci_u32_e64 v14, null, 0, v14, vcc_lo
	;; [unrolled: 2-line block ×3, first 2 shown]
	v_cmp_eq_u64_e32 vcc_lo, 0, v[13:14]
	s_or_b32 s7, vcc_lo, s7
	s_waitcnt vmcnt(15)
	v_fma_f64 v[75:76], v[27:28], v[31:32], v[99:100]
	v_fma_f64 v[97:98], v[29:30], v[31:32], v[97:98]
	v_fma_f64 v[99:100], v[23:24], v[31:32], v[101:102]
	v_fma_f64 v[91:92], v[25:26], v[31:32], v[91:92]
	v_fma_f64 v[95:96], v[19:20], v[31:32], v[95:96]
	v_fma_f64 v[93:94], v[21:22], v[31:32], v[93:94]
	v_fma_f64 v[87:88], v[15:16], v[31:32], v[87:88]
	v_fma_f64 v[31:32], v[17:18], v[31:32], v[89:90]
	v_fma_f64 v[29:30], -v[29:30], v[33:34], v[75:76]
	v_fma_f64 v[27:28], v[27:28], v[33:34], v[97:98]
	v_fma_f64 v[25:26], -v[25:26], v[33:34], v[99:100]
	v_fma_f64 v[23:24], v[23:24], v[33:34], v[91:92]
	v_fma_f64 v[21:22], -v[21:22], v[33:34], v[95:96]
	v_fma_f64 v[19:20], v[19:20], v[33:34], v[93:94]
	v_fma_f64 v[17:18], -v[17:18], v[33:34], v[87:88]
	v_fma_f64 v[15:16], v[15:16], v[33:34], v[31:32]
	s_waitcnt vmcnt(10)
	v_fma_f64 v[29:30], v[47:48], v[51:52], v[29:30]
	v_fma_f64 v[27:28], v[49:50], v[51:52], v[27:28]
	v_fma_f64 v[25:26], v[43:44], v[51:52], v[25:26]
	v_fma_f64 v[23:24], v[45:46], v[51:52], v[23:24]
	v_fma_f64 v[21:22], v[39:40], v[51:52], v[21:22]
	v_fma_f64 v[19:20], v[41:42], v[51:52], v[19:20]
	v_fma_f64 v[17:18], v[35:36], v[51:52], v[17:18]
	v_fma_f64 v[15:16], v[37:38], v[51:52], v[15:16]
	v_fma_f64 v[29:30], -v[49:50], v[53:54], v[29:30]
	v_fma_f64 v[27:28], v[47:48], v[53:54], v[27:28]
	v_fma_f64 v[25:26], -v[45:46], v[53:54], v[25:26]
	v_fma_f64 v[23:24], v[43:44], v[53:54], v[23:24]
	v_fma_f64 v[21:22], -v[41:42], v[53:54], v[21:22]
	v_fma_f64 v[19:20], v[39:40], v[53:54], v[19:20]
	v_fma_f64 v[17:18], -v[37:38], v[53:54], v[17:18]
	v_fma_f64 v[15:16], v[35:36], v[53:54], v[15:16]
	;; [unrolled: 17-line block ×3, first 2 shown]
	s_waitcnt vmcnt(3)
	v_fma_f64 v[29:30], v[107:108], v[103:104], v[29:30]
	v_fma_f64 v[27:28], v[109:110], v[103:104], v[27:28]
	s_waitcnt vmcnt(2)
	v_fma_f64 v[25:26], v[111:112], v[103:104], v[25:26]
	v_fma_f64 v[23:24], v[113:114], v[103:104], v[23:24]
	;; [unrolled: 3-line block ×4, first 2 shown]
	v_fma_f64 v[99:100], -v[109:110], v[105:106], v[29:30]
	v_fma_f64 v[97:98], v[107:108], v[105:106], v[27:28]
	v_fma_f64 v[101:102], -v[113:114], v[105:106], v[25:26]
	v_fma_f64 v[91:92], v[111:112], v[105:106], v[23:24]
	;; [unrolled: 2-line block ×4, first 2 shown]
	s_andn2_b32 exec_lo, exec_lo, s7
	s_cbranch_execnz .LBB57_29
; %bb.30:
	s_or_b32 exec_lo, exec_lo, s7
.LBB57_31:
	s_or_b32 exec_lo, exec_lo, s6
	s_mov_b32 s6, exec_lo
	v_cmpx_lt_u64_e32 47, v[9:10]
	s_cbranch_execz .LBB57_35
; %bb.32:
	v_lshlrev_b64 v[9:10], 3, v[81:82]
	s_mov_b32 s7, 0
	v_add_co_u32 v9, vcc_lo, s12, v9
	v_add_co_ci_u32_e64 v10, null, s13, v10, vcc_lo
	v_add_co_u32 v73, vcc_lo, 0x100, v9
	v_add_co_ci_u32_e64 v74, null, 0, v10, vcc_lo
.LBB57_33:                              ; =>This Inner Loop Header: Depth=1
	global_load_dwordx2 v[103:104], v[73:74], off offset:-256
	s_clause 0xf
	global_load_dwordx4 v[9:12], v[85:86], off offset:48
	global_load_dwordx4 v[17:20], v[85:86], off offset:32
	;; [unrolled: 1-line block ×3, first 2 shown]
	global_load_dwordx4 v[49:52], v[85:86], off
	global_load_dwordx4 v[29:32], v[85:86], off offset:112
	global_load_dwordx4 v[45:48], v[85:86], off offset:96
	;; [unrolled: 1-line block ×12, first 2 shown]
	v_add_co_u32 v143, vcc_lo, 0x1000, v85
	v_add_co_ci_u32_e64 v144, null, 0, v86, vcc_lo
	v_add_co_u32 v145, vcc_lo, 0x2000, v85
	v_add_co_ci_u32_e64 v146, null, 0, v86, vcc_lo
	;; [unrolled: 2-line block ×3, first 2 shown]
	s_clause 0x2
	global_load_dwordx2 v[147:148], v[73:74], off offset:-128
	global_load_dwordx2 v[105:106], v[73:74], off
	global_load_dwordx2 v[149:150], v[73:74], off offset:128
	s_clause 0x6
	global_load_dwordx4 v[107:110], v[143:144], off offset:48
	global_load_dwordx4 v[111:114], v[143:144], off offset:32
	global_load_dwordx4 v[115:118], v[143:144], off
	global_load_dwordx4 v[119:122], v[143:144], off offset:16
	global_load_dwordx4 v[123:126], v[143:144], off offset:112
	;; [unrolled: 1-line block ×4, first 2 shown]
	v_add_co_u32 v85, s0, 0x4000, v85
	v_add_co_ci_u32_e64 v86, null, 0, v86, s0
	s_waitcnt vmcnt(26)
	v_sub_co_u32 v103, vcc_lo, v103, v79
	v_sub_co_ci_u32_e64 v104, null, v104, v80, vcc_lo
	v_lshlrev_b64 v[103:104], 6, v[103:104]
	v_add_co_u32 v103, vcc_lo, s2, v103
	v_add_co_ci_u32_e64 v104, null, s3, v104, vcc_lo
	s_clause 0x1
	global_load_dwordx4 v[135:138], v[103:104], off
	global_load_dwordx4 v[139:142], v[103:104], off offset:16
	s_waitcnt vmcnt(1)
	v_fma_f64 v[91:92], v[35:36], v[135:136], v[91:92]
	v_fma_f64 v[97:98], v[51:52], v[135:136], v[97:98]
	;; [unrolled: 1-line block ×10, first 2 shown]
	v_fma_f64 v[95:96], -v[19:20], v[137:138], v[95:96]
	v_fma_f64 v[93:94], v[17:18], v[137:138], v[93:94]
	v_fma_f64 v[99:100], -v[51:52], v[137:138], v[99:100]
	v_fma_f64 v[101:102], -v[35:36], v[137:138], v[101:102]
	;; [unrolled: 1-line block ×3, first 2 shown]
	v_fma_f64 v[137:138], v[9:10], v[137:138], v[89:90]
	s_clause 0x4
	global_load_dwordx4 v[49:52], v[143:144], off offset:64
	global_load_dwordx4 v[17:20], v[143:144], off offset:160
	;; [unrolled: 1-line block ×5, first 2 shown]
	s_waitcnt vmcnt(5)
	v_fma_f64 v[91:92], v[59:60], v[139:140], v[91:92]
	v_fma_f64 v[97:98], v[67:68], v[139:140], v[97:98]
	;; [unrolled: 1-line block ×10, first 2 shown]
	v_fma_f64 v[99:100], -v[67:68], v[141:142], v[99:100]
	global_load_dwordx4 v[65:68], v[143:144], off offset:240
	v_fma_f64 v[155:156], -v[47:48], v[141:142], v[91:92]
	v_fma_f64 v[91:92], v[29:30], v[139:140], v[135:136]
	v_fma_f64 v[101:102], -v[59:60], v[141:142], v[97:98]
	s_clause 0x1
	global_load_dwordx4 v[57:60], v[143:144], off offset:224
	global_load_dwordx4 v[45:48], v[143:144], off offset:208
	v_fma_f64 v[137:138], v[29:30], v[141:142], v[93:94]
	v_fma_f64 v[135:136], -v[31:32], v[141:142], v[91:92]
	global_load_dwordx4 v[29:32], v[143:144], off offset:192
	s_clause 0x1
	global_load_dwordx4 v[91:94], v[103:104], off offset:32
	global_load_dwordx4 v[95:98], v[103:104], off offset:48
	s_waitcnt vmcnt(1)
	v_fma_f64 v[101:102], v[61:62], v[91:92], v[101:102]
	v_fma_f64 v[141:142], v[41:42], v[91:92], v[155:156]
	;; [unrolled: 1-line block ×8, first 2 shown]
	v_fma_f64 v[101:102], -v[63:64], v[93:94], v[101:102]
	v_fma_f64 v[141:142], -v[43:44], v[93:94], v[141:142]
	;; [unrolled: 1-line block ×3, first 2 shown]
	v_fma_f64 v[103:104], v[69:70], v[93:94], v[103:104]
	v_fma_f64 v[139:140], v[61:62], v[93:94], v[139:140]
	;; [unrolled: 1-line block ×3, first 2 shown]
	v_fma_f64 v[135:136], -v[27:28], v[93:94], v[135:136]
	v_fma_f64 v[137:138], v[25:26], v[93:94], v[91:92]
	v_sub_co_u32 v91, vcc_lo, v147, v79
	v_sub_co_ci_u32_e64 v92, null, v148, v80, vcc_lo
	s_clause 0x3
	global_load_dwordx4 v[69:72], v[145:146], off
	global_load_dwordx4 v[25:28], v[145:146], off offset:16
	global_load_dwordx4 v[61:64], v[145:146], off offset:48
	global_load_dwordx4 v[41:44], v[145:146], off offset:32
	v_lshlrev_b64 v[91:92], 6, v[91:92]
	v_add_co_u32 v147, vcc_lo, s2, v91
	s_waitcnt vmcnt(4)
	v_fma_f64 v[101:102], v[37:38], v[95:96], v[101:102]
	v_fma_f64 v[99:100], v[53:54], v[95:96], v[99:100]
	;; [unrolled: 1-line block ×4, first 2 shown]
	v_add_co_ci_u32_e64 v148, null, s3, v92, vcc_lo
	global_load_dwordx4 v[91:94], v[145:146], off offset:112
	v_fma_f64 v[151:152], -v[39:40], v[97:98], v[101:102]
	v_fma_f64 v[101:102], v[21:22], v[95:96], v[141:142]
	v_fma_f64 v[141:142], v[23:24], v[95:96], v[143:144]
	v_fma_f64 v[99:100], -v[55:56], v[97:98], v[99:100]
	v_fma_f64 v[103:104], v[53:54], v[97:98], v[103:104]
	global_load_dwordx4 v[53:56], v[145:146], off offset:96
	v_fma_f64 v[139:140], v[37:38], v[97:98], v[139:140]
	global_load_dwordx4 v[37:40], v[145:146], off offset:80
	v_fma_f64 v[143:144], -v[23:24], v[97:98], v[101:102]
	v_fma_f64 v[101:102], v[13:14], v[95:96], v[135:136]
	v_fma_f64 v[95:96], v[15:16], v[95:96], v[137:138]
	;; [unrolled: 1-line block ×3, first 2 shown]
	global_load_dwordx4 v[21:24], v[145:146], off offset:64
	v_fma_f64 v[135:136], -v[15:16], v[97:98], v[101:102]
	v_fma_f64 v[137:138], v[13:14], v[97:98], v[95:96]
	s_clause 0x1
	global_load_dwordx4 v[13:16], v[147:148], off
	global_load_dwordx4 v[95:98], v[147:148], off offset:16
	s_waitcnt vmcnt(1)
	v_fma_f64 v[99:100], v[115:116], v[13:14], v[99:100]
	v_fma_f64 v[101:102], v[117:118], v[13:14], v[103:104]
	v_fma_f64 v[141:142], v[113:114], v[13:14], v[141:142]
	v_fma_f64 v[135:136], v[107:108], v[13:14], v[135:136]
	v_fma_f64 v[103:104], -v[117:118], v[15:16], v[99:100]
	v_fma_f64 v[117:118], v[121:122], v[13:14], v[139:140]
	v_fma_f64 v[153:154], v[115:116], v[15:16], v[101:102]
	;; [unrolled: 1-line block ×6, first 2 shown]
	v_fma_f64 v[135:136], -v[109:110], v[15:16], v[135:136]
	global_load_dwordx4 v[99:102], v[145:146], off offset:176
	s_waitcnt vmcnt(1)
	v_fma_f64 v[103:104], v[49:50], v[95:96], v[103:104]
	v_fma_f64 v[119:120], v[119:120], v[15:16], v[117:118]
	;; [unrolled: 1-line block ×3, first 2 shown]
	v_fma_f64 v[121:122], -v[121:122], v[15:16], v[115:116]
	v_fma_f64 v[139:140], -v[113:114], v[15:16], v[139:140]
	v_fma_f64 v[137:138], v[107:108], v[15:16], v[13:14]
	s_clause 0x3
	global_load_dwordx4 v[115:118], v[145:146], off offset:160
	global_load_dwordx4 v[111:114], v[145:146], off offset:144
	;; [unrolled: 1-line block ×4, first 2 shown]
	v_fma_f64 v[103:104], -v[51:52], v[97:98], v[103:104]
	v_fma_f64 v[119:120], v[133:134], v[95:96], v[119:120]
	v_fma_f64 v[143:144], v[49:50], v[97:98], v[143:144]
	;; [unrolled: 1-line block ×3, first 2 shown]
	global_load_dwordx4 v[49:52], v[145:146], off offset:224
	v_fma_f64 v[153:154], v[131:132], v[97:98], v[119:120]
	v_fma_f64 v[131:132], v[127:128], v[95:96], v[139:140]
	v_fma_f64 v[151:152], -v[133:134], v[97:98], v[121:122]
	v_fma_f64 v[133:134], v[129:130], v[95:96], v[141:142]
	global_load_dwordx4 v[119:122], v[145:146], off offset:208
	v_fma_f64 v[139:140], -v[129:130], v[97:98], v[131:132]
	v_fma_f64 v[131:132], v[123:124], v[95:96], v[135:136]
	v_fma_f64 v[95:96], v[125:126], v[95:96], v[137:138]
	;; [unrolled: 1-line block ×3, first 2 shown]
	global_load_dwordx4 v[127:130], v[145:146], off offset:192
	v_fma_f64 v[135:136], -v[125:126], v[97:98], v[131:132]
	v_fma_f64 v[137:138], v[123:124], v[97:98], v[95:96]
	global_load_dwordx4 v[95:98], v[75:76], off
	s_clause 0x1
	global_load_dwordx4 v[123:126], v[147:148], off offset:32
	global_load_dwordx4 v[131:134], v[147:148], off offset:48
	s_waitcnt vmcnt(1)
	v_fma_f64 v[103:104], v[87:88], v[123:124], v[103:104]
	v_fma_f64 v[143:144], v[89:90], v[123:124], v[143:144]
	;; [unrolled: 1-line block ×3, first 2 shown]
	v_fma_f64 v[145:146], -v[89:90], v[125:126], v[103:104]
	v_fma_f64 v[103:104], v[9:10], v[123:124], v[151:152]
	v_fma_f64 v[143:144], v[87:88], v[125:126], v[143:144]
	;; [unrolled: 1-line block ×3, first 2 shown]
	global_load_dwordx4 v[87:90], v[75:76], off offset:48
	v_fma_f64 v[151:152], -v[11:12], v[125:126], v[103:104]
	v_fma_f64 v[103:104], v[17:18], v[123:124], v[139:140]
	v_fma_f64 v[139:140], v[19:20], v[123:124], v[141:142]
	s_waitcnt vmcnt(1)
	v_fma_f64 v[143:144], v[31:32], v[131:132], v[143:144]
	v_fma_f64 v[147:148], v[47:48], v[131:132], v[147:148]
	global_load_dwordx4 v[9:12], v[75:76], off offset:32
	v_fma_f64 v[141:142], -v[19:20], v[125:126], v[103:104]
	v_fma_f64 v[103:104], v[33:34], v[123:124], v[135:136]
	v_fma_f64 v[123:124], v[35:36], v[123:124], v[137:138]
	;; [unrolled: 1-line block ×3, first 2 shown]
	global_load_dwordx4 v[17:20], v[75:76], off offset:16
	v_fma_f64 v[143:144], v[29:30], v[133:134], v[143:144]
	v_fma_f64 v[147:148], v[45:46], v[133:134], v[147:148]
	v_fma_f64 v[135:136], -v[35:36], v[125:126], v[103:104]
	v_fma_f64 v[123:124], v[33:34], v[125:126], v[123:124]
	v_fma_f64 v[125:126], v[29:30], v[131:132], v[145:146]
	;; [unrolled: 1-line block ×3, first 2 shown]
	v_sub_co_u32 v103, vcc_lo, v105, v79
	v_sub_co_ci_u32_e64 v104, null, v106, v80, vcc_lo
	v_sub_co_u32 v105, vcc_lo, v149, v79
	v_sub_co_ci_u32_e64 v106, null, v150, v80, vcc_lo
	v_lshlrev_b64 v[103:104], 6, v[103:104]
	global_load_dwordx4 v[33:36], v[75:76], off offset:112
	v_lshlrev_b64 v[105:106], 6, v[105:106]
	v_add_co_u32 v137, vcc_lo, s2, v103
	v_add_co_ci_u32_e64 v138, null, s3, v104, vcc_lo
	v_add_co_u32 v149, vcc_lo, s2, v105
	v_fma_f64 v[145:146], -v[31:32], v[133:134], v[125:126]
	v_fma_f64 v[125:126], v[45:46], v[131:132], v[151:152]
	v_fma_f64 v[123:124], v[67:68], v[131:132], v[123:124]
	v_add_co_ci_u32_e64 v150, null, s3, v106, vcc_lo
	s_clause 0x1
	global_load_dwordx4 v[103:106], v[75:76], off offset:96
	global_load_dwordx4 v[29:32], v[75:76], off offset:80
	v_fma_f64 v[139:140], v[57:58], v[133:134], v[139:140]
	v_add_co_u32 v81, vcc_lo, v81, 64
	v_add_co_ci_u32_e64 v82, null, 0, v82, vcc_lo
	v_add_co_u32 v73, vcc_lo, 0x200, v73
	v_add_co_ci_u32_e64 v74, null, 0, v74, vcc_lo
	v_cmp_ge_i64_e32 vcc_lo, v[81:82], v[83:84]
	s_or_b32 s7, vcc_lo, s7
	v_fma_f64 v[151:152], -v[47:48], v[133:134], v[125:126]
	v_fma_f64 v[125:126], v[57:58], v[131:132], v[141:142]
	global_load_dwordx4 v[45:48], v[75:76], off offset:64
	v_fma_f64 v[141:142], -v[59:60], v[133:134], v[125:126]
	v_fma_f64 v[125:126], v[65:66], v[131:132], v[135:136]
	global_load_dwordx4 v[57:60], v[75:76], off offset:176
	v_fma_f64 v[131:132], -v[67:68], v[133:134], v[125:126]
	v_fma_f64 v[133:134], v[65:66], v[133:134], v[123:124]
	s_clause 0x1
	global_load_dwordx4 v[65:68], v[137:138], off
	global_load_dwordx4 v[123:126], v[137:138], off offset:16
	s_waitcnt vmcnt(1)
	v_fma_f64 v[135:136], v[69:70], v[65:66], v[145:146]
	v_fma_f64 v[143:144], v[71:72], v[65:66], v[143:144]
	;; [unrolled: 1-line block ×8, first 2 shown]
	v_fma_f64 v[135:136], -v[71:72], v[67:68], v[135:136]
	v_fma_f64 v[143:144], v[69:70], v[67:68], v[143:144]
	global_load_dwordx4 v[69:72], v[137:138], off offset:32
	v_fma_f64 v[141:142], -v[43:44], v[67:68], v[141:142]
	v_fma_f64 v[139:140], v[41:42], v[67:68], v[139:140]
	global_load_dwordx4 v[41:44], v[137:138], off offset:48
	v_fma_f64 v[145:146], -v[27:28], v[67:68], v[145:146]
	v_fma_f64 v[147:148], v[25:26], v[67:68], v[147:148]
	global_load_dwordx4 v[25:28], v[75:76], off offset:160
	v_fma_f64 v[131:132], -v[63:64], v[67:68], v[131:132]
	v_fma_f64 v[133:134], v[61:62], v[67:68], v[65:66]
	s_clause 0x1
	global_load_dwordx4 v[61:64], v[149:150], off offset:16
	global_load_dwordx4 v[65:68], v[149:150], off
	s_waitcnt vmcnt(5)
	v_fma_f64 v[135:136], v[21:22], v[123:124], v[135:136]
	v_fma_f64 v[137:138], v[23:24], v[123:124], v[143:144]
	;; [unrolled: 1-line block ×8, first 2 shown]
	v_fma_f64 v[135:136], -v[23:24], v[125:126], v[135:136]
	v_fma_f64 v[137:138], v[21:22], v[125:126], v[137:138]
	global_load_dwordx4 v[21:24], v[75:76], off offset:144
	v_fma_f64 v[141:142], -v[55:56], v[125:126], v[141:142]
	v_fma_f64 v[139:140], v[53:54], v[125:126], v[139:140]
	global_load_dwordx4 v[53:56], v[75:76], off offset:208
	;; [unrolled: 3-line block ×4, first 2 shown]
	s_clause 0x1
	global_load_dwordx4 v[123:126], v[149:150], off offset:48
	global_load_dwordx4 v[131:134], v[149:150], off offset:32
	s_waitcnt vmcnt(10)
	v_fma_f64 v[135:136], v[13:14], v[69:70], v[135:136]
	v_fma_f64 v[137:138], v[15:16], v[69:70], v[137:138]
	v_fma_f64 v[143:144], v[111:112], v[69:70], v[143:144]
	v_fma_f64 v[145:146], v[113:114], v[69:70], v[145:146]
	v_fma_f64 v[139:140], v[117:118], v[69:70], v[139:140]
	v_fma_f64 v[135:136], -v[15:16], v[71:72], v[135:136]
	v_fma_f64 v[137:138], v[13:14], v[71:72], v[137:138]
	global_load_dwordx4 v[13:16], v[75:76], off offset:224
	v_fma_f64 v[143:144], -v[113:114], v[71:72], v[143:144]
	v_fma_f64 v[145:146], v[111:112], v[71:72], v[145:146]
	global_load_dwordx4 v[111:114], v[75:76], off offset:240
	v_fma_f64 v[75:76], v[115:116], v[69:70], v[141:142]
	v_fma_f64 v[141:142], v[99:100], v[69:70], v[147:148]
	;; [unrolled: 1-line block ×4, first 2 shown]
	v_fma_f64 v[75:76], -v[117:118], v[71:72], v[75:76]
	v_fma_f64 v[101:102], -v[101:102], v[71:72], v[141:142]
	v_fma_f64 v[69:70], v[99:100], v[71:72], v[69:70]
	s_waitcnt vmcnt(11)
	v_fma_f64 v[71:72], v[127:128], v[41:42], v[135:136]
	v_fma_f64 v[99:100], v[129:130], v[41:42], v[137:138]
	;; [unrolled: 1-line block ×8, first 2 shown]
	v_fma_f64 v[69:70], -v[129:130], v[43:44], v[71:72]
	v_fma_f64 v[71:72], v[127:128], v[43:44], v[99:100]
	v_fma_f64 v[99:100], -v[121:122], v[43:44], v[117:118]
	v_fma_f64 v[117:118], v[119:120], v[43:44], v[135:136]
	v_fma_f64 v[49:50], v[49:50], v[43:44], v[115:116]
	v_fma_f64 v[51:52], -v[51:52], v[43:44], v[75:76]
	v_fma_f64 v[75:76], -v[109:110], v[43:44], v[101:102]
	v_fma_f64 v[41:42], v[107:108], v[43:44], v[41:42]
	s_waitcnt vmcnt(8)
	v_fma_f64 v[43:44], v[95:96], v[65:66], v[69:70]
	v_fma_f64 v[69:70], v[97:98], v[65:66], v[71:72]
	;; [unrolled: 1-line block ×8, first 2 shown]
	v_fma_f64 v[43:44], -v[97:98], v[67:68], v[43:44]
	v_fma_f64 v[65:66], v[95:96], v[67:68], v[69:70]
	v_fma_f64 v[19:20], -v[19:20], v[67:68], v[71:72]
	v_fma_f64 v[17:18], v[17:18], v[67:68], v[99:100]
	v_fma_f64 v[9:10], v[9:10], v[67:68], v[49:50]
	v_fma_f64 v[11:12], -v[11:12], v[67:68], v[51:52]
	v_fma_f64 v[49:50], -v[89:90], v[67:68], v[75:76]
	v_fma_f64 v[41:42], v[87:88], v[67:68], v[41:42]
	v_fma_f64 v[43:44], v[45:46], v[61:62], v[43:44]
	;; [unrolled: 1-line block ×9, first 2 shown]
	v_fma_f64 v[43:44], -v[47:48], v[63:64], v[43:44]
	v_fma_f64 v[45:46], v[45:46], v[63:64], v[51:52]
	v_fma_f64 v[19:20], -v[31:32], v[63:64], v[19:20]
	v_fma_f64 v[17:18], v[29:30], v[63:64], v[17:18]
	v_fma_f64 v[9:10], v[103:104], v[63:64], v[9:10]
	v_fma_f64 v[11:12], -v[105:106], v[63:64], v[11:12]
	v_fma_f64 v[29:30], -v[35:36], v[63:64], v[49:50]
	v_fma_f64 v[31:32], v[33:34], v[63:64], v[41:42]
	s_waitcnt vmcnt(2)
	v_fma_f64 v[33:34], v[37:38], v[131:132], v[43:44]
	v_fma_f64 v[35:36], v[39:40], v[131:132], v[45:46]
	;; [unrolled: 1-line block ×8, first 2 shown]
	v_fma_f64 v[33:34], -v[39:40], v[133:134], v[33:34]
	v_fma_f64 v[35:36], v[37:38], v[133:134], v[35:36]
	v_fma_f64 v[19:20], -v[23:24], v[133:134], v[19:20]
	v_fma_f64 v[17:18], v[21:22], v[133:134], v[17:18]
	v_fma_f64 v[9:10], v[25:26], v[133:134], v[9:10]
	v_fma_f64 v[11:12], -v[27:28], v[133:134], v[11:12]
	v_fma_f64 v[21:22], -v[59:60], v[133:134], v[29:30]
	v_fma_f64 v[23:24], v[57:58], v[133:134], v[31:32]
	v_fma_f64 v[25:26], v[91:92], v[123:124], v[33:34]
	;; [unrolled: 1-line block ×5, first 2 shown]
	v_fma_f64 v[99:100], -v[93:94], v[125:126], v[25:26]
	v_fma_f64 v[97:98], v[91:92], v[125:126], v[27:28]
	v_fma_f64 v[101:102], -v[55:56], v[125:126], v[19:20]
	v_fma_f64 v[91:92], v[53:54], v[125:126], v[17:18]
	s_waitcnt vmcnt(1)
	v_fma_f64 v[11:12], v[13:14], v[123:124], v[11:12]
	v_fma_f64 v[9:10], v[15:16], v[123:124], v[9:10]
	s_waitcnt vmcnt(0)
	v_fma_f64 v[21:22], v[111:112], v[123:124], v[21:22]
	v_fma_f64 v[23:24], v[113:114], v[123:124], v[23:24]
	v_fma_f64 v[95:96], -v[15:16], v[125:126], v[11:12]
	v_fma_f64 v[93:94], v[13:14], v[125:126], v[9:10]
	v_fma_f64 v[87:88], -v[113:114], v[125:126], v[21:22]
	v_fma_f64 v[89:90], v[111:112], v[125:126], v[23:24]
	s_andn2_b32 exec_lo, exec_lo, s7
	s_cbranch_execnz .LBB57_33
; %bb.34:
	s_or_b32 exec_lo, exec_lo, s7
.LBB57_35:
	s_or_b32 exec_lo, exec_lo, s6
.LBB57_36:
	s_or_b32 exec_lo, exec_lo, s1
.LBB57_37:
	v_mbcnt_lo_u32_b32 v41, -1, 0
	v_xor_b32_e32 v9, 8, v41
	v_xor_b32_e32 v25, 4, v41
	v_cmp_gt_i32_e32 vcc_lo, 32, v9
	v_cndmask_b32_e32 v9, v41, v9, vcc_lo
	v_cmp_gt_i32_e32 vcc_lo, 32, v25
	v_lshlrev_b32_e32 v24, 2, v9
	v_cndmask_b32_e32 v25, v41, v25, vcc_lo
	ds_bpermute_b32 v9, v24, v99
	ds_bpermute_b32 v10, v24, v100
	;; [unrolled: 1-line block ×16, first 2 shown]
	v_lshlrev_b32_e32 v40, 2, v25
	s_waitcnt lgkmcnt(14)
	v_add_f64 v[9:10], v[99:100], v[9:10]
	s_waitcnt lgkmcnt(12)
	v_add_f64 v[11:12], v[97:98], v[11:12]
	;; [unrolled: 2-line block ×8, first 2 shown]
	ds_bpermute_b32 v25, v40, v9
	ds_bpermute_b32 v26, v40, v10
	;; [unrolled: 1-line block ×16, first 2 shown]
	s_waitcnt lgkmcnt(14)
	v_add_f64 v[9:10], v[9:10], v[25:26]
	v_xor_b32_e32 v25, 2, v41
	s_waitcnt lgkmcnt(12)
	v_add_f64 v[11:12], v[11:12], v[27:28]
	s_waitcnt lgkmcnt(10)
	v_add_f64 v[13:14], v[13:14], v[29:30]
	v_cmp_gt_i32_e32 vcc_lo, 32, v25
	s_waitcnt lgkmcnt(8)
	v_add_f64 v[15:16], v[15:16], v[31:32]
	s_waitcnt lgkmcnt(6)
	v_add_f64 v[17:18], v[17:18], v[33:34]
	;; [unrolled: 2-line block ×3, first 2 shown]
	v_cndmask_b32_e32 v27, v41, v25, vcc_lo
	s_waitcnt lgkmcnt(2)
	v_add_f64 v[21:22], v[21:22], v[37:38]
	s_waitcnt lgkmcnt(0)
	v_add_f64 v[25:26], v[23:24], v[39:40]
	v_lshlrev_b32_e32 v40, 2, v27
	ds_bpermute_b32 v23, v40, v9
	ds_bpermute_b32 v24, v40, v10
	;; [unrolled: 1-line block ×16, first 2 shown]
	s_waitcnt lgkmcnt(14)
	v_add_f64 v[9:10], v[9:10], v[23:24]
	s_waitcnt lgkmcnt(12)
	v_add_f64 v[27:28], v[11:12], v[27:28]
	;; [unrolled: 2-line block ×3, first 2 shown]
	v_xor_b32_e32 v29, 1, v41
	s_waitcnt lgkmcnt(8)
	v_add_f64 v[23:24], v[15:16], v[31:32]
	s_waitcnt lgkmcnt(6)
	v_add_f64 v[13:14], v[17:18], v[33:34]
	v_cmp_gt_i32_e32 vcc_lo, 32, v29
	s_waitcnt lgkmcnt(4)
	v_add_f64 v[17:18], v[19:20], v[35:36]
	s_waitcnt lgkmcnt(2)
	v_add_f64 v[15:16], v[21:22], v[37:38]
	s_waitcnt lgkmcnt(0)
	v_add_f64 v[19:20], v[25:26], v[39:40]
	v_cndmask_b32_e32 v29, v41, v29, vcc_lo
	v_cmp_eq_u32_e32 vcc_lo, 15, v0
	v_lshlrev_b32_e32 v34, 2, v29
	ds_bpermute_b32 v21, v34, v9
	ds_bpermute_b32 v22, v34, v10
	ds_bpermute_b32 v39, v34, v27
	ds_bpermute_b32 v40, v34, v28
	ds_bpermute_b32 v25, v34, v11
	ds_bpermute_b32 v26, v34, v12
	ds_bpermute_b32 v37, v34, v23
	ds_bpermute_b32 v38, v34, v24
	ds_bpermute_b32 v29, v34, v13
	ds_bpermute_b32 v30, v34, v14
	ds_bpermute_b32 v35, v34, v17
	ds_bpermute_b32 v36, v34, v18
	ds_bpermute_b32 v31, v34, v15
	ds_bpermute_b32 v32, v34, v16
	ds_bpermute_b32 v33, v34, v19
	ds_bpermute_b32 v34, v34, v20
	s_and_b32 exec_lo, exec_lo, vcc_lo
	s_cbranch_execz .LBB57_8
; %bb.38:
	s_waitcnt lgkmcnt(12)
	v_add_f64 v[27:28], v[27:28], v[39:40]
	s_waitcnt lgkmcnt(8)
	v_add_f64 v[23:24], v[23:24], v[37:38]
	;; [unrolled: 2-line block ×4, first 2 shown]
	v_add_f64 v[9:10], v[9:10], v[21:22]
	v_add_f64 v[11:12], v[11:12], v[25:26]
	;; [unrolled: 1-line block ×4, first 2 shown]
	v_cmp_eq_f64_e32 vcc_lo, 0, v[1:2]
	v_cmp_eq_f64_e64 s0, 0, v[3:4]
	s_load_dwordx2 s[2:3], s[4:5], 0x68
	v_mul_f64 v[13:14], v[27:28], -v[7:8]
	v_mul_f64 v[15:16], v[5:6], v[27:28]
	v_mul_f64 v[27:28], v[23:24], -v[7:8]
	v_mul_f64 v[23:24], v[5:6], v[23:24]
	;; [unrolled: 2-line block ×4, first 2 shown]
	s_and_b32 s0, vcc_lo, s0
	v_fma_f64 v[17:18], v[5:6], v[9:10], v[13:14]
	v_fma_f64 v[19:20], v[7:8], v[9:10], v[15:16]
	;; [unrolled: 1-line block ×8, first 2 shown]
	v_lshlrev_b64 v[21:22], 6, v[77:78]
	s_and_saveexec_b32 s1, s0
	s_xor_b32 s0, exec_lo, s1
	s_cbranch_execz .LBB57_40
; %bb.39:
	s_waitcnt lgkmcnt(0)
	v_add_co_u32 v0, vcc_lo, s2, v21
	v_add_co_ci_u32_e64 v1, null, s3, v22, vcc_lo
                                        ; implicit-def: $vgpr21_vgpr22
	global_store_dwordx4 v[0:1], v[17:20], off
	global_store_dwordx4 v[0:1], v[13:16], off offset:16
	global_store_dwordx4 v[0:1], v[9:12], off offset:32
	;; [unrolled: 1-line block ×3, first 2 shown]
                                        ; implicit-def: $vgpr3_vgpr4
                                        ; implicit-def: $vgpr17_vgpr18
                                        ; implicit-def: $vgpr13_vgpr14
                                        ; implicit-def: $vgpr9_vgpr10
                                        ; implicit-def: $vgpr5_vgpr6
.LBB57_40:
	s_andn2_saveexec_b32 s0, s0
	s_cbranch_execz .LBB57_8
; %bb.41:
	s_waitcnt lgkmcnt(0)
	v_add_co_u32 v37, vcc_lo, s2, v21
	v_add_co_ci_u32_e64 v38, null, s3, v22, vcc_lo
	s_clause 0x3
	global_load_dwordx4 v[21:24], v[37:38], off
	global_load_dwordx4 v[25:28], v[37:38], off offset:16
	global_load_dwordx4 v[29:32], v[37:38], off offset:32
	;; [unrolled: 1-line block ×3, first 2 shown]
	s_waitcnt vmcnt(3)
	v_fma_f64 v[17:18], v[1:2], v[21:22], v[17:18]
	v_fma_f64 v[19:20], v[3:4], v[21:22], v[19:20]
	s_waitcnt vmcnt(2)
	v_fma_f64 v[13:14], v[1:2], v[25:26], v[13:14]
	v_fma_f64 v[15:16], v[3:4], v[25:26], v[15:16]
	s_waitcnt vmcnt(1)
	v_fma_f64 v[21:22], v[1:2], v[29:30], v[9:10]
	v_fma_f64 v[25:26], v[3:4], v[29:30], v[11:12]
	s_waitcnt vmcnt(0)
	v_fma_f64 v[29:30], v[1:2], v[33:34], v[5:6]
	v_fma_f64 v[33:34], v[3:4], v[33:34], v[7:8]
	v_fma_f64 v[5:6], -v[3:4], v[23:24], v[17:18]
	v_fma_f64 v[7:8], v[1:2], v[23:24], v[19:20]
	v_fma_f64 v[9:10], -v[3:4], v[27:28], v[13:14]
	v_fma_f64 v[11:12], v[1:2], v[27:28], v[15:16]
	;; [unrolled: 2-line block ×4, first 2 shown]
	global_store_dwordx4 v[37:38], v[5:8], off
	global_store_dwordx4 v[37:38], v[9:12], off offset:16
	global_store_dwordx4 v[37:38], v[13:16], off offset:32
	;; [unrolled: 1-line block ×3, first 2 shown]
	s_endpgm
	.section	.rodata,"a",@progbits
	.p2align	6, 0x0
	.amdhsa_kernel _ZN9rocsparseL18bsrxmvn_4x4_kernelILj128ELj16E21rocsparse_complex_numIdEllS2_S2_S2_EEvT3_20rocsparse_direction_NS_24const_host_device_scalarIT1_EES3_PKS3_PKT2_SC_S9_PKT4_PKT5_S7_PT6_21rocsparse_index_base_b
		.amdhsa_group_segment_fixed_size 0
		.amdhsa_private_segment_fixed_size 0
		.amdhsa_kernarg_size 120
		.amdhsa_user_sgpr_count 6
		.amdhsa_user_sgpr_private_segment_buffer 1
		.amdhsa_user_sgpr_dispatch_ptr 0
		.amdhsa_user_sgpr_queue_ptr 0
		.amdhsa_user_sgpr_kernarg_segment_ptr 1
		.amdhsa_user_sgpr_dispatch_id 0
		.amdhsa_user_sgpr_flat_scratch_init 0
		.amdhsa_user_sgpr_private_segment_size 0
		.amdhsa_wavefront_size32 1
		.amdhsa_uses_dynamic_stack 0
		.amdhsa_system_sgpr_private_segment_wavefront_offset 0
		.amdhsa_system_sgpr_workgroup_id_x 1
		.amdhsa_system_sgpr_workgroup_id_y 0
		.amdhsa_system_sgpr_workgroup_id_z 0
		.amdhsa_system_sgpr_workgroup_info 0
		.amdhsa_system_vgpr_workitem_id 0
		.amdhsa_next_free_vgpr 179
		.amdhsa_next_free_sgpr 16
		.amdhsa_reserve_vcc 1
		.amdhsa_reserve_flat_scratch 0
		.amdhsa_float_round_mode_32 0
		.amdhsa_float_round_mode_16_64 0
		.amdhsa_float_denorm_mode_32 3
		.amdhsa_float_denorm_mode_16_64 3
		.amdhsa_dx10_clamp 1
		.amdhsa_ieee_mode 1
		.amdhsa_fp16_overflow 0
		.amdhsa_workgroup_processor_mode 1
		.amdhsa_memory_ordered 1
		.amdhsa_forward_progress 1
		.amdhsa_shared_vgpr_count 0
		.amdhsa_exception_fp_ieee_invalid_op 0
		.amdhsa_exception_fp_denorm_src 0
		.amdhsa_exception_fp_ieee_div_zero 0
		.amdhsa_exception_fp_ieee_overflow 0
		.amdhsa_exception_fp_ieee_underflow 0
		.amdhsa_exception_fp_ieee_inexact 0
		.amdhsa_exception_int_div_zero 0
	.end_amdhsa_kernel
	.section	.text._ZN9rocsparseL18bsrxmvn_4x4_kernelILj128ELj16E21rocsparse_complex_numIdEllS2_S2_S2_EEvT3_20rocsparse_direction_NS_24const_host_device_scalarIT1_EES3_PKS3_PKT2_SC_S9_PKT4_PKT5_S7_PT6_21rocsparse_index_base_b,"axG",@progbits,_ZN9rocsparseL18bsrxmvn_4x4_kernelILj128ELj16E21rocsparse_complex_numIdEllS2_S2_S2_EEvT3_20rocsparse_direction_NS_24const_host_device_scalarIT1_EES3_PKS3_PKT2_SC_S9_PKT4_PKT5_S7_PT6_21rocsparse_index_base_b,comdat
.Lfunc_end57:
	.size	_ZN9rocsparseL18bsrxmvn_4x4_kernelILj128ELj16E21rocsparse_complex_numIdEllS2_S2_S2_EEvT3_20rocsparse_direction_NS_24const_host_device_scalarIT1_EES3_PKS3_PKT2_SC_S9_PKT4_PKT5_S7_PT6_21rocsparse_index_base_b, .Lfunc_end57-_ZN9rocsparseL18bsrxmvn_4x4_kernelILj128ELj16E21rocsparse_complex_numIdEllS2_S2_S2_EEvT3_20rocsparse_direction_NS_24const_host_device_scalarIT1_EES3_PKS3_PKT2_SC_S9_PKT4_PKT5_S7_PT6_21rocsparse_index_base_b
                                        ; -- End function
	.set _ZN9rocsparseL18bsrxmvn_4x4_kernelILj128ELj16E21rocsparse_complex_numIdEllS2_S2_S2_EEvT3_20rocsparse_direction_NS_24const_host_device_scalarIT1_EES3_PKS3_PKT2_SC_S9_PKT4_PKT5_S7_PT6_21rocsparse_index_base_b.num_vgpr, 179
	.set _ZN9rocsparseL18bsrxmvn_4x4_kernelILj128ELj16E21rocsparse_complex_numIdEllS2_S2_S2_EEvT3_20rocsparse_direction_NS_24const_host_device_scalarIT1_EES3_PKS3_PKT2_SC_S9_PKT4_PKT5_S7_PT6_21rocsparse_index_base_b.num_agpr, 0
	.set _ZN9rocsparseL18bsrxmvn_4x4_kernelILj128ELj16E21rocsparse_complex_numIdEllS2_S2_S2_EEvT3_20rocsparse_direction_NS_24const_host_device_scalarIT1_EES3_PKS3_PKT2_SC_S9_PKT4_PKT5_S7_PT6_21rocsparse_index_base_b.numbered_sgpr, 16
	.set _ZN9rocsparseL18bsrxmvn_4x4_kernelILj128ELj16E21rocsparse_complex_numIdEllS2_S2_S2_EEvT3_20rocsparse_direction_NS_24const_host_device_scalarIT1_EES3_PKS3_PKT2_SC_S9_PKT4_PKT5_S7_PT6_21rocsparse_index_base_b.num_named_barrier, 0
	.set _ZN9rocsparseL18bsrxmvn_4x4_kernelILj128ELj16E21rocsparse_complex_numIdEllS2_S2_S2_EEvT3_20rocsparse_direction_NS_24const_host_device_scalarIT1_EES3_PKS3_PKT2_SC_S9_PKT4_PKT5_S7_PT6_21rocsparse_index_base_b.private_seg_size, 0
	.set _ZN9rocsparseL18bsrxmvn_4x4_kernelILj128ELj16E21rocsparse_complex_numIdEllS2_S2_S2_EEvT3_20rocsparse_direction_NS_24const_host_device_scalarIT1_EES3_PKS3_PKT2_SC_S9_PKT4_PKT5_S7_PT6_21rocsparse_index_base_b.uses_vcc, 1
	.set _ZN9rocsparseL18bsrxmvn_4x4_kernelILj128ELj16E21rocsparse_complex_numIdEllS2_S2_S2_EEvT3_20rocsparse_direction_NS_24const_host_device_scalarIT1_EES3_PKS3_PKT2_SC_S9_PKT4_PKT5_S7_PT6_21rocsparse_index_base_b.uses_flat_scratch, 0
	.set _ZN9rocsparseL18bsrxmvn_4x4_kernelILj128ELj16E21rocsparse_complex_numIdEllS2_S2_S2_EEvT3_20rocsparse_direction_NS_24const_host_device_scalarIT1_EES3_PKS3_PKT2_SC_S9_PKT4_PKT5_S7_PT6_21rocsparse_index_base_b.has_dyn_sized_stack, 0
	.set _ZN9rocsparseL18bsrxmvn_4x4_kernelILj128ELj16E21rocsparse_complex_numIdEllS2_S2_S2_EEvT3_20rocsparse_direction_NS_24const_host_device_scalarIT1_EES3_PKS3_PKT2_SC_S9_PKT4_PKT5_S7_PT6_21rocsparse_index_base_b.has_recursion, 0
	.set _ZN9rocsparseL18bsrxmvn_4x4_kernelILj128ELj16E21rocsparse_complex_numIdEllS2_S2_S2_EEvT3_20rocsparse_direction_NS_24const_host_device_scalarIT1_EES3_PKS3_PKT2_SC_S9_PKT4_PKT5_S7_PT6_21rocsparse_index_base_b.has_indirect_call, 0
	.section	.AMDGPU.csdata,"",@progbits
; Kernel info:
; codeLenInByte = 10992
; TotalNumSgprs: 18
; NumVgprs: 179
; ScratchSize: 0
; MemoryBound: 1
; FloatMode: 240
; IeeeMode: 1
; LDSByteSize: 0 bytes/workgroup (compile time only)
; SGPRBlocks: 0
; VGPRBlocks: 22
; NumSGPRsForWavesPerEU: 18
; NumVGPRsForWavesPerEU: 179
; Occupancy: 5
; WaveLimiterHint : 1
; COMPUTE_PGM_RSRC2:SCRATCH_EN: 0
; COMPUTE_PGM_RSRC2:USER_SGPR: 6
; COMPUTE_PGM_RSRC2:TRAP_HANDLER: 0
; COMPUTE_PGM_RSRC2:TGID_X_EN: 1
; COMPUTE_PGM_RSRC2:TGID_Y_EN: 0
; COMPUTE_PGM_RSRC2:TGID_Z_EN: 0
; COMPUTE_PGM_RSRC2:TIDIG_COMP_CNT: 0
	.section	.text._ZN9rocsparseL18bsrxmvn_4x4_kernelILj128ELj32E21rocsparse_complex_numIdEllS2_S2_S2_EEvT3_20rocsparse_direction_NS_24const_host_device_scalarIT1_EES3_PKS3_PKT2_SC_S9_PKT4_PKT5_S7_PT6_21rocsparse_index_base_b,"axG",@progbits,_ZN9rocsparseL18bsrxmvn_4x4_kernelILj128ELj32E21rocsparse_complex_numIdEllS2_S2_S2_EEvT3_20rocsparse_direction_NS_24const_host_device_scalarIT1_EES3_PKS3_PKT2_SC_S9_PKT4_PKT5_S7_PT6_21rocsparse_index_base_b,comdat
	.globl	_ZN9rocsparseL18bsrxmvn_4x4_kernelILj128ELj32E21rocsparse_complex_numIdEllS2_S2_S2_EEvT3_20rocsparse_direction_NS_24const_host_device_scalarIT1_EES3_PKS3_PKT2_SC_S9_PKT4_PKT5_S7_PT6_21rocsparse_index_base_b ; -- Begin function _ZN9rocsparseL18bsrxmvn_4x4_kernelILj128ELj32E21rocsparse_complex_numIdEllS2_S2_S2_EEvT3_20rocsparse_direction_NS_24const_host_device_scalarIT1_EES3_PKS3_PKT2_SC_S9_PKT4_PKT5_S7_PT6_21rocsparse_index_base_b
	.p2align	8
	.type	_ZN9rocsparseL18bsrxmvn_4x4_kernelILj128ELj32E21rocsparse_complex_numIdEllS2_S2_S2_EEvT3_20rocsparse_direction_NS_24const_host_device_scalarIT1_EES3_PKS3_PKT2_SC_S9_PKT4_PKT5_S7_PT6_21rocsparse_index_base_b,@function
_ZN9rocsparseL18bsrxmvn_4x4_kernelILj128ELj32E21rocsparse_complex_numIdEllS2_S2_S2_EEvT3_20rocsparse_direction_NS_24const_host_device_scalarIT1_EES3_PKS3_PKT2_SC_S9_PKT4_PKT5_S7_PT6_21rocsparse_index_base_b: ; @_ZN9rocsparseL18bsrxmvn_4x4_kernelILj128ELj32E21rocsparse_complex_numIdEllS2_S2_S2_EEvT3_20rocsparse_direction_NS_24const_host_device_scalarIT1_EES3_PKS3_PKT2_SC_S9_PKT4_PKT5_S7_PT6_21rocsparse_index_base_b
; %bb.0:
	s_clause 0x1
	s_load_dwordx2 s[2:3], s[4:5], 0x70
	s_load_dwordx2 s[0:1], s[4:5], 0x10
	s_add_u32 s7, s4, 16
	s_addc_u32 s10, s5, 0
	s_add_u32 s11, s4, 0x58
	s_addc_u32 s12, s5, 0
	s_load_dwordx2 s[8:9], s[4:5], 0x58
	s_waitcnt lgkmcnt(0)
	s_bitcmp1_b32 s3, 0
	s_cselect_b32 s0, s7, s0
	s_cselect_b32 s1, s10, s1
	v_mov_b32_e32 v1, s0
	v_mov_b32_e32 v2, s1
	s_cselect_b32 s0, s11, s8
	s_cselect_b32 s1, s12, s9
	flat_load_dwordx4 v[5:8], v[1:2]
	v_mov_b32_e32 v1, s0
	v_mov_b32_e32 v2, s1
	flat_load_dwordx4 v[1:4], v[1:2]
	s_waitcnt vmcnt(1) lgkmcnt(1)
	v_cmp_eq_f64_e32 vcc_lo, 0, v[5:6]
	v_cmp_eq_f64_e64 s0, 0, v[7:8]
	s_and_b32 s3, vcc_lo, s0
	s_mov_b32 s0, -1
	s_and_saveexec_b32 s1, s3
	s_cbranch_execz .LBB58_2
; %bb.1:
	s_waitcnt vmcnt(0) lgkmcnt(0)
	v_cmp_neq_f64_e32 vcc_lo, 1.0, v[1:2]
	v_cmp_neq_f64_e64 s0, 0, v[3:4]
	s_or_b32 s0, vcc_lo, s0
	s_orn2_b32 s0, s0, exec_lo
.LBB58_2:
	s_or_b32 exec_lo, exec_lo, s1
	s_and_saveexec_b32 s1, s0
	s_cbranch_execz .LBB58_8
; %bb.3:
	s_load_dwordx2 s[0:1], s[4:5], 0x28
	v_lshrrev_b32_e32 v9, 5, v0
	v_mov_b32_e32 v10, 0
	v_lshl_or_b32 v9, s6, 2, v9
	s_waitcnt lgkmcnt(0)
	s_cmp_lg_u64 s[0:1], 0
	s_cbranch_scc0 .LBB58_9
; %bb.4:
	s_load_dwordx2 s[6:7], s[4:5], 0x20
                                        ; implicit-def: $vgpr77_vgpr78
                                        ; implicit-def: $vgpr79_vgpr80
	s_waitcnt lgkmcnt(0)
	v_cmp_gt_i64_e32 vcc_lo, s[6:7], v[9:10]
	s_mov_b32 s7, 0
	s_mov_b32 s6, 0
	s_and_saveexec_b32 s3, vcc_lo
	s_xor_b32 s8, exec_lo, s3
	s_cbranch_execz .LBB58_6
; %bb.5:
	v_lshlrev_b64 v[11:12], 3, v[9:10]
	s_mov_b32 s3, 0
	s_mov_b32 s6, exec_lo
	v_mov_b32_e32 v80, s3
	v_mov_b32_e32 v79, s2
	v_add_co_u32 v11, vcc_lo, s0, v11
	v_add_co_ci_u32_e64 v12, null, s1, v12, vcc_lo
	global_load_dwordx2 v[11:12], v[11:12], off
	s_waitcnt vmcnt(0)
	v_sub_co_u32 v77, vcc_lo, v11, s2
	v_subrev_co_ci_u32_e64 v78, null, 0, v12, vcc_lo
.LBB58_6:
	s_or_b32 exec_lo, exec_lo, s8
	s_and_b32 vcc_lo, exec_lo, s7
	s_cbranch_vccnz .LBB58_10
.LBB58_7:
	s_and_b32 exec_lo, exec_lo, s6
	s_cbranch_execnz .LBB58_13
.LBB58_8:
	s_endpgm
.LBB58_9:
	s_mov_b32 s6, 0
                                        ; implicit-def: $vgpr77_vgpr78
                                        ; implicit-def: $vgpr79_vgpr80
	s_cbranch_execz .LBB58_7
.LBB58_10:
	s_load_dwordx2 s[0:1], s[4:5], 0x0
	s_waitcnt lgkmcnt(0)
	v_cmp_gt_i64_e32 vcc_lo, s[0:1], v[9:10]
	s_and_saveexec_b32 s0, vcc_lo
; %bb.11:
	s_mov_b32 s3, 0
	s_or_b32 s6, s6, exec_lo
; %bb.12:
	s_or_b32 exec_lo, exec_lo, s0
	v_mov_b32_e32 v80, s3
	v_mov_b32_e32 v78, v10
	v_mov_b32_e32 v79, s2
	v_mov_b32_e32 v77, v9
	s_and_b32 exec_lo, exec_lo, s6
	s_cbranch_execz .LBB58_8
.LBB58_13:
	s_load_dwordx8 s[8:15], s[4:5], 0x30
	v_lshlrev_b64 v[9:10], 3, v[77:78]
	v_and_b32_e32 v0, 31, v0
	s_clause 0x1
	s_load_dword s1, s[4:5], 0x8
	s_load_dwordx2 s[2:3], s[4:5], 0x50
	s_waitcnt lgkmcnt(0)
	v_add_co_u32 v11, vcc_lo, s8, v9
	v_add_co_ci_u32_e64 v12, null, s9, v10, vcc_lo
	v_add_co_u32 v9, vcc_lo, s10, v9
	v_add_co_ci_u32_e64 v10, null, s11, v10, vcc_lo
	v_add_co_u32 v13, vcc_lo, v11, 8
	v_add_co_ci_u32_e64 v14, null, 0, v12, vcc_lo
	global_load_dwordx2 v[103:104], v[11:12], off
	s_cmp_eq_u64 s[10:11], 0
	s_cselect_b32 vcc_lo, -1, 0
	s_cmp_eq_u32 s1, 1
	v_cndmask_b32_e32 v10, v10, v14, vcc_lo
	v_cndmask_b32_e32 v9, v9, v13, vcc_lo
	global_load_dwordx2 v[9:10], v[9:10], off
	s_waitcnt vmcnt(1)
	v_sub_co_u32 v11, vcc_lo, v103, v79
	v_sub_co_ci_u32_e64 v12, null, v104, v80, vcc_lo
	v_add_co_u32 v81, vcc_lo, v11, v0
	v_add_co_ci_u32_e64 v82, null, 0, v12, vcc_lo
	s_waitcnt vmcnt(0)
	v_sub_co_u32 v83, vcc_lo, v9, v79
	v_sub_co_ci_u32_e64 v84, null, v10, v80, vcc_lo
	v_lshlrev_b64 v[9:10], 8, v[81:82]
	v_cmp_lt_i64_e64 s0, v[81:82], v[83:84]
	v_add_co_u32 v85, vcc_lo, s14, v9
	v_add_co_ci_u32_e64 v86, null, s15, v10, vcc_lo
	s_cbranch_scc1 .LBB58_25
; %bb.14:
	v_mov_b32_e32 v97, 0
	v_mov_b32_e32 v99, 0
	;; [unrolled: 1-line block ×16, first 2 shown]
	s_and_saveexec_b32 s6, s0
	s_cbranch_execz .LBB58_24
; %bb.15:
	v_or_b32_e32 v9, 32, v0
	v_not_b32_e32 v13, v103
	v_not_b32_e32 v11, v104
	v_mov_b32_e32 v91, 0
	v_mov_b32_e32 v101, 0
	v_sub_co_u32 v9, vcc_lo, v9, v79
	v_sub_co_ci_u32_e64 v10, null, 0, v80, vcc_lo
	v_mov_b32_e32 v93, 0
	v_add_co_u32 v9, vcc_lo, v9, v103
	v_add_co_ci_u32_e64 v10, null, v10, v104, vcc_lo
	v_sub_co_u32 v14, vcc_lo, v79, v0
	v_subrev_co_ci_u32_e64 v15, null, 0, v80, vcc_lo
	v_cmp_gt_i64_e32 vcc_lo, v[9:10], v[83:84]
	v_add_co_u32 v13, s1, v14, v13
	v_add_co_ci_u32_e64 v11, null, v15, v11, s1
	v_mov_b32_e32 v95, 0
	v_cndmask_b32_e32 v9, v83, v9, vcc_lo
	v_cndmask_b32_e32 v10, v84, v10, vcc_lo
	v_mov_b32_e32 v89, 0
	v_mov_b32_e32 v87, 0
	;; [unrolled: 1-line block ×3, first 2 shown]
	v_add_co_u32 v9, vcc_lo, v13, v9
	v_mov_b32_e32 v97, 0
	v_mov_b32_e32 v108, v86
	;; [unrolled: 1-line block ×8, first 2 shown]
	v_add_co_ci_u32_e64 v10, null, v11, v10, vcc_lo
	v_and_b32_e32 v11, 0x60, v9
	v_mov_b32_e32 v90, 0
	v_mov_b32_e32 v88, 0
	;; [unrolled: 1-line block ×6, first 2 shown]
	s_mov_b32 s7, exec_lo
	v_cmpx_ne_u64_e32 0x60, v[11:12]
	s_cbranch_execz .LBB58_19
; %bb.16:
	v_lshrrev_b32_e32 v13, 5, v9
	v_lshlrev_b64 v[11:12], 3, v[81:82]
	v_mov_b32_e32 v97, 0
	v_mov_b32_e32 v106, v82
	;; [unrolled: 1-line block ×3, first 2 shown]
	v_add_nc_u32_e32 v13, 1, v13
	v_mov_b32_e32 v87, 0
	v_add_co_u32 v11, vcc_lo, s12, v11
	v_mov_b32_e32 v89, 0
	v_and_b32_e32 v13, 3, v13
	v_mov_b32_e32 v95, 0
	v_mov_b32_e32 v93, 0
	;; [unrolled: 1-line block ×4, first 2 shown]
	v_sub_co_u32 v13, s1, 0, v13
	v_mov_b32_e32 v108, v86
	v_mov_b32_e32 v98, 0
	;; [unrolled: 1-line block ×5, first 2 shown]
	v_add_co_ci_u32_e64 v12, null, s13, v12, vcc_lo
	v_sub_co_ci_u32_e64 v14, null, 0, 0, s1
	v_mov_b32_e32 v90, 0
	v_mov_b32_e32 v96, 0
	;; [unrolled: 1-line block ×6, first 2 shown]
	s_mov_b32 s8, 0
.LBB58_17:                              ; =>This Inner Loop Header: Depth=1
	global_load_dwordx2 v[43:44], v[11:12], off
	s_clause 0x6
	global_load_dwordx4 v[15:18], v[107:108], off offset:16
	global_load_dwordx4 v[19:22], v[107:108], off
	global_load_dwordx4 v[23:26], v[107:108], off offset:80
	global_load_dwordx4 v[27:30], v[107:108], off offset:64
	;; [unrolled: 1-line block ×5, first 2 shown]
	v_add_co_u32 v11, s1, 0x100, v11
	v_add_co_ci_u32_e64 v12, null, 0, v12, s1
	s_waitcnt vmcnt(7)
	v_sub_co_u32 v43, vcc_lo, v43, v79
	v_sub_co_ci_u32_e64 v44, null, v44, v80, vcc_lo
	v_lshlrev_b64 v[43:44], 6, v[43:44]
	v_add_co_u32 v75, vcc_lo, s2, v43
	v_add_co_ci_u32_e64 v76, null, s3, v44, vcc_lo
	global_load_dwordx4 v[43:46], v[75:76], off
	global_load_dwordx4 v[47:50], v[107:108], off offset:208
	global_load_dwordx4 v[51:54], v[75:76], off offset:16
	s_clause 0x6
	global_load_dwordx4 v[55:58], v[107:108], off offset:48
	global_load_dwordx4 v[59:62], v[107:108], off offset:32
	;; [unrolled: 1-line block ×10, first 2 shown]
	v_add_co_u32 v107, vcc_lo, 0x2000, v107
	v_add_co_ci_u32_e64 v108, null, 0, v108, vcc_lo
	v_add_co_u32 v13, vcc_lo, v13, 1
	v_add_co_ci_u32_e64 v14, null, 0, v14, vcc_lo
	;; [unrolled: 2-line block ×3, first 2 shown]
	v_cmp_eq_u64_e32 vcc_lo, 0, v[13:14]
	s_or_b32 s8, vcc_lo, s8
	s_waitcnt vmcnt(12)
	v_fma_f64 v[75:76], v[19:20], v[43:44], v[99:100]
	v_fma_f64 v[97:98], v[21:22], v[43:44], v[97:98]
	v_fma_f64 v[99:100], v[27:28], v[43:44], v[101:102]
	v_fma_f64 v[91:92], v[29:30], v[43:44], v[91:92]
	v_fma_f64 v[95:96], v[35:36], v[43:44], v[95:96]
	v_fma_f64 v[93:94], v[37:38], v[43:44], v[93:94]
	v_fma_f64 v[87:88], v[39:40], v[43:44], v[87:88]
	v_fma_f64 v[43:44], v[41:42], v[43:44], v[89:90]
	v_fma_f64 v[21:22], -v[21:22], v[45:46], v[75:76]
	v_fma_f64 v[19:20], v[19:20], v[45:46], v[97:98]
	v_fma_f64 v[29:30], -v[29:30], v[45:46], v[99:100]
	v_fma_f64 v[27:28], v[27:28], v[45:46], v[91:92]
	v_fma_f64 v[37:38], -v[37:38], v[45:46], v[95:96]
	v_fma_f64 v[35:36], v[35:36], v[45:46], v[93:94]
	v_fma_f64 v[41:42], -v[41:42], v[45:46], v[87:88]
	v_fma_f64 v[39:40], v[39:40], v[45:46], v[43:44]
	s_waitcnt vmcnt(10)
	v_fma_f64 v[21:22], v[15:16], v[51:52], v[21:22]
	v_fma_f64 v[19:20], v[17:18], v[51:52], v[19:20]
	v_fma_f64 v[29:30], v[23:24], v[51:52], v[29:30]
	v_fma_f64 v[27:28], v[25:26], v[51:52], v[27:28]
	v_fma_f64 v[37:38], v[31:32], v[51:52], v[37:38]
	v_fma_f64 v[35:36], v[33:34], v[51:52], v[35:36]
	v_fma_f64 v[41:42], v[47:48], v[51:52], v[41:42]
	v_fma_f64 v[39:40], v[49:50], v[51:52], v[39:40]
	v_fma_f64 v[17:18], -v[17:18], v[53:54], v[21:22]
	v_fma_f64 v[15:16], v[15:16], v[53:54], v[19:20]
	v_fma_f64 v[19:20], -v[25:26], v[53:54], v[29:30]
	v_fma_f64 v[21:22], v[23:24], v[53:54], v[27:28]
	v_fma_f64 v[23:24], -v[33:34], v[53:54], v[37:38]
	v_fma_f64 v[25:26], v[31:32], v[53:54], v[35:36]
	v_fma_f64 v[27:28], -v[49:50], v[53:54], v[41:42]
	v_fma_f64 v[29:30], v[47:48], v[53:54], v[39:40]
	;; [unrolled: 17-line block ×4, first 2 shown]
	s_andn2_b32 exec_lo, exec_lo, s8
	s_cbranch_execnz .LBB58_17
; %bb.18:
	s_or_b32 exec_lo, exec_lo, s8
.LBB58_19:
	s_or_b32 exec_lo, exec_lo, s7
	s_mov_b32 s7, exec_lo
	v_cmpx_lt_u64_e32 0x5f, v[9:10]
	s_cbranch_execz .LBB58_23
; %bb.20:
	v_lshlrev_b64 v[9:10], 3, v[105:106]
	s_mov_b32 s8, 0
	v_add_co_u32 v9, vcc_lo, s12, v9
	v_add_co_ci_u32_e64 v10, null, s13, v10, vcc_lo
	v_add_co_u32 v109, vcc_lo, 0x200, v9
	v_add_co_ci_u32_e64 v110, null, 0, v10, vcc_lo
.LBB58_21:                              ; =>This Inner Loop Header: Depth=1
	global_load_dwordx2 v[115:116], v[109:110], off offset:-512
	s_clause 0xf
	global_load_dwordx4 v[9:12], v[107:108], off offset:48
	global_load_dwordx4 v[17:20], v[107:108], off offset:32
	;; [unrolled: 1-line block ×3, first 2 shown]
	global_load_dwordx4 v[41:44], v[107:108], off
	global_load_dwordx4 v[13:16], v[107:108], off offset:112
	global_load_dwordx4 v[33:36], v[107:108], off offset:96
	;; [unrolled: 1-line block ×12, first 2 shown]
	s_clause 0x2
	global_load_dwordx2 v[167:168], v[109:110], off offset:-256
	global_load_dwordx2 v[111:112], v[109:110], off
	global_load_dwordx2 v[117:118], v[109:110], off offset:256
	v_add_co_u32 v169, vcc_lo, 0x2000, v107
	v_add_co_ci_u32_e64 v170, null, 0, v108, vcc_lo
	v_add_co_u32 v171, vcc_lo, 0x4000, v107
	v_add_co_ci_u32_e64 v172, null, 0, v108, vcc_lo
	;; [unrolled: 2-line block ×3, first 2 shown]
	s_clause 0xa
	global_load_dwordx4 v[69:72], v[169:170], off offset:48
	global_load_dwordx4 v[119:122], v[169:170], off offset:32
	global_load_dwordx4 v[123:126], v[169:170], off
	global_load_dwordx4 v[127:130], v[169:170], off offset:16
	global_load_dwordx4 v[131:134], v[169:170], off offset:112
	;; [unrolled: 1-line block ×8, first 2 shown]
	v_add_co_u32 v107, s1, 0x8000, v107
	v_add_co_ci_u32_e64 v108, null, 0, v108, s1
	s_waitcnt vmcnt(30)
	v_sub_co_u32 v115, vcc_lo, v115, v79
	v_sub_co_ci_u32_e64 v116, null, v116, v80, vcc_lo
	v_lshlrev_b64 v[115:116], 6, v[115:116]
	v_add_co_u32 v115, vcc_lo, s2, v115
	v_add_co_ci_u32_e64 v116, null, s3, v116, vcc_lo
	s_clause 0x1
	global_load_dwordx4 v[159:162], v[115:116], off
	global_load_dwordx4 v[163:166], v[115:116], off offset:16
	s_waitcnt vmcnt(1)
	v_fma_f64 v[99:100], v[41:42], v[159:160], v[99:100]
	v_fma_f64 v[97:98], v[43:44], v[159:160], v[97:98]
	;; [unrolled: 1-line block ×7, first 2 shown]
	v_fma_f64 v[43:44], -v[43:44], v[161:162], v[99:100]
	v_fma_f64 v[41:42], v[41:42], v[161:162], v[97:98]
	v_fma_f64 v[101:102], -v[59:60], v[161:162], v[101:102]
	v_fma_f64 v[173:174], v[57:58], v[161:162], v[91:92]
	v_fma_f64 v[91:92], v[65:66], v[159:160], v[95:96]
	s_clause 0x1
	global_load_dwordx4 v[97:100], v[169:170], off offset:128
	global_load_dwordx4 v[57:60], v[169:170], off offset:240
	v_fma_f64 v[175:176], v[65:66], v[161:162], v[93:94]
	v_fma_f64 v[159:160], -v[75:76], v[161:162], v[87:88]
	s_waitcnt vmcnt(2)
	v_fma_f64 v[43:44], v[25:26], v[163:164], v[43:44]
	v_fma_f64 v[41:42], v[27:28], v[163:164], v[41:42]
	v_fma_f64 v[95:96], -v[67:68], v[161:162], v[91:92]
	global_load_dwordx4 v[65:68], v[169:170], off offset:224
	v_fma_f64 v[161:162], v[73:74], v[161:162], v[89:90]
	s_clause 0x2
	global_load_dwordx4 v[73:76], v[169:170], off offset:208
	global_load_dwordx4 v[87:90], v[169:170], off offset:192
	global_load_dwordx4 v[91:94], v[171:172], off
	v_fma_f64 v[169:170], -v[27:28], v[165:166], v[43:44]
	v_fma_f64 v[177:178], v[25:26], v[165:166], v[41:42]
	v_fma_f64 v[25:26], v[45:46], v[163:164], v[101:102]
	;; [unrolled: 1-line block ×5, first 2 shown]
	v_fma_f64 v[101:102], -v[47:48], v[165:166], v[25:26]
	v_fma_f64 v[173:174], v[45:46], v[165:166], v[27:28]
	v_fma_f64 v[45:46], v[61:62], v[163:164], v[159:160]
	v_fma_f64 v[47:48], v[63:64], v[163:164], v[161:162]
	global_load_dwordx4 v[25:28], v[171:172], off offset:48
	v_fma_f64 v[95:96], -v[55:56], v[165:166], v[41:42]
	v_fma_f64 v[175:176], v[53:54], v[165:166], v[43:44]
	global_load_dwordx4 v[41:44], v[171:172], off offset:32
	v_fma_f64 v[159:160], -v[63:64], v[165:166], v[45:46]
	v_fma_f64 v[161:162], v[61:62], v[165:166], v[47:48]
	global_load_dwordx4 v[45:48], v[171:172], off offset:16
	s_clause 0x1
	global_load_dwordx4 v[53:56], v[115:116], off offset:32
	global_load_dwordx4 v[61:64], v[115:116], off offset:48
	s_waitcnt vmcnt(1)
	v_fma_f64 v[115:116], v[17:18], v[53:54], v[169:170]
	v_fma_f64 v[163:164], v[19:20], v[53:54], v[177:178]
	;; [unrolled: 1-line block ×8, first 2 shown]
	v_fma_f64 v[115:116], -v[19:20], v[55:56], v[115:116]
	v_fma_f64 v[163:164], v[17:18], v[55:56], v[163:164]
	v_fma_f64 v[101:102], -v[35:36], v[55:56], v[101:102]
	v_fma_f64 v[165:166], v[33:34], v[55:56], v[165:166]
	;; [unrolled: 2-line block ×4, first 2 shown]
	v_sub_co_u32 v53, vcc_lo, v167, v79
	v_sub_co_ci_u32_e64 v54, null, v168, v80, vcc_lo
	s_clause 0x3
	global_load_dwordx4 v[17:20], v[171:172], off offset:112
	global_load_dwordx4 v[33:36], v[171:172], off offset:96
	;; [unrolled: 1-line block ×4, first 2 shown]
	v_lshlrev_b64 v[53:54], 6, v[53:54]
	s_waitcnt vmcnt(4)
	v_fma_f64 v[115:116], v[9:10], v[61:62], v[115:116]
	v_fma_f64 v[163:164], v[11:12], v[61:62], v[163:164]
	;; [unrolled: 1-line block ×8, first 2 shown]
	v_add_co_u32 v167, vcc_lo, s2, v53
	v_add_co_ci_u32_e64 v168, null, s3, v54, vcc_lo
	global_load_dwordx4 v[53:56], v[171:172], off offset:176
	v_fma_f64 v[115:116], -v[11:12], v[63:64], v[115:116]
	v_fma_f64 v[163:164], v[9:10], v[63:64], v[163:164]
	global_load_dwordx4 v[9:12], v[171:172], off offset:160
	v_fma_f64 v[101:102], -v[15:16], v[63:64], v[101:102]
	v_fma_f64 v[165:166], v[13:14], v[63:64], v[165:166]
	;; [unrolled: 3-line block ×4, first 2 shown]
	s_clause 0x1
	global_load_dwordx4 v[29:32], v[167:168], off
	global_load_dwordx4 v[61:64], v[167:168], off offset:16
	s_waitcnt vmcnt(1)
	v_fma_f64 v[115:116], v[123:124], v[29:30], v[115:116]
	v_fma_f64 v[95:96], v[97:98], v[29:30], v[95:96]
	;; [unrolled: 1-line block ×6, first 2 shown]
	v_fma_f64 v[115:116], -v[125:126], v[31:32], v[115:116]
	v_fma_f64 v[173:174], -v[99:100], v[31:32], v[95:96]
	v_fma_f64 v[99:100], v[87:88], v[29:30], v[159:160]
	v_fma_f64 v[163:164], v[123:124], v[31:32], v[163:164]
	v_fma_f64 v[101:102], -v[145:146], v[31:32], v[101:102]
	v_fma_f64 v[165:166], v[143:144], v[31:32], v[165:166]
	v_fma_f64 v[169:170], v[97:98], v[31:32], v[169:170]
	;; [unrolled: 1-line block ×3, first 2 shown]
	s_clause 0x2
	global_load_dwordx4 v[123:126], v[171:172], off offset:240
	global_load_dwordx4 v[143:146], v[171:172], off offset:224
	global_load_dwordx4 v[95:98], v[171:172], off offset:208
	v_fma_f64 v[159:160], -v[89:90], v[31:32], v[99:100]
	s_waitcnt vmcnt(3)
	v_fma_f64 v[99:100], v[127:128], v[61:62], v[115:116]
	v_fma_f64 v[115:116], v[129:130], v[61:62], v[163:164]
	;; [unrolled: 1-line block ×3, first 2 shown]
	s_clause 0x1
	global_load_dwordx4 v[29:32], v[171:172], off offset:192
	global_load_dwordx4 v[87:90], v[113:114], off
	v_fma_f64 v[163:164], -v[129:130], v[63:64], v[99:100]
	v_fma_f64 v[99:100], v[139:140], v[61:62], v[101:102]
	v_fma_f64 v[101:102], v[141:142], v[61:62], v[165:166]
	;; [unrolled: 1-line block ×3, first 2 shown]
	global_load_dwordx4 v[127:130], v[113:114], off offset:48
	v_fma_f64 v[165:166], -v[141:142], v[63:64], v[99:100]
	v_fma_f64 v[141:142], v[157:158], v[61:62], v[169:170]
	v_fma_f64 v[171:172], v[139:140], v[63:64], v[101:102]
	;; [unrolled: 1-line block ×3, first 2 shown]
	global_load_dwordx4 v[99:102], v[113:114], off offset:32
	v_fma_f64 v[173:174], v[155:156], v[63:64], v[141:142]
	v_fma_f64 v[155:156], v[73:74], v[61:62], v[159:160]
	;; [unrolled: 1-line block ×3, first 2 shown]
	v_fma_f64 v[169:170], -v[157:158], v[63:64], v[139:140]
	global_load_dwordx4 v[139:142], v[113:114], off offset:16
	v_fma_f64 v[159:160], -v[75:76], v[63:64], v[155:156]
	v_fma_f64 v[161:162], v[73:74], v[63:64], v[61:62]
	global_load_dwordx4 v[61:64], v[113:114], off offset:80
	s_clause 0x1
	global_load_dwordx4 v[73:76], v[167:168], off offset:32
	global_load_dwordx4 v[155:158], v[167:168], off offset:48
	s_waitcnt vmcnt(1)
	v_fma_f64 v[163:164], v[119:120], v[73:74], v[163:164]
	v_fma_f64 v[115:116], v[121:122], v[73:74], v[115:116]
	;; [unrolled: 1-line block ×8, first 2 shown]
	v_fma_f64 v[163:164], -v[121:122], v[75:76], v[163:164]
	v_fma_f64 v[115:116], v[119:120], v[75:76], v[115:116]
	v_fma_f64 v[165:166], -v[137:138], v[75:76], v[165:166]
	v_fma_f64 v[167:168], v[135:136], v[75:76], v[167:168]
	;; [unrolled: 2-line block ×4, first 2 shown]
	v_sub_co_u32 v73, vcc_lo, v111, v79
	v_sub_co_ci_u32_e64 v74, null, v112, v80, vcc_lo
	s_clause 0x2
	global_load_dwordx4 v[119:122], v[113:114], off offset:64
	global_load_dwordx4 v[151:154], v[113:114], off offset:128
	;; [unrolled: 1-line block ×3, first 2 shown]
	v_lshlrev_b64 v[73:74], 6, v[73:74]
	global_load_dwordx4 v[65:68], v[113:114], off offset:208
	v_add_co_u32 v111, vcc_lo, s2, v73
	v_add_co_ci_u32_e64 v112, null, s3, v74, vcc_lo
	s_waitcnt vmcnt(4)
	v_fma_f64 v[163:164], v[69:70], v[155:156], v[163:164]
	v_fma_f64 v[115:116], v[71:72], v[155:156], v[115:116]
	;; [unrolled: 1-line block ×3, first 2 shown]
	global_load_dwordx4 v[73:76], v[111:112], off
	v_fma_f64 v[171:172], v[149:150], v[155:156], v[171:172]
	v_fma_f64 v[165:166], v[131:132], v[155:156], v[165:166]
	;; [unrolled: 1-line block ×5, first 2 shown]
	v_sub_co_u32 v117, vcc_lo, v117, v79
	v_sub_co_ci_u32_e64 v118, null, v118, v80, vcc_lo
	v_fma_f64 v[163:164], -v[71:72], v[157:158], v[163:164]
	v_fma_f64 v[115:116], v[69:70], v[157:158], v[115:116]
	global_load_dwordx4 v[69:72], v[111:112], off offset:16
	v_fma_f64 v[169:170], -v[149:150], v[157:158], v[169:170]
	v_fma_f64 v[171:172], v[147:148], v[157:158], v[171:172]
	global_load_dwordx4 v[147:150], v[111:112], off offset:32
	;; [unrolled: 3-line block ×3, first 2 shown]
	v_fma_f64 v[159:160], -v[59:60], v[157:158], v[159:160]
	v_fma_f64 v[161:162], v[57:58], v[157:158], v[155:156]
	s_clause 0x1
	global_load_dwordx4 v[57:60], v[113:114], off offset:112
	global_load_dwordx4 v[155:158], v[113:114], off offset:96
	s_waitcnt vmcnt(5)
	v_fma_f64 v[163:164], v[91:92], v[73:74], v[163:164]
	v_fma_f64 v[115:116], v[93:94], v[73:74], v[115:116]
	;; [unrolled: 1-line block ×3, first 2 shown]
	v_fma_f64 v[163:164], -v[93:94], v[75:76], v[163:164]
	v_fma_f64 v[115:116], v[91:92], v[75:76], v[115:116]
	global_load_dwordx4 v[91:94], v[111:112], off offset:48
	v_lshlrev_b64 v[111:112], 6, v[117:118]
	v_fma_f64 v[159:160], -v[31:32], v[75:76], v[159:160]
	v_add_co_u32 v117, vcc_lo, s2, v111
	v_add_co_ci_u32_e64 v118, null, s3, v112, vcc_lo
	v_fma_f64 v[111:112], v[49:50], v[73:74], v[165:166]
	v_fma_f64 v[165:166], v[51:52], v[73:74], v[167:168]
	;; [unrolled: 1-line block ×5, first 2 shown]
	v_add_co_u32 v105, vcc_lo, 0x80, v105
	v_add_co_ci_u32_e64 v106, null, 0, v106, vcc_lo
	s_waitcnt vmcnt(5)
	v_fma_f64 v[163:164], v[45:46], v[69:70], v[163:164]
	v_fma_f64 v[115:116], v[47:48], v[69:70], v[115:116]
	v_add_co_u32 v109, vcc_lo, 0x400, v109
	v_add_co_ci_u32_e64 v110, null, 0, v110, vcc_lo
	v_cmp_ge_i64_e32 vcc_lo, v[105:106], v[83:84]
	s_or_b32 s8, vcc_lo, s8
	v_fma_f64 v[111:112], -v[51:52], v[75:76], v[111:112]
	v_fma_f64 v[165:166], v[49:50], v[75:76], v[165:166]
	global_load_dwordx4 v[49:52], v[117:118], off
	v_fma_f64 v[167:168], -v[23:24], v[75:76], v[167:168]
	v_fma_f64 v[169:170], v[21:22], v[75:76], v[169:170]
	global_load_dwordx4 v[21:24], v[117:118], off offset:16
	v_fma_f64 v[161:162], v[29:30], v[75:76], v[73:74]
	s_clause 0x1
	global_load_dwordx4 v[29:32], v[113:114], off offset:160
	global_load_dwordx4 v[73:76], v[113:114], off offset:224
	v_fma_f64 v[163:164], -v[47:48], v[71:72], v[163:164]
	v_fma_f64 v[115:116], v[45:46], v[71:72], v[115:116]
	global_load_dwordx4 v[45:48], v[117:118], off offset:32
	v_fma_f64 v[111:112], v[37:38], v[69:70], v[111:112]
	v_fma_f64 v[165:166], v[39:40], v[69:70], v[165:166]
	;; [unrolled: 1-line block ×4, first 2 shown]
	v_fma_f64 v[171:172], -v[39:40], v[71:72], v[111:112]
	v_fma_f64 v[165:166], v[37:38], v[71:72], v[165:166]
	s_clause 0x1
	global_load_dwordx4 v[37:40], v[113:114], off offset:176
	global_load_dwordx4 v[111:114], v[113:114], off offset:240
	v_fma_f64 v[167:168], -v[15:16], v[71:72], v[167:168]
	v_fma_f64 v[169:170], v[13:14], v[71:72], v[169:170]
	global_load_dwordx4 v[13:16], v[117:118], off offset:48
	v_fma_f64 v[117:118], v[95:96], v[69:70], v[159:160]
	v_fma_f64 v[69:70], v[97:98], v[69:70], v[161:162]
	s_waitcnt vmcnt(12)
	v_fma_f64 v[159:160], v[9:10], v[147:148], v[167:168]
	v_fma_f64 v[161:162], v[11:12], v[147:148], v[169:170]
	v_fma_f64 v[97:98], -v[97:98], v[71:72], v[117:118]
	v_fma_f64 v[69:70], v[95:96], v[71:72], v[69:70]
	v_fma_f64 v[71:72], v[41:42], v[147:148], v[163:164]
	;; [unrolled: 1-line block ×5, first 2 shown]
	v_fma_f64 v[11:12], -v[11:12], v[149:150], v[159:160]
	v_fma_f64 v[9:10], v[9:10], v[149:150], v[161:162]
	v_fma_f64 v[97:98], v[143:144], v[147:148], v[97:98]
	;; [unrolled: 1-line block ×3, first 2 shown]
	v_fma_f64 v[43:44], -v[43:44], v[149:150], v[71:72]
	v_fma_f64 v[41:42], v[41:42], v[149:150], v[95:96]
	v_fma_f64 v[35:36], -v[35:36], v[149:150], v[115:116]
	v_fma_f64 v[33:34], v[33:34], v[149:150], v[117:118]
	v_fma_f64 v[71:72], -v[145:146], v[149:150], v[97:98]
	v_fma_f64 v[69:70], v[143:144], v[149:150], v[69:70]
	s_waitcnt vmcnt(8)
	v_fma_f64 v[43:44], v[25:26], v[91:92], v[43:44]
	v_fma_f64 v[41:42], v[27:28], v[91:92], v[41:42]
	v_fma_f64 v[35:36], v[17:18], v[91:92], v[35:36]
	v_fma_f64 v[33:34], v[19:20], v[91:92], v[33:34]
	v_fma_f64 v[11:12], v[53:54], v[91:92], v[11:12]
	v_fma_f64 v[9:10], v[55:56], v[91:92], v[9:10]
	v_fma_f64 v[71:72], v[123:124], v[91:92], v[71:72]
	v_fma_f64 v[69:70], v[125:126], v[91:92], v[69:70]
	v_fma_f64 v[27:28], -v[27:28], v[93:94], v[43:44]
	v_fma_f64 v[25:26], v[25:26], v[93:94], v[41:42]
	v_fma_f64 v[19:20], -v[19:20], v[93:94], v[35:36]
	v_fma_f64 v[17:18], v[17:18], v[93:94], v[33:34]
	v_fma_f64 v[11:12], -v[55:56], v[93:94], v[11:12]
	v_fma_f64 v[9:10], v[53:54], v[93:94], v[9:10]
	v_fma_f64 v[33:34], -v[125:126], v[93:94], v[71:72]
	v_fma_f64 v[35:36], v[123:124], v[93:94], v[69:70]
	s_waitcnt vmcnt(7)
	v_fma_f64 v[27:28], v[87:88], v[49:50], v[27:28]
	v_fma_f64 v[25:26], v[89:90], v[49:50], v[25:26]
	v_fma_f64 v[19:20], v[119:120], v[49:50], v[19:20]
	v_fma_f64 v[17:18], v[121:122], v[49:50], v[17:18]
	v_fma_f64 v[11:12], v[151:152], v[49:50], v[11:12]
	v_fma_f64 v[9:10], v[153:154], v[49:50], v[9:10]
	v_fma_f64 v[33:34], v[131:132], v[49:50], v[33:34]
	v_fma_f64 v[35:36], v[133:134], v[49:50], v[35:36]
	v_fma_f64 v[27:28], -v[89:90], v[51:52], v[27:28]
	v_fma_f64 v[25:26], v[87:88], v[51:52], v[25:26]
	;; [unrolled: 17-line block ×5, first 2 shown]
	v_fma_f64 v[101:102], -v[59:60], v[15:16], v[19:20]
	v_fma_f64 v[91:92], v[57:58], v[15:16], v[17:18]
	v_fma_f64 v[95:96], -v[39:40], v[15:16], v[11:12]
	v_fma_f64 v[93:94], v[37:38], v[15:16], v[9:10]
	;; [unrolled: 2-line block ×3, first 2 shown]
	s_andn2_b32 exec_lo, exec_lo, s8
	s_cbranch_execnz .LBB58_21
; %bb.22:
	s_or_b32 exec_lo, exec_lo, s8
.LBB58_23:
	s_or_b32 exec_lo, exec_lo, s7
.LBB58_24:
	s_or_b32 exec_lo, exec_lo, s6
	s_cbranch_execz .LBB58_26
	s_branch .LBB58_37
.LBB58_25:
                                        ; implicit-def: $vgpr97_vgpr98
                                        ; implicit-def: $vgpr99_vgpr100
                                        ; implicit-def: $vgpr87_vgpr88
                                        ; implicit-def: $vgpr89_vgpr90
                                        ; implicit-def: $vgpr95_vgpr96
                                        ; implicit-def: $vgpr93_vgpr94
                                        ; implicit-def: $vgpr101_vgpr102
                                        ; implicit-def: $vgpr91_vgpr92
.LBB58_26:
	v_mov_b32_e32 v97, 0
	v_mov_b32_e32 v99, 0
	;; [unrolled: 1-line block ×16, first 2 shown]
	s_and_saveexec_b32 s1, s0
	s_cbranch_execz .LBB58_36
; %bb.27:
	v_or_b32_e32 v9, 32, v0
	v_not_b32_e32 v13, v103
	v_sub_co_u32 v14, s0, v79, v0
	v_not_b32_e32 v11, v104
	v_sub_co_u32 v9, vcc_lo, v9, v79
	v_sub_co_ci_u32_e64 v10, null, 0, v80, vcc_lo
	v_subrev_co_ci_u32_e64 v15, null, 0, v80, s0
	v_add_co_u32 v9, vcc_lo, v9, v103
	v_add_co_ci_u32_e64 v10, null, v10, v104, vcc_lo
	v_add_co_u32 v13, s0, v14, v13
	v_add_co_ci_u32_e64 v11, null, v15, v11, s0
	v_cmp_gt_i64_e32 vcc_lo, v[9:10], v[83:84]
	v_mov_b32_e32 v91, 0
	v_mov_b32_e32 v101, 0
	;; [unrolled: 1-line block ×5, first 2 shown]
	v_cndmask_b32_e32 v9, v83, v9, vcc_lo
	v_cndmask_b32_e32 v10, v84, v10, vcc_lo
	v_mov_b32_e32 v87, 0
	v_mov_b32_e32 v99, 0
	v_mov_b32_e32 v97, 0
	v_add_co_u32 v9, vcc_lo, v13, v9
	v_mov_b32_e32 v12, 0
	v_mov_b32_e32 v92, 0
	;; [unrolled: 1-line block ×4, first 2 shown]
	v_add_co_ci_u32_e64 v10, null, v11, v10, vcc_lo
	v_and_b32_e32 v11, 0x60, v9
	v_mov_b32_e32 v96, 0
	v_mov_b32_e32 v90, 0
	;; [unrolled: 1-line block ×5, first 2 shown]
	s_mov_b32 s6, exec_lo
	v_cmpx_ne_u64_e32 0x60, v[11:12]
	s_cbranch_execz .LBB58_31
; %bb.28:
	v_lshrrev_b32_e32 v13, 5, v9
	v_lshlrev_b64 v[11:12], 3, v[81:82]
	v_mov_b32_e32 v97, 0
	v_mov_b32_e32 v99, 0
	;; [unrolled: 1-line block ×3, first 2 shown]
	v_add_nc_u32_e32 v13, 1, v13
	v_mov_b32_e32 v89, 0
	v_add_co_u32 v11, vcc_lo, s12, v11
	v_mov_b32_e32 v95, 0
	v_and_b32_e32 v13, 3, v13
	v_mov_b32_e32 v93, 0
	v_mov_b32_e32 v101, 0
	;; [unrolled: 1-line block ×4, first 2 shown]
	v_sub_co_u32 v13, s0, 0, v13
	v_mov_b32_e32 v100, 0
	v_mov_b32_e32 v88, 0
	v_add_co_ci_u32_e64 v12, null, s13, v12, vcc_lo
	v_mov_b32_e32 v90, 0
	v_mov_b32_e32 v96, 0
	;; [unrolled: 1-line block ×5, first 2 shown]
	v_sub_co_ci_u32_e64 v14, null, 0, 0, s0
	s_mov_b32 s7, 0
.LBB58_29:                              ; =>This Inner Loop Header: Depth=1
	global_load_dwordx2 v[31:32], v[11:12], off
	s_clause 0x3
	global_load_dwordx4 v[15:18], v[85:86], off offset:48
	global_load_dwordx4 v[19:22], v[85:86], off offset:32
	;; [unrolled: 1-line block ×3, first 2 shown]
	global_load_dwordx4 v[27:30], v[85:86], off
	v_add_co_u32 v11, s0, 0x100, v11
	v_add_co_ci_u32_e64 v12, null, 0, v12, s0
	s_waitcnt vmcnt(4)
	v_sub_co_u32 v31, vcc_lo, v31, v79
	v_sub_co_ci_u32_e64 v32, null, v32, v80, vcc_lo
	v_lshlrev_b64 v[31:32], 6, v[31:32]
	v_add_co_u32 v75, vcc_lo, s2, v31
	v_add_co_ci_u32_e64 v76, null, s3, v32, vcc_lo
	global_load_dwordx4 v[31:34], v[75:76], off
	s_clause 0x3
	global_load_dwordx4 v[35:38], v[85:86], off offset:112
	global_load_dwordx4 v[39:42], v[85:86], off offset:96
	;; [unrolled: 1-line block ×5, first 2 shown]
	s_clause 0x3
	global_load_dwordx4 v[55:58], v[85:86], off offset:176
	global_load_dwordx4 v[59:62], v[85:86], off offset:160
	;; [unrolled: 1-line block ×4, first 2 shown]
	s_clause 0x1
	global_load_dwordx4 v[71:74], v[75:76], off offset:32
	global_load_dwordx4 v[103:106], v[75:76], off offset:48
	s_clause 0x3
	global_load_dwordx4 v[107:110], v[85:86], off offset:192
	global_load_dwordx4 v[111:114], v[85:86], off offset:208
	;; [unrolled: 1-line block ×4, first 2 shown]
	v_add_co_u32 v85, vcc_lo, 0x2000, v85
	v_add_co_ci_u32_e64 v86, null, 0, v86, vcc_lo
	v_add_co_u32 v13, vcc_lo, v13, 1
	v_add_co_ci_u32_e64 v14, null, 0, v14, vcc_lo
	;; [unrolled: 2-line block ×3, first 2 shown]
	v_cmp_eq_u64_e32 vcc_lo, 0, v[13:14]
	s_or_b32 s7, vcc_lo, s7
	s_waitcnt vmcnt(15)
	v_fma_f64 v[75:76], v[27:28], v[31:32], v[99:100]
	v_fma_f64 v[97:98], v[29:30], v[31:32], v[97:98]
	v_fma_f64 v[99:100], v[23:24], v[31:32], v[101:102]
	v_fma_f64 v[91:92], v[25:26], v[31:32], v[91:92]
	v_fma_f64 v[95:96], v[19:20], v[31:32], v[95:96]
	v_fma_f64 v[93:94], v[21:22], v[31:32], v[93:94]
	v_fma_f64 v[87:88], v[15:16], v[31:32], v[87:88]
	v_fma_f64 v[31:32], v[17:18], v[31:32], v[89:90]
	v_fma_f64 v[29:30], -v[29:30], v[33:34], v[75:76]
	v_fma_f64 v[27:28], v[27:28], v[33:34], v[97:98]
	v_fma_f64 v[25:26], -v[25:26], v[33:34], v[99:100]
	v_fma_f64 v[23:24], v[23:24], v[33:34], v[91:92]
	v_fma_f64 v[21:22], -v[21:22], v[33:34], v[95:96]
	v_fma_f64 v[19:20], v[19:20], v[33:34], v[93:94]
	v_fma_f64 v[17:18], -v[17:18], v[33:34], v[87:88]
	v_fma_f64 v[15:16], v[15:16], v[33:34], v[31:32]
	s_waitcnt vmcnt(10)
	v_fma_f64 v[29:30], v[47:48], v[51:52], v[29:30]
	v_fma_f64 v[27:28], v[49:50], v[51:52], v[27:28]
	v_fma_f64 v[25:26], v[43:44], v[51:52], v[25:26]
	v_fma_f64 v[23:24], v[45:46], v[51:52], v[23:24]
	v_fma_f64 v[21:22], v[39:40], v[51:52], v[21:22]
	v_fma_f64 v[19:20], v[41:42], v[51:52], v[19:20]
	v_fma_f64 v[17:18], v[35:36], v[51:52], v[17:18]
	v_fma_f64 v[15:16], v[37:38], v[51:52], v[15:16]
	v_fma_f64 v[29:30], -v[49:50], v[53:54], v[29:30]
	v_fma_f64 v[27:28], v[47:48], v[53:54], v[27:28]
	v_fma_f64 v[25:26], -v[45:46], v[53:54], v[25:26]
	v_fma_f64 v[23:24], v[43:44], v[53:54], v[23:24]
	v_fma_f64 v[21:22], -v[41:42], v[53:54], v[21:22]
	v_fma_f64 v[19:20], v[39:40], v[53:54], v[19:20]
	v_fma_f64 v[17:18], -v[37:38], v[53:54], v[17:18]
	v_fma_f64 v[15:16], v[35:36], v[53:54], v[15:16]
	;; [unrolled: 17-line block ×3, first 2 shown]
	s_waitcnt vmcnt(3)
	v_fma_f64 v[29:30], v[107:108], v[103:104], v[29:30]
	v_fma_f64 v[27:28], v[109:110], v[103:104], v[27:28]
	s_waitcnt vmcnt(2)
	v_fma_f64 v[25:26], v[111:112], v[103:104], v[25:26]
	v_fma_f64 v[23:24], v[113:114], v[103:104], v[23:24]
	;; [unrolled: 3-line block ×4, first 2 shown]
	v_fma_f64 v[99:100], -v[109:110], v[105:106], v[29:30]
	v_fma_f64 v[97:98], v[107:108], v[105:106], v[27:28]
	v_fma_f64 v[101:102], -v[113:114], v[105:106], v[25:26]
	v_fma_f64 v[91:92], v[111:112], v[105:106], v[23:24]
	;; [unrolled: 2-line block ×4, first 2 shown]
	s_andn2_b32 exec_lo, exec_lo, s7
	s_cbranch_execnz .LBB58_29
; %bb.30:
	s_or_b32 exec_lo, exec_lo, s7
.LBB58_31:
	s_or_b32 exec_lo, exec_lo, s6
	s_mov_b32 s6, exec_lo
	v_cmpx_lt_u64_e32 0x5f, v[9:10]
	s_cbranch_execz .LBB58_35
; %bb.32:
	v_lshlrev_b64 v[9:10], 3, v[81:82]
	s_mov_b32 s7, 0
	v_add_co_u32 v9, vcc_lo, s12, v9
	v_add_co_ci_u32_e64 v10, null, s13, v10, vcc_lo
	v_add_co_u32 v73, vcc_lo, 0x200, v9
	v_add_co_ci_u32_e64 v74, null, 0, v10, vcc_lo
.LBB58_33:                              ; =>This Inner Loop Header: Depth=1
	global_load_dwordx2 v[103:104], v[73:74], off offset:-512
	s_clause 0xf
	global_load_dwordx4 v[9:12], v[85:86], off offset:48
	global_load_dwordx4 v[17:20], v[85:86], off offset:32
	;; [unrolled: 1-line block ×3, first 2 shown]
	global_load_dwordx4 v[49:52], v[85:86], off
	global_load_dwordx4 v[29:32], v[85:86], off offset:112
	global_load_dwordx4 v[45:48], v[85:86], off offset:96
	;; [unrolled: 1-line block ×12, first 2 shown]
	v_add_co_u32 v143, vcc_lo, 0x2000, v85
	v_add_co_ci_u32_e64 v144, null, 0, v86, vcc_lo
	v_add_co_u32 v145, vcc_lo, 0x4000, v85
	v_add_co_ci_u32_e64 v146, null, 0, v86, vcc_lo
	;; [unrolled: 2-line block ×3, first 2 shown]
	s_clause 0x2
	global_load_dwordx2 v[147:148], v[73:74], off offset:-256
	global_load_dwordx2 v[105:106], v[73:74], off
	global_load_dwordx2 v[149:150], v[73:74], off offset:256
	s_clause 0x6
	global_load_dwordx4 v[107:110], v[143:144], off offset:48
	global_load_dwordx4 v[111:114], v[143:144], off offset:32
	global_load_dwordx4 v[115:118], v[143:144], off
	global_load_dwordx4 v[119:122], v[143:144], off offset:16
	global_load_dwordx4 v[123:126], v[143:144], off offset:112
	;; [unrolled: 1-line block ×4, first 2 shown]
	v_add_co_u32 v85, s0, 0x8000, v85
	v_add_co_ci_u32_e64 v86, null, 0, v86, s0
	s_waitcnt vmcnt(26)
	v_sub_co_u32 v103, vcc_lo, v103, v79
	v_sub_co_ci_u32_e64 v104, null, v104, v80, vcc_lo
	v_lshlrev_b64 v[103:104], 6, v[103:104]
	v_add_co_u32 v103, vcc_lo, s2, v103
	v_add_co_ci_u32_e64 v104, null, s3, v104, vcc_lo
	s_clause 0x1
	global_load_dwordx4 v[135:138], v[103:104], off
	global_load_dwordx4 v[139:142], v[103:104], off offset:16
	s_waitcnt vmcnt(1)
	v_fma_f64 v[91:92], v[35:36], v[135:136], v[91:92]
	v_fma_f64 v[97:98], v[51:52], v[135:136], v[97:98]
	;; [unrolled: 1-line block ×10, first 2 shown]
	v_fma_f64 v[95:96], -v[19:20], v[137:138], v[95:96]
	v_fma_f64 v[93:94], v[17:18], v[137:138], v[93:94]
	v_fma_f64 v[99:100], -v[51:52], v[137:138], v[99:100]
	v_fma_f64 v[101:102], -v[35:36], v[137:138], v[101:102]
	v_fma_f64 v[135:136], -v[11:12], v[137:138], v[87:88]
	v_fma_f64 v[137:138], v[9:10], v[137:138], v[89:90]
	s_clause 0x4
	global_load_dwordx4 v[49:52], v[143:144], off offset:64
	global_load_dwordx4 v[17:20], v[143:144], off offset:160
	;; [unrolled: 1-line block ×5, first 2 shown]
	s_waitcnt vmcnt(5)
	v_fma_f64 v[91:92], v[59:60], v[139:140], v[91:92]
	v_fma_f64 v[97:98], v[67:68], v[139:140], v[97:98]
	v_fma_f64 v[93:94], v[47:48], v[139:140], v[93:94]
	v_fma_f64 v[99:100], v[65:66], v[139:140], v[99:100]
	v_fma_f64 v[153:154], v[57:58], v[141:142], v[91:92]
	v_fma_f64 v[91:92], v[45:46], v[139:140], v[95:96]
	v_fma_f64 v[151:152], v[65:66], v[141:142], v[97:98]
	v_fma_f64 v[97:98], v[57:58], v[139:140], v[101:102]
	v_fma_f64 v[157:158], v[45:46], v[141:142], v[93:94]
	v_fma_f64 v[93:94], v[31:32], v[139:140], v[137:138]
	v_fma_f64 v[99:100], -v[67:68], v[141:142], v[99:100]
	global_load_dwordx4 v[65:68], v[143:144], off offset:240
	v_fma_f64 v[155:156], -v[47:48], v[141:142], v[91:92]
	v_fma_f64 v[91:92], v[29:30], v[139:140], v[135:136]
	v_fma_f64 v[101:102], -v[59:60], v[141:142], v[97:98]
	s_clause 0x1
	global_load_dwordx4 v[57:60], v[143:144], off offset:224
	global_load_dwordx4 v[45:48], v[143:144], off offset:208
	v_fma_f64 v[137:138], v[29:30], v[141:142], v[93:94]
	v_fma_f64 v[135:136], -v[31:32], v[141:142], v[91:92]
	global_load_dwordx4 v[29:32], v[143:144], off offset:192
	s_clause 0x1
	global_load_dwordx4 v[91:94], v[103:104], off offset:32
	global_load_dwordx4 v[95:98], v[103:104], off offset:48
	s_waitcnt vmcnt(1)
	v_fma_f64 v[101:102], v[61:62], v[91:92], v[101:102]
	v_fma_f64 v[141:142], v[41:42], v[91:92], v[155:156]
	;; [unrolled: 1-line block ×8, first 2 shown]
	v_fma_f64 v[101:102], -v[63:64], v[93:94], v[101:102]
	v_fma_f64 v[141:142], -v[43:44], v[93:94], v[141:142]
	;; [unrolled: 1-line block ×3, first 2 shown]
	v_fma_f64 v[103:104], v[69:70], v[93:94], v[103:104]
	v_fma_f64 v[139:140], v[61:62], v[93:94], v[139:140]
	;; [unrolled: 1-line block ×3, first 2 shown]
	v_fma_f64 v[135:136], -v[27:28], v[93:94], v[135:136]
	v_fma_f64 v[137:138], v[25:26], v[93:94], v[91:92]
	v_sub_co_u32 v91, vcc_lo, v147, v79
	v_sub_co_ci_u32_e64 v92, null, v148, v80, vcc_lo
	s_clause 0x3
	global_load_dwordx4 v[69:72], v[145:146], off
	global_load_dwordx4 v[25:28], v[145:146], off offset:16
	global_load_dwordx4 v[61:64], v[145:146], off offset:48
	;; [unrolled: 1-line block ×3, first 2 shown]
	v_lshlrev_b64 v[91:92], 6, v[91:92]
	v_add_co_u32 v147, vcc_lo, s2, v91
	s_waitcnt vmcnt(4)
	v_fma_f64 v[101:102], v[37:38], v[95:96], v[101:102]
	v_fma_f64 v[99:100], v[53:54], v[95:96], v[99:100]
	;; [unrolled: 1-line block ×4, first 2 shown]
	v_add_co_ci_u32_e64 v148, null, s3, v92, vcc_lo
	global_load_dwordx4 v[91:94], v[145:146], off offset:112
	v_fma_f64 v[151:152], -v[39:40], v[97:98], v[101:102]
	v_fma_f64 v[101:102], v[21:22], v[95:96], v[141:142]
	v_fma_f64 v[141:142], v[23:24], v[95:96], v[143:144]
	v_fma_f64 v[99:100], -v[55:56], v[97:98], v[99:100]
	v_fma_f64 v[103:104], v[53:54], v[97:98], v[103:104]
	global_load_dwordx4 v[53:56], v[145:146], off offset:96
	v_fma_f64 v[139:140], v[37:38], v[97:98], v[139:140]
	global_load_dwordx4 v[37:40], v[145:146], off offset:80
	v_fma_f64 v[143:144], -v[23:24], v[97:98], v[101:102]
	v_fma_f64 v[101:102], v[13:14], v[95:96], v[135:136]
	v_fma_f64 v[95:96], v[15:16], v[95:96], v[137:138]
	;; [unrolled: 1-line block ×3, first 2 shown]
	global_load_dwordx4 v[21:24], v[145:146], off offset:64
	v_fma_f64 v[135:136], -v[15:16], v[97:98], v[101:102]
	v_fma_f64 v[137:138], v[13:14], v[97:98], v[95:96]
	s_clause 0x1
	global_load_dwordx4 v[13:16], v[147:148], off
	global_load_dwordx4 v[95:98], v[147:148], off offset:16
	s_waitcnt vmcnt(1)
	v_fma_f64 v[99:100], v[115:116], v[13:14], v[99:100]
	v_fma_f64 v[101:102], v[117:118], v[13:14], v[103:104]
	;; [unrolled: 1-line block ×4, first 2 shown]
	v_fma_f64 v[103:104], -v[117:118], v[15:16], v[99:100]
	v_fma_f64 v[117:118], v[121:122], v[13:14], v[139:140]
	v_fma_f64 v[153:154], v[115:116], v[15:16], v[101:102]
	;; [unrolled: 1-line block ×6, first 2 shown]
	v_fma_f64 v[135:136], -v[109:110], v[15:16], v[135:136]
	global_load_dwordx4 v[99:102], v[145:146], off offset:176
	s_waitcnt vmcnt(1)
	v_fma_f64 v[103:104], v[49:50], v[95:96], v[103:104]
	v_fma_f64 v[119:120], v[119:120], v[15:16], v[117:118]
	;; [unrolled: 1-line block ×3, first 2 shown]
	v_fma_f64 v[121:122], -v[121:122], v[15:16], v[115:116]
	v_fma_f64 v[139:140], -v[113:114], v[15:16], v[139:140]
	v_fma_f64 v[137:138], v[107:108], v[15:16], v[13:14]
	s_clause 0x3
	global_load_dwordx4 v[115:118], v[145:146], off offset:160
	global_load_dwordx4 v[111:114], v[145:146], off offset:144
	;; [unrolled: 1-line block ×4, first 2 shown]
	v_fma_f64 v[103:104], -v[51:52], v[97:98], v[103:104]
	v_fma_f64 v[119:120], v[133:134], v[95:96], v[119:120]
	v_fma_f64 v[143:144], v[49:50], v[97:98], v[143:144]
	;; [unrolled: 1-line block ×3, first 2 shown]
	global_load_dwordx4 v[49:52], v[145:146], off offset:224
	v_fma_f64 v[153:154], v[131:132], v[97:98], v[119:120]
	v_fma_f64 v[131:132], v[127:128], v[95:96], v[139:140]
	v_fma_f64 v[151:152], -v[133:134], v[97:98], v[121:122]
	v_fma_f64 v[133:134], v[129:130], v[95:96], v[141:142]
	global_load_dwordx4 v[119:122], v[145:146], off offset:208
	v_fma_f64 v[139:140], -v[129:130], v[97:98], v[131:132]
	v_fma_f64 v[131:132], v[123:124], v[95:96], v[135:136]
	v_fma_f64 v[95:96], v[125:126], v[95:96], v[137:138]
	;; [unrolled: 1-line block ×3, first 2 shown]
	global_load_dwordx4 v[127:130], v[145:146], off offset:192
	v_fma_f64 v[135:136], -v[125:126], v[97:98], v[131:132]
	v_fma_f64 v[137:138], v[123:124], v[97:98], v[95:96]
	global_load_dwordx4 v[95:98], v[75:76], off
	s_clause 0x1
	global_load_dwordx4 v[123:126], v[147:148], off offset:32
	global_load_dwordx4 v[131:134], v[147:148], off offset:48
	s_waitcnt vmcnt(1)
	v_fma_f64 v[103:104], v[87:88], v[123:124], v[103:104]
	v_fma_f64 v[143:144], v[89:90], v[123:124], v[143:144]
	;; [unrolled: 1-line block ×3, first 2 shown]
	v_fma_f64 v[145:146], -v[89:90], v[125:126], v[103:104]
	v_fma_f64 v[103:104], v[9:10], v[123:124], v[151:152]
	v_fma_f64 v[143:144], v[87:88], v[125:126], v[143:144]
	;; [unrolled: 1-line block ×3, first 2 shown]
	global_load_dwordx4 v[87:90], v[75:76], off offset:48
	v_fma_f64 v[151:152], -v[11:12], v[125:126], v[103:104]
	v_fma_f64 v[103:104], v[17:18], v[123:124], v[139:140]
	v_fma_f64 v[139:140], v[19:20], v[123:124], v[141:142]
	s_waitcnt vmcnt(1)
	v_fma_f64 v[143:144], v[31:32], v[131:132], v[143:144]
	v_fma_f64 v[147:148], v[47:48], v[131:132], v[147:148]
	global_load_dwordx4 v[9:12], v[75:76], off offset:32
	v_fma_f64 v[141:142], -v[19:20], v[125:126], v[103:104]
	v_fma_f64 v[103:104], v[33:34], v[123:124], v[135:136]
	v_fma_f64 v[123:124], v[35:36], v[123:124], v[137:138]
	;; [unrolled: 1-line block ×3, first 2 shown]
	global_load_dwordx4 v[17:20], v[75:76], off offset:16
	v_fma_f64 v[143:144], v[29:30], v[133:134], v[143:144]
	v_fma_f64 v[147:148], v[45:46], v[133:134], v[147:148]
	v_fma_f64 v[135:136], -v[35:36], v[125:126], v[103:104]
	v_fma_f64 v[123:124], v[33:34], v[125:126], v[123:124]
	v_fma_f64 v[125:126], v[29:30], v[131:132], v[145:146]
	;; [unrolled: 1-line block ×3, first 2 shown]
	v_sub_co_u32 v103, vcc_lo, v105, v79
	v_sub_co_ci_u32_e64 v104, null, v106, v80, vcc_lo
	v_sub_co_u32 v105, vcc_lo, v149, v79
	v_sub_co_ci_u32_e64 v106, null, v150, v80, vcc_lo
	v_lshlrev_b64 v[103:104], 6, v[103:104]
	global_load_dwordx4 v[33:36], v[75:76], off offset:112
	v_lshlrev_b64 v[105:106], 6, v[105:106]
	v_add_co_u32 v137, vcc_lo, s2, v103
	v_add_co_ci_u32_e64 v138, null, s3, v104, vcc_lo
	v_add_co_u32 v149, vcc_lo, s2, v105
	v_fma_f64 v[145:146], -v[31:32], v[133:134], v[125:126]
	v_fma_f64 v[125:126], v[45:46], v[131:132], v[151:152]
	v_fma_f64 v[123:124], v[67:68], v[131:132], v[123:124]
	v_add_co_ci_u32_e64 v150, null, s3, v106, vcc_lo
	s_clause 0x1
	global_load_dwordx4 v[103:106], v[75:76], off offset:96
	global_load_dwordx4 v[29:32], v[75:76], off offset:80
	v_fma_f64 v[139:140], v[57:58], v[133:134], v[139:140]
	v_add_co_u32 v81, vcc_lo, 0x80, v81
	v_add_co_ci_u32_e64 v82, null, 0, v82, vcc_lo
	v_add_co_u32 v73, vcc_lo, 0x400, v73
	v_add_co_ci_u32_e64 v74, null, 0, v74, vcc_lo
	v_cmp_ge_i64_e32 vcc_lo, v[81:82], v[83:84]
	s_or_b32 s7, vcc_lo, s7
	v_fma_f64 v[151:152], -v[47:48], v[133:134], v[125:126]
	v_fma_f64 v[125:126], v[57:58], v[131:132], v[141:142]
	global_load_dwordx4 v[45:48], v[75:76], off offset:64
	v_fma_f64 v[141:142], -v[59:60], v[133:134], v[125:126]
	v_fma_f64 v[125:126], v[65:66], v[131:132], v[135:136]
	global_load_dwordx4 v[57:60], v[75:76], off offset:176
	v_fma_f64 v[131:132], -v[67:68], v[133:134], v[125:126]
	v_fma_f64 v[133:134], v[65:66], v[133:134], v[123:124]
	s_clause 0x1
	global_load_dwordx4 v[65:68], v[137:138], off
	global_load_dwordx4 v[123:126], v[137:138], off offset:16
	s_waitcnt vmcnt(1)
	v_fma_f64 v[135:136], v[69:70], v[65:66], v[145:146]
	v_fma_f64 v[143:144], v[71:72], v[65:66], v[143:144]
	;; [unrolled: 1-line block ×8, first 2 shown]
	v_fma_f64 v[135:136], -v[71:72], v[67:68], v[135:136]
	v_fma_f64 v[143:144], v[69:70], v[67:68], v[143:144]
	global_load_dwordx4 v[69:72], v[137:138], off offset:32
	v_fma_f64 v[141:142], -v[43:44], v[67:68], v[141:142]
	v_fma_f64 v[139:140], v[41:42], v[67:68], v[139:140]
	global_load_dwordx4 v[41:44], v[137:138], off offset:48
	;; [unrolled: 3-line block ×3, first 2 shown]
	v_fma_f64 v[131:132], -v[63:64], v[67:68], v[131:132]
	v_fma_f64 v[133:134], v[61:62], v[67:68], v[65:66]
	s_clause 0x1
	global_load_dwordx4 v[61:64], v[149:150], off offset:16
	global_load_dwordx4 v[65:68], v[149:150], off
	s_waitcnt vmcnt(5)
	v_fma_f64 v[135:136], v[21:22], v[123:124], v[135:136]
	v_fma_f64 v[137:138], v[23:24], v[123:124], v[143:144]
	;; [unrolled: 1-line block ×8, first 2 shown]
	v_fma_f64 v[135:136], -v[23:24], v[125:126], v[135:136]
	v_fma_f64 v[137:138], v[21:22], v[125:126], v[137:138]
	global_load_dwordx4 v[21:24], v[75:76], off offset:144
	v_fma_f64 v[141:142], -v[55:56], v[125:126], v[141:142]
	v_fma_f64 v[139:140], v[53:54], v[125:126], v[139:140]
	global_load_dwordx4 v[53:56], v[75:76], off offset:208
	;; [unrolled: 3-line block ×4, first 2 shown]
	s_clause 0x1
	global_load_dwordx4 v[123:126], v[149:150], off offset:48
	global_load_dwordx4 v[131:134], v[149:150], off offset:32
	s_waitcnt vmcnt(10)
	v_fma_f64 v[135:136], v[13:14], v[69:70], v[135:136]
	v_fma_f64 v[137:138], v[15:16], v[69:70], v[137:138]
	;; [unrolled: 1-line block ×5, first 2 shown]
	v_fma_f64 v[135:136], -v[15:16], v[71:72], v[135:136]
	v_fma_f64 v[137:138], v[13:14], v[71:72], v[137:138]
	global_load_dwordx4 v[13:16], v[75:76], off offset:224
	v_fma_f64 v[143:144], -v[113:114], v[71:72], v[143:144]
	v_fma_f64 v[145:146], v[111:112], v[71:72], v[145:146]
	global_load_dwordx4 v[111:114], v[75:76], off offset:240
	v_fma_f64 v[75:76], v[115:116], v[69:70], v[141:142]
	v_fma_f64 v[141:142], v[99:100], v[69:70], v[147:148]
	;; [unrolled: 1-line block ×4, first 2 shown]
	v_fma_f64 v[75:76], -v[117:118], v[71:72], v[75:76]
	v_fma_f64 v[101:102], -v[101:102], v[71:72], v[141:142]
	v_fma_f64 v[69:70], v[99:100], v[71:72], v[69:70]
	s_waitcnt vmcnt(11)
	v_fma_f64 v[71:72], v[127:128], v[41:42], v[135:136]
	v_fma_f64 v[99:100], v[129:130], v[41:42], v[137:138]
	;; [unrolled: 1-line block ×8, first 2 shown]
	v_fma_f64 v[69:70], -v[129:130], v[43:44], v[71:72]
	v_fma_f64 v[71:72], v[127:128], v[43:44], v[99:100]
	v_fma_f64 v[99:100], -v[121:122], v[43:44], v[117:118]
	v_fma_f64 v[117:118], v[119:120], v[43:44], v[135:136]
	v_fma_f64 v[49:50], v[49:50], v[43:44], v[115:116]
	v_fma_f64 v[51:52], -v[51:52], v[43:44], v[75:76]
	v_fma_f64 v[75:76], -v[109:110], v[43:44], v[101:102]
	v_fma_f64 v[41:42], v[107:108], v[43:44], v[41:42]
	s_waitcnt vmcnt(8)
	v_fma_f64 v[43:44], v[95:96], v[65:66], v[69:70]
	v_fma_f64 v[69:70], v[97:98], v[65:66], v[71:72]
	;; [unrolled: 1-line block ×8, first 2 shown]
	v_fma_f64 v[43:44], -v[97:98], v[67:68], v[43:44]
	v_fma_f64 v[65:66], v[95:96], v[67:68], v[69:70]
	v_fma_f64 v[19:20], -v[19:20], v[67:68], v[71:72]
	v_fma_f64 v[17:18], v[17:18], v[67:68], v[99:100]
	v_fma_f64 v[9:10], v[9:10], v[67:68], v[49:50]
	v_fma_f64 v[11:12], -v[11:12], v[67:68], v[51:52]
	v_fma_f64 v[49:50], -v[89:90], v[67:68], v[75:76]
	v_fma_f64 v[41:42], v[87:88], v[67:68], v[41:42]
	v_fma_f64 v[43:44], v[45:46], v[61:62], v[43:44]
	v_fma_f64 v[51:52], v[47:48], v[61:62], v[65:66]
	v_fma_f64 v[19:20], v[29:30], v[61:62], v[19:20]
	v_fma_f64 v[17:18], v[31:32], v[61:62], v[17:18]
	v_fma_f64 v[9:10], v[105:106], v[61:62], v[9:10]
	v_fma_f64 v[11:12], v[103:104], v[61:62], v[11:12]
	v_fma_f64 v[49:50], v[33:34], v[61:62], v[49:50]
	v_fma_f64 v[41:42], v[35:36], v[61:62], v[41:42]
	v_fma_f64 v[43:44], -v[47:48], v[63:64], v[43:44]
	v_fma_f64 v[45:46], v[45:46], v[63:64], v[51:52]
	v_fma_f64 v[19:20], -v[31:32], v[63:64], v[19:20]
	v_fma_f64 v[17:18], v[29:30], v[63:64], v[17:18]
	v_fma_f64 v[9:10], v[103:104], v[63:64], v[9:10]
	v_fma_f64 v[11:12], -v[105:106], v[63:64], v[11:12]
	v_fma_f64 v[29:30], -v[35:36], v[63:64], v[49:50]
	v_fma_f64 v[31:32], v[33:34], v[63:64], v[41:42]
	s_waitcnt vmcnt(2)
	v_fma_f64 v[33:34], v[37:38], v[131:132], v[43:44]
	v_fma_f64 v[35:36], v[39:40], v[131:132], v[45:46]
	;; [unrolled: 1-line block ×8, first 2 shown]
	v_fma_f64 v[33:34], -v[39:40], v[133:134], v[33:34]
	v_fma_f64 v[35:36], v[37:38], v[133:134], v[35:36]
	v_fma_f64 v[19:20], -v[23:24], v[133:134], v[19:20]
	v_fma_f64 v[17:18], v[21:22], v[133:134], v[17:18]
	v_fma_f64 v[9:10], v[25:26], v[133:134], v[9:10]
	v_fma_f64 v[11:12], -v[27:28], v[133:134], v[11:12]
	v_fma_f64 v[21:22], -v[59:60], v[133:134], v[29:30]
	v_fma_f64 v[23:24], v[57:58], v[133:134], v[31:32]
	v_fma_f64 v[25:26], v[91:92], v[123:124], v[33:34]
	;; [unrolled: 1-line block ×5, first 2 shown]
	v_fma_f64 v[99:100], -v[93:94], v[125:126], v[25:26]
	v_fma_f64 v[97:98], v[91:92], v[125:126], v[27:28]
	v_fma_f64 v[101:102], -v[55:56], v[125:126], v[19:20]
	v_fma_f64 v[91:92], v[53:54], v[125:126], v[17:18]
	s_waitcnt vmcnt(1)
	v_fma_f64 v[11:12], v[13:14], v[123:124], v[11:12]
	v_fma_f64 v[9:10], v[15:16], v[123:124], v[9:10]
	s_waitcnt vmcnt(0)
	v_fma_f64 v[21:22], v[111:112], v[123:124], v[21:22]
	v_fma_f64 v[23:24], v[113:114], v[123:124], v[23:24]
	v_fma_f64 v[95:96], -v[15:16], v[125:126], v[11:12]
	v_fma_f64 v[93:94], v[13:14], v[125:126], v[9:10]
	v_fma_f64 v[87:88], -v[113:114], v[125:126], v[21:22]
	v_fma_f64 v[89:90], v[111:112], v[125:126], v[23:24]
	s_andn2_b32 exec_lo, exec_lo, s7
	s_cbranch_execnz .LBB58_33
; %bb.34:
	s_or_b32 exec_lo, exec_lo, s7
.LBB58_35:
	s_or_b32 exec_lo, exec_lo, s6
.LBB58_36:
	s_or_b32 exec_lo, exec_lo, s1
.LBB58_37:
	v_mbcnt_lo_u32_b32 v41, -1, 0
	v_xor_b32_e32 v9, 16, v41
	v_xor_b32_e32 v25, 8, v41
	v_cmp_gt_i32_e32 vcc_lo, 32, v9
	v_cndmask_b32_e32 v9, v41, v9, vcc_lo
	v_cmp_gt_i32_e32 vcc_lo, 32, v25
	v_lshlrev_b32_e32 v24, 2, v9
	v_cndmask_b32_e32 v25, v41, v25, vcc_lo
	ds_bpermute_b32 v9, v24, v99
	ds_bpermute_b32 v10, v24, v100
	;; [unrolled: 1-line block ×16, first 2 shown]
	v_lshlrev_b32_e32 v40, 2, v25
	s_waitcnt lgkmcnt(14)
	v_add_f64 v[9:10], v[99:100], v[9:10]
	s_waitcnt lgkmcnt(12)
	v_add_f64 v[11:12], v[97:98], v[11:12]
	;; [unrolled: 2-line block ×8, first 2 shown]
	ds_bpermute_b32 v25, v40, v9
	ds_bpermute_b32 v26, v40, v10
	;; [unrolled: 1-line block ×16, first 2 shown]
	s_waitcnt lgkmcnt(14)
	v_add_f64 v[9:10], v[9:10], v[25:26]
	v_xor_b32_e32 v25, 4, v41
	s_waitcnt lgkmcnt(12)
	v_add_f64 v[11:12], v[11:12], v[27:28]
	s_waitcnt lgkmcnt(10)
	v_add_f64 v[13:14], v[13:14], v[29:30]
	v_cmp_gt_i32_e32 vcc_lo, 32, v25
	s_waitcnt lgkmcnt(8)
	v_add_f64 v[15:16], v[15:16], v[31:32]
	s_waitcnt lgkmcnt(6)
	v_add_f64 v[17:18], v[17:18], v[33:34]
	;; [unrolled: 2-line block ×3, first 2 shown]
	v_cndmask_b32_e32 v25, v41, v25, vcc_lo
	s_waitcnt lgkmcnt(2)
	v_add_f64 v[21:22], v[21:22], v[37:38]
	s_waitcnt lgkmcnt(0)
	v_add_f64 v[23:24], v[23:24], v[39:40]
	v_lshlrev_b32_e32 v40, 2, v25
	ds_bpermute_b32 v25, v40, v9
	ds_bpermute_b32 v26, v40, v10
	;; [unrolled: 1-line block ×16, first 2 shown]
	s_waitcnt lgkmcnt(14)
	v_add_f64 v[9:10], v[9:10], v[25:26]
	v_xor_b32_e32 v25, 2, v41
	s_waitcnt lgkmcnt(12)
	v_add_f64 v[11:12], v[11:12], v[27:28]
	s_waitcnt lgkmcnt(10)
	v_add_f64 v[13:14], v[13:14], v[29:30]
	v_cmp_gt_i32_e32 vcc_lo, 32, v25
	s_waitcnt lgkmcnt(8)
	v_add_f64 v[15:16], v[15:16], v[31:32]
	s_waitcnt lgkmcnt(6)
	v_add_f64 v[17:18], v[17:18], v[33:34]
	;; [unrolled: 2-line block ×3, first 2 shown]
	v_cndmask_b32_e32 v27, v41, v25, vcc_lo
	s_waitcnt lgkmcnt(2)
	v_add_f64 v[21:22], v[21:22], v[37:38]
	s_waitcnt lgkmcnt(0)
	v_add_f64 v[25:26], v[23:24], v[39:40]
	v_lshlrev_b32_e32 v40, 2, v27
	ds_bpermute_b32 v23, v40, v9
	ds_bpermute_b32 v24, v40, v10
	;; [unrolled: 1-line block ×16, first 2 shown]
	s_waitcnt lgkmcnt(14)
	v_add_f64 v[9:10], v[9:10], v[23:24]
	s_waitcnt lgkmcnt(12)
	v_add_f64 v[27:28], v[11:12], v[27:28]
	;; [unrolled: 2-line block ×3, first 2 shown]
	v_xor_b32_e32 v29, 1, v41
	s_waitcnt lgkmcnt(8)
	v_add_f64 v[23:24], v[15:16], v[31:32]
	s_waitcnt lgkmcnt(6)
	v_add_f64 v[13:14], v[17:18], v[33:34]
	v_cmp_gt_i32_e32 vcc_lo, 32, v29
	s_waitcnt lgkmcnt(4)
	v_add_f64 v[17:18], v[19:20], v[35:36]
	s_waitcnt lgkmcnt(2)
	v_add_f64 v[15:16], v[21:22], v[37:38]
	;; [unrolled: 2-line block ×3, first 2 shown]
	v_cndmask_b32_e32 v29, v41, v29, vcc_lo
	v_cmp_eq_u32_e32 vcc_lo, 31, v0
	v_lshlrev_b32_e32 v34, 2, v29
	ds_bpermute_b32 v21, v34, v9
	ds_bpermute_b32 v22, v34, v10
	;; [unrolled: 1-line block ×16, first 2 shown]
	s_and_b32 exec_lo, exec_lo, vcc_lo
	s_cbranch_execz .LBB58_8
; %bb.38:
	s_waitcnt lgkmcnt(12)
	v_add_f64 v[27:28], v[27:28], v[39:40]
	s_waitcnt lgkmcnt(8)
	v_add_f64 v[23:24], v[23:24], v[37:38]
	;; [unrolled: 2-line block ×4, first 2 shown]
	v_add_f64 v[9:10], v[9:10], v[21:22]
	v_add_f64 v[11:12], v[11:12], v[25:26]
	;; [unrolled: 1-line block ×4, first 2 shown]
	v_cmp_eq_f64_e32 vcc_lo, 0, v[1:2]
	v_cmp_eq_f64_e64 s0, 0, v[3:4]
	s_load_dwordx2 s[2:3], s[4:5], 0x68
	v_mul_f64 v[13:14], v[27:28], -v[7:8]
	v_mul_f64 v[15:16], v[5:6], v[27:28]
	v_mul_f64 v[27:28], v[23:24], -v[7:8]
	v_mul_f64 v[23:24], v[5:6], v[23:24]
	;; [unrolled: 2-line block ×4, first 2 shown]
	s_and_b32 s0, vcc_lo, s0
	v_fma_f64 v[17:18], v[5:6], v[9:10], v[13:14]
	v_fma_f64 v[19:20], v[7:8], v[9:10], v[15:16]
	v_fma_f64 v[13:14], v[5:6], v[11:12], v[27:28]
	v_fma_f64 v[15:16], v[7:8], v[11:12], v[23:24]
	v_fma_f64 v[9:10], v[5:6], v[21:22], v[29:30]
	v_fma_f64 v[11:12], v[7:8], v[21:22], v[31:32]
	v_fma_f64 v[5:6], v[5:6], v[25:26], v[33:34]
	v_fma_f64 v[7:8], v[7:8], v[25:26], v[35:36]
	v_lshlrev_b64 v[21:22], 6, v[77:78]
	s_and_saveexec_b32 s1, s0
	s_xor_b32 s0, exec_lo, s1
	s_cbranch_execz .LBB58_40
; %bb.39:
	s_waitcnt lgkmcnt(0)
	v_add_co_u32 v0, vcc_lo, s2, v21
	v_add_co_ci_u32_e64 v1, null, s3, v22, vcc_lo
                                        ; implicit-def: $vgpr21_vgpr22
	global_store_dwordx4 v[0:1], v[17:20], off
	global_store_dwordx4 v[0:1], v[13:16], off offset:16
	global_store_dwordx4 v[0:1], v[9:12], off offset:32
	;; [unrolled: 1-line block ×3, first 2 shown]
                                        ; implicit-def: $vgpr3_vgpr4
                                        ; implicit-def: $vgpr17_vgpr18
                                        ; implicit-def: $vgpr13_vgpr14
                                        ; implicit-def: $vgpr9_vgpr10
                                        ; implicit-def: $vgpr5_vgpr6
.LBB58_40:
	s_andn2_saveexec_b32 s0, s0
	s_cbranch_execz .LBB58_8
; %bb.41:
	s_waitcnt lgkmcnt(0)
	v_add_co_u32 v37, vcc_lo, s2, v21
	v_add_co_ci_u32_e64 v38, null, s3, v22, vcc_lo
	s_clause 0x3
	global_load_dwordx4 v[21:24], v[37:38], off
	global_load_dwordx4 v[25:28], v[37:38], off offset:16
	global_load_dwordx4 v[29:32], v[37:38], off offset:32
	;; [unrolled: 1-line block ×3, first 2 shown]
	s_waitcnt vmcnt(3)
	v_fma_f64 v[17:18], v[1:2], v[21:22], v[17:18]
	v_fma_f64 v[19:20], v[3:4], v[21:22], v[19:20]
	s_waitcnt vmcnt(2)
	v_fma_f64 v[13:14], v[1:2], v[25:26], v[13:14]
	v_fma_f64 v[15:16], v[3:4], v[25:26], v[15:16]
	;; [unrolled: 3-line block ×4, first 2 shown]
	v_fma_f64 v[5:6], -v[3:4], v[23:24], v[17:18]
	v_fma_f64 v[7:8], v[1:2], v[23:24], v[19:20]
	v_fma_f64 v[9:10], -v[3:4], v[27:28], v[13:14]
	v_fma_f64 v[11:12], v[1:2], v[27:28], v[15:16]
	;; [unrolled: 2-line block ×4, first 2 shown]
	global_store_dwordx4 v[37:38], v[5:8], off
	global_store_dwordx4 v[37:38], v[9:12], off offset:16
	global_store_dwordx4 v[37:38], v[13:16], off offset:32
	;; [unrolled: 1-line block ×3, first 2 shown]
	s_endpgm
	.section	.rodata,"a",@progbits
	.p2align	6, 0x0
	.amdhsa_kernel _ZN9rocsparseL18bsrxmvn_4x4_kernelILj128ELj32E21rocsparse_complex_numIdEllS2_S2_S2_EEvT3_20rocsparse_direction_NS_24const_host_device_scalarIT1_EES3_PKS3_PKT2_SC_S9_PKT4_PKT5_S7_PT6_21rocsparse_index_base_b
		.amdhsa_group_segment_fixed_size 0
		.amdhsa_private_segment_fixed_size 0
		.amdhsa_kernarg_size 120
		.amdhsa_user_sgpr_count 6
		.amdhsa_user_sgpr_private_segment_buffer 1
		.amdhsa_user_sgpr_dispatch_ptr 0
		.amdhsa_user_sgpr_queue_ptr 0
		.amdhsa_user_sgpr_kernarg_segment_ptr 1
		.amdhsa_user_sgpr_dispatch_id 0
		.amdhsa_user_sgpr_flat_scratch_init 0
		.amdhsa_user_sgpr_private_segment_size 0
		.amdhsa_wavefront_size32 1
		.amdhsa_uses_dynamic_stack 0
		.amdhsa_system_sgpr_private_segment_wavefront_offset 0
		.amdhsa_system_sgpr_workgroup_id_x 1
		.amdhsa_system_sgpr_workgroup_id_y 0
		.amdhsa_system_sgpr_workgroup_id_z 0
		.amdhsa_system_sgpr_workgroup_info 0
		.amdhsa_system_vgpr_workitem_id 0
		.amdhsa_next_free_vgpr 179
		.amdhsa_next_free_sgpr 16
		.amdhsa_reserve_vcc 1
		.amdhsa_reserve_flat_scratch 0
		.amdhsa_float_round_mode_32 0
		.amdhsa_float_round_mode_16_64 0
		.amdhsa_float_denorm_mode_32 3
		.amdhsa_float_denorm_mode_16_64 3
		.amdhsa_dx10_clamp 1
		.amdhsa_ieee_mode 1
		.amdhsa_fp16_overflow 0
		.amdhsa_workgroup_processor_mode 1
		.amdhsa_memory_ordered 1
		.amdhsa_forward_progress 1
		.amdhsa_shared_vgpr_count 0
		.amdhsa_exception_fp_ieee_invalid_op 0
		.amdhsa_exception_fp_denorm_src 0
		.amdhsa_exception_fp_ieee_div_zero 0
		.amdhsa_exception_fp_ieee_overflow 0
		.amdhsa_exception_fp_ieee_underflow 0
		.amdhsa_exception_fp_ieee_inexact 0
		.amdhsa_exception_int_div_zero 0
	.end_amdhsa_kernel
	.section	.text._ZN9rocsparseL18bsrxmvn_4x4_kernelILj128ELj32E21rocsparse_complex_numIdEllS2_S2_S2_EEvT3_20rocsparse_direction_NS_24const_host_device_scalarIT1_EES3_PKS3_PKT2_SC_S9_PKT4_PKT5_S7_PT6_21rocsparse_index_base_b,"axG",@progbits,_ZN9rocsparseL18bsrxmvn_4x4_kernelILj128ELj32E21rocsparse_complex_numIdEllS2_S2_S2_EEvT3_20rocsparse_direction_NS_24const_host_device_scalarIT1_EES3_PKS3_PKT2_SC_S9_PKT4_PKT5_S7_PT6_21rocsparse_index_base_b,comdat
.Lfunc_end58:
	.size	_ZN9rocsparseL18bsrxmvn_4x4_kernelILj128ELj32E21rocsparse_complex_numIdEllS2_S2_S2_EEvT3_20rocsparse_direction_NS_24const_host_device_scalarIT1_EES3_PKS3_PKT2_SC_S9_PKT4_PKT5_S7_PT6_21rocsparse_index_base_b, .Lfunc_end58-_ZN9rocsparseL18bsrxmvn_4x4_kernelILj128ELj32E21rocsparse_complex_numIdEllS2_S2_S2_EEvT3_20rocsparse_direction_NS_24const_host_device_scalarIT1_EES3_PKS3_PKT2_SC_S9_PKT4_PKT5_S7_PT6_21rocsparse_index_base_b
                                        ; -- End function
	.set _ZN9rocsparseL18bsrxmvn_4x4_kernelILj128ELj32E21rocsparse_complex_numIdEllS2_S2_S2_EEvT3_20rocsparse_direction_NS_24const_host_device_scalarIT1_EES3_PKS3_PKT2_SC_S9_PKT4_PKT5_S7_PT6_21rocsparse_index_base_b.num_vgpr, 179
	.set _ZN9rocsparseL18bsrxmvn_4x4_kernelILj128ELj32E21rocsparse_complex_numIdEllS2_S2_S2_EEvT3_20rocsparse_direction_NS_24const_host_device_scalarIT1_EES3_PKS3_PKT2_SC_S9_PKT4_PKT5_S7_PT6_21rocsparse_index_base_b.num_agpr, 0
	.set _ZN9rocsparseL18bsrxmvn_4x4_kernelILj128ELj32E21rocsparse_complex_numIdEllS2_S2_S2_EEvT3_20rocsparse_direction_NS_24const_host_device_scalarIT1_EES3_PKS3_PKT2_SC_S9_PKT4_PKT5_S7_PT6_21rocsparse_index_base_b.numbered_sgpr, 16
	.set _ZN9rocsparseL18bsrxmvn_4x4_kernelILj128ELj32E21rocsparse_complex_numIdEllS2_S2_S2_EEvT3_20rocsparse_direction_NS_24const_host_device_scalarIT1_EES3_PKS3_PKT2_SC_S9_PKT4_PKT5_S7_PT6_21rocsparse_index_base_b.num_named_barrier, 0
	.set _ZN9rocsparseL18bsrxmvn_4x4_kernelILj128ELj32E21rocsparse_complex_numIdEllS2_S2_S2_EEvT3_20rocsparse_direction_NS_24const_host_device_scalarIT1_EES3_PKS3_PKT2_SC_S9_PKT4_PKT5_S7_PT6_21rocsparse_index_base_b.private_seg_size, 0
	.set _ZN9rocsparseL18bsrxmvn_4x4_kernelILj128ELj32E21rocsparse_complex_numIdEllS2_S2_S2_EEvT3_20rocsparse_direction_NS_24const_host_device_scalarIT1_EES3_PKS3_PKT2_SC_S9_PKT4_PKT5_S7_PT6_21rocsparse_index_base_b.uses_vcc, 1
	.set _ZN9rocsparseL18bsrxmvn_4x4_kernelILj128ELj32E21rocsparse_complex_numIdEllS2_S2_S2_EEvT3_20rocsparse_direction_NS_24const_host_device_scalarIT1_EES3_PKS3_PKT2_SC_S9_PKT4_PKT5_S7_PT6_21rocsparse_index_base_b.uses_flat_scratch, 0
	.set _ZN9rocsparseL18bsrxmvn_4x4_kernelILj128ELj32E21rocsparse_complex_numIdEllS2_S2_S2_EEvT3_20rocsparse_direction_NS_24const_host_device_scalarIT1_EES3_PKS3_PKT2_SC_S9_PKT4_PKT5_S7_PT6_21rocsparse_index_base_b.has_dyn_sized_stack, 0
	.set _ZN9rocsparseL18bsrxmvn_4x4_kernelILj128ELj32E21rocsparse_complex_numIdEllS2_S2_S2_EEvT3_20rocsparse_direction_NS_24const_host_device_scalarIT1_EES3_PKS3_PKT2_SC_S9_PKT4_PKT5_S7_PT6_21rocsparse_index_base_b.has_recursion, 0
	.set _ZN9rocsparseL18bsrxmvn_4x4_kernelILj128ELj32E21rocsparse_complex_numIdEllS2_S2_S2_EEvT3_20rocsparse_direction_NS_24const_host_device_scalarIT1_EES3_PKS3_PKT2_SC_S9_PKT4_PKT5_S7_PT6_21rocsparse_index_base_b.has_indirect_call, 0
	.section	.AMDGPU.csdata,"",@progbits
; Kernel info:
; codeLenInByte = 11264
; TotalNumSgprs: 18
; NumVgprs: 179
; ScratchSize: 0
; MemoryBound: 1
; FloatMode: 240
; IeeeMode: 1
; LDSByteSize: 0 bytes/workgroup (compile time only)
; SGPRBlocks: 0
; VGPRBlocks: 22
; NumSGPRsForWavesPerEU: 18
; NumVGPRsForWavesPerEU: 179
; Occupancy: 5
; WaveLimiterHint : 1
; COMPUTE_PGM_RSRC2:SCRATCH_EN: 0
; COMPUTE_PGM_RSRC2:USER_SGPR: 6
; COMPUTE_PGM_RSRC2:TRAP_HANDLER: 0
; COMPUTE_PGM_RSRC2:TGID_X_EN: 1
; COMPUTE_PGM_RSRC2:TGID_Y_EN: 0
; COMPUTE_PGM_RSRC2:TGID_Z_EN: 0
; COMPUTE_PGM_RSRC2:TIDIG_COMP_CNT: 0
	.section	.text._ZN9rocsparseL18bsrxmvn_4x4_kernelILj128ELj64E21rocsparse_complex_numIdEllS2_S2_S2_EEvT3_20rocsparse_direction_NS_24const_host_device_scalarIT1_EES3_PKS3_PKT2_SC_S9_PKT4_PKT5_S7_PT6_21rocsparse_index_base_b,"axG",@progbits,_ZN9rocsparseL18bsrxmvn_4x4_kernelILj128ELj64E21rocsparse_complex_numIdEllS2_S2_S2_EEvT3_20rocsparse_direction_NS_24const_host_device_scalarIT1_EES3_PKS3_PKT2_SC_S9_PKT4_PKT5_S7_PT6_21rocsparse_index_base_b,comdat
	.globl	_ZN9rocsparseL18bsrxmvn_4x4_kernelILj128ELj64E21rocsparse_complex_numIdEllS2_S2_S2_EEvT3_20rocsparse_direction_NS_24const_host_device_scalarIT1_EES3_PKS3_PKT2_SC_S9_PKT4_PKT5_S7_PT6_21rocsparse_index_base_b ; -- Begin function _ZN9rocsparseL18bsrxmvn_4x4_kernelILj128ELj64E21rocsparse_complex_numIdEllS2_S2_S2_EEvT3_20rocsparse_direction_NS_24const_host_device_scalarIT1_EES3_PKS3_PKT2_SC_S9_PKT4_PKT5_S7_PT6_21rocsparse_index_base_b
	.p2align	8
	.type	_ZN9rocsparseL18bsrxmvn_4x4_kernelILj128ELj64E21rocsparse_complex_numIdEllS2_S2_S2_EEvT3_20rocsparse_direction_NS_24const_host_device_scalarIT1_EES3_PKS3_PKT2_SC_S9_PKT4_PKT5_S7_PT6_21rocsparse_index_base_b,@function
_ZN9rocsparseL18bsrxmvn_4x4_kernelILj128ELj64E21rocsparse_complex_numIdEllS2_S2_S2_EEvT3_20rocsparse_direction_NS_24const_host_device_scalarIT1_EES3_PKS3_PKT2_SC_S9_PKT4_PKT5_S7_PT6_21rocsparse_index_base_b: ; @_ZN9rocsparseL18bsrxmvn_4x4_kernelILj128ELj64E21rocsparse_complex_numIdEllS2_S2_S2_EEvT3_20rocsparse_direction_NS_24const_host_device_scalarIT1_EES3_PKS3_PKT2_SC_S9_PKT4_PKT5_S7_PT6_21rocsparse_index_base_b
; %bb.0:
	s_clause 0x1
	s_load_dwordx2 s[2:3], s[4:5], 0x70
	s_load_dwordx2 s[0:1], s[4:5], 0x10
	s_add_u32 s7, s4, 16
	s_addc_u32 s10, s5, 0
	s_add_u32 s11, s4, 0x58
	s_addc_u32 s12, s5, 0
	s_load_dwordx2 s[8:9], s[4:5], 0x58
	s_waitcnt lgkmcnt(0)
	s_bitcmp1_b32 s3, 0
	s_cselect_b32 s0, s7, s0
	s_cselect_b32 s1, s10, s1
	v_mov_b32_e32 v1, s0
	v_mov_b32_e32 v2, s1
	s_cselect_b32 s0, s11, s8
	s_cselect_b32 s1, s12, s9
	flat_load_dwordx4 v[5:8], v[1:2]
	v_mov_b32_e32 v1, s0
	v_mov_b32_e32 v2, s1
	flat_load_dwordx4 v[1:4], v[1:2]
	s_waitcnt vmcnt(1) lgkmcnt(1)
	v_cmp_eq_f64_e32 vcc_lo, 0, v[5:6]
	v_cmp_eq_f64_e64 s0, 0, v[7:8]
	s_and_b32 s3, vcc_lo, s0
	s_mov_b32 s0, -1
	s_and_saveexec_b32 s1, s3
	s_cbranch_execz .LBB59_2
; %bb.1:
	s_waitcnt vmcnt(0) lgkmcnt(0)
	v_cmp_neq_f64_e32 vcc_lo, 1.0, v[1:2]
	v_cmp_neq_f64_e64 s0, 0, v[3:4]
	s_or_b32 s0, vcc_lo, s0
	s_orn2_b32 s0, s0, exec_lo
.LBB59_2:
	s_or_b32 exec_lo, exec_lo, s1
	s_and_saveexec_b32 s1, s0
	s_cbranch_execz .LBB59_8
; %bb.3:
	s_load_dwordx2 s[0:1], s[4:5], 0x28
	v_lshrrev_b32_e32 v9, 6, v0
	v_mov_b32_e32 v10, 0
	v_lshl_or_b32 v9, s6, 1, v9
	s_waitcnt lgkmcnt(0)
	s_cmp_lg_u64 s[0:1], 0
	s_cbranch_scc0 .LBB59_9
; %bb.4:
	s_load_dwordx2 s[6:7], s[4:5], 0x20
                                        ; implicit-def: $vgpr77_vgpr78
                                        ; implicit-def: $vgpr79_vgpr80
	s_waitcnt lgkmcnt(0)
	v_cmp_gt_i64_e32 vcc_lo, s[6:7], v[9:10]
	s_mov_b32 s7, 0
	s_mov_b32 s6, 0
	s_and_saveexec_b32 s3, vcc_lo
	s_xor_b32 s8, exec_lo, s3
	s_cbranch_execz .LBB59_6
; %bb.5:
	v_lshlrev_b64 v[11:12], 3, v[9:10]
	s_mov_b32 s3, 0
	s_mov_b32 s6, exec_lo
	v_mov_b32_e32 v80, s3
	v_mov_b32_e32 v79, s2
	v_add_co_u32 v11, vcc_lo, s0, v11
	v_add_co_ci_u32_e64 v12, null, s1, v12, vcc_lo
	global_load_dwordx2 v[11:12], v[11:12], off
	s_waitcnt vmcnt(0)
	v_sub_co_u32 v77, vcc_lo, v11, s2
	v_subrev_co_ci_u32_e64 v78, null, 0, v12, vcc_lo
.LBB59_6:
	s_or_b32 exec_lo, exec_lo, s8
	s_and_b32 vcc_lo, exec_lo, s7
	s_cbranch_vccnz .LBB59_10
.LBB59_7:
	s_and_b32 exec_lo, exec_lo, s6
	s_cbranch_execnz .LBB59_13
.LBB59_8:
	s_endpgm
.LBB59_9:
	s_mov_b32 s6, 0
                                        ; implicit-def: $vgpr77_vgpr78
                                        ; implicit-def: $vgpr79_vgpr80
	s_cbranch_execz .LBB59_7
.LBB59_10:
	s_load_dwordx2 s[0:1], s[4:5], 0x0
	s_waitcnt lgkmcnt(0)
	v_cmp_gt_i64_e32 vcc_lo, s[0:1], v[9:10]
	s_and_saveexec_b32 s0, vcc_lo
; %bb.11:
	s_mov_b32 s3, 0
	s_or_b32 s6, s6, exec_lo
; %bb.12:
	s_or_b32 exec_lo, exec_lo, s0
	v_mov_b32_e32 v80, s3
	v_mov_b32_e32 v78, v10
	;; [unrolled: 1-line block ×4, first 2 shown]
	s_and_b32 exec_lo, exec_lo, s6
	s_cbranch_execz .LBB59_8
.LBB59_13:
	s_load_dwordx8 s[8:15], s[4:5], 0x30
	v_lshlrev_b64 v[9:10], 3, v[77:78]
	v_and_b32_e32 v0, 63, v0
	s_clause 0x1
	s_load_dword s1, s[4:5], 0x8
	s_load_dwordx2 s[2:3], s[4:5], 0x50
	s_waitcnt lgkmcnt(0)
	v_add_co_u32 v11, vcc_lo, s8, v9
	v_add_co_ci_u32_e64 v12, null, s9, v10, vcc_lo
	v_add_co_u32 v9, vcc_lo, s10, v9
	v_add_co_ci_u32_e64 v10, null, s11, v10, vcc_lo
	;; [unrolled: 2-line block ×3, first 2 shown]
	global_load_dwordx2 v[103:104], v[11:12], off
	s_cmp_eq_u64 s[10:11], 0
	s_cselect_b32 vcc_lo, -1, 0
	s_cmp_eq_u32 s1, 1
	v_cndmask_b32_e32 v10, v10, v14, vcc_lo
	v_cndmask_b32_e32 v9, v9, v13, vcc_lo
	global_load_dwordx2 v[9:10], v[9:10], off
	s_waitcnt vmcnt(1)
	v_sub_co_u32 v11, vcc_lo, v103, v79
	v_sub_co_ci_u32_e64 v12, null, v104, v80, vcc_lo
	v_add_co_u32 v81, vcc_lo, v11, v0
	v_add_co_ci_u32_e64 v82, null, 0, v12, vcc_lo
	s_waitcnt vmcnt(0)
	v_sub_co_u32 v83, vcc_lo, v9, v79
	v_sub_co_ci_u32_e64 v84, null, v10, v80, vcc_lo
	v_lshlrev_b64 v[9:10], 8, v[81:82]
	v_cmp_lt_i64_e64 s0, v[81:82], v[83:84]
	v_add_co_u32 v85, vcc_lo, s14, v9
	v_add_co_ci_u32_e64 v86, null, s15, v10, vcc_lo
	s_cbranch_scc1 .LBB59_25
; %bb.14:
	v_mov_b32_e32 v97, 0
	v_mov_b32_e32 v99, 0
	;; [unrolled: 1-line block ×16, first 2 shown]
	s_and_saveexec_b32 s6, s0
	s_cbranch_execz .LBB59_24
; %bb.15:
	v_or_b32_e32 v9, 64, v0
	v_not_b32_e32 v13, v103
	v_not_b32_e32 v11, v104
	v_mov_b32_e32 v91, 0
	v_mov_b32_e32 v101, 0
	v_sub_co_u32 v9, vcc_lo, v9, v79
	v_sub_co_ci_u32_e64 v10, null, 0, v80, vcc_lo
	v_mov_b32_e32 v93, 0
	v_add_co_u32 v9, vcc_lo, v9, v103
	v_add_co_ci_u32_e64 v10, null, v10, v104, vcc_lo
	v_sub_co_u32 v14, vcc_lo, v79, v0
	v_subrev_co_ci_u32_e64 v15, null, 0, v80, vcc_lo
	v_cmp_gt_i64_e32 vcc_lo, v[9:10], v[83:84]
	v_add_co_u32 v13, s1, v14, v13
	v_add_co_ci_u32_e64 v11, null, v15, v11, s1
	v_mov_b32_e32 v95, 0
	v_cndmask_b32_e32 v9, v83, v9, vcc_lo
	v_cndmask_b32_e32 v10, v84, v10, vcc_lo
	v_mov_b32_e32 v89, 0
	v_mov_b32_e32 v87, 0
	;; [unrolled: 1-line block ×3, first 2 shown]
	v_add_co_u32 v9, vcc_lo, v13, v9
	v_mov_b32_e32 v97, 0
	v_mov_b32_e32 v108, v86
	;; [unrolled: 1-line block ×8, first 2 shown]
	v_add_co_ci_u32_e64 v10, null, v11, v10, vcc_lo
	v_and_b32_e32 v11, 0xc0, v9
	v_mov_b32_e32 v90, 0
	v_mov_b32_e32 v88, 0
	;; [unrolled: 1-line block ×6, first 2 shown]
	s_mov_b32 s7, exec_lo
	v_cmpx_ne_u64_e32 0xc0, v[11:12]
	s_cbranch_execz .LBB59_19
; %bb.16:
	v_lshrrev_b32_e32 v13, 6, v9
	v_lshlrev_b64 v[11:12], 3, v[81:82]
	v_mov_b32_e32 v97, 0
	v_mov_b32_e32 v106, v82
	;; [unrolled: 1-line block ×3, first 2 shown]
	v_add_nc_u32_e32 v13, 1, v13
	v_mov_b32_e32 v87, 0
	v_add_co_u32 v11, vcc_lo, s12, v11
	v_mov_b32_e32 v89, 0
	v_and_b32_e32 v13, 3, v13
	v_mov_b32_e32 v95, 0
	v_mov_b32_e32 v93, 0
	;; [unrolled: 1-line block ×4, first 2 shown]
	v_sub_co_u32 v13, s1, 0, v13
	v_mov_b32_e32 v108, v86
	v_mov_b32_e32 v98, 0
	;; [unrolled: 1-line block ×5, first 2 shown]
	v_add_co_ci_u32_e64 v12, null, s13, v12, vcc_lo
	v_sub_co_ci_u32_e64 v14, null, 0, 0, s1
	v_mov_b32_e32 v90, 0
	v_mov_b32_e32 v96, 0
	;; [unrolled: 1-line block ×6, first 2 shown]
	s_mov_b32 s8, 0
.LBB59_17:                              ; =>This Inner Loop Header: Depth=1
	global_load_dwordx2 v[43:44], v[11:12], off
	s_clause 0x6
	global_load_dwordx4 v[15:18], v[107:108], off offset:16
	global_load_dwordx4 v[19:22], v[107:108], off
	global_load_dwordx4 v[23:26], v[107:108], off offset:80
	global_load_dwordx4 v[27:30], v[107:108], off offset:64
	;; [unrolled: 1-line block ×5, first 2 shown]
	v_add_co_u32 v11, s1, 0x200, v11
	v_add_co_ci_u32_e64 v12, null, 0, v12, s1
	s_waitcnt vmcnt(7)
	v_sub_co_u32 v43, vcc_lo, v43, v79
	v_sub_co_ci_u32_e64 v44, null, v44, v80, vcc_lo
	v_lshlrev_b64 v[43:44], 6, v[43:44]
	v_add_co_u32 v75, vcc_lo, s2, v43
	v_add_co_ci_u32_e64 v76, null, s3, v44, vcc_lo
	global_load_dwordx4 v[43:46], v[75:76], off
	global_load_dwordx4 v[47:50], v[107:108], off offset:208
	global_load_dwordx4 v[51:54], v[75:76], off offset:16
	s_clause 0x6
	global_load_dwordx4 v[55:58], v[107:108], off offset:48
	global_load_dwordx4 v[59:62], v[107:108], off offset:32
	;; [unrolled: 1-line block ×10, first 2 shown]
	v_add_co_u32 v107, vcc_lo, 0x4000, v107
	v_add_co_ci_u32_e64 v108, null, 0, v108, vcc_lo
	v_add_co_u32 v13, vcc_lo, v13, 1
	v_add_co_ci_u32_e64 v14, null, 0, v14, vcc_lo
	;; [unrolled: 2-line block ×3, first 2 shown]
	v_cmp_eq_u64_e32 vcc_lo, 0, v[13:14]
	s_or_b32 s8, vcc_lo, s8
	s_waitcnt vmcnt(12)
	v_fma_f64 v[75:76], v[19:20], v[43:44], v[99:100]
	v_fma_f64 v[97:98], v[21:22], v[43:44], v[97:98]
	v_fma_f64 v[99:100], v[27:28], v[43:44], v[101:102]
	v_fma_f64 v[91:92], v[29:30], v[43:44], v[91:92]
	v_fma_f64 v[95:96], v[35:36], v[43:44], v[95:96]
	v_fma_f64 v[93:94], v[37:38], v[43:44], v[93:94]
	v_fma_f64 v[87:88], v[39:40], v[43:44], v[87:88]
	v_fma_f64 v[43:44], v[41:42], v[43:44], v[89:90]
	v_fma_f64 v[21:22], -v[21:22], v[45:46], v[75:76]
	v_fma_f64 v[19:20], v[19:20], v[45:46], v[97:98]
	v_fma_f64 v[29:30], -v[29:30], v[45:46], v[99:100]
	v_fma_f64 v[27:28], v[27:28], v[45:46], v[91:92]
	v_fma_f64 v[37:38], -v[37:38], v[45:46], v[95:96]
	v_fma_f64 v[35:36], v[35:36], v[45:46], v[93:94]
	v_fma_f64 v[41:42], -v[41:42], v[45:46], v[87:88]
	v_fma_f64 v[39:40], v[39:40], v[45:46], v[43:44]
	s_waitcnt vmcnt(10)
	v_fma_f64 v[21:22], v[15:16], v[51:52], v[21:22]
	v_fma_f64 v[19:20], v[17:18], v[51:52], v[19:20]
	v_fma_f64 v[29:30], v[23:24], v[51:52], v[29:30]
	v_fma_f64 v[27:28], v[25:26], v[51:52], v[27:28]
	v_fma_f64 v[37:38], v[31:32], v[51:52], v[37:38]
	v_fma_f64 v[35:36], v[33:34], v[51:52], v[35:36]
	v_fma_f64 v[41:42], v[47:48], v[51:52], v[41:42]
	v_fma_f64 v[39:40], v[49:50], v[51:52], v[39:40]
	v_fma_f64 v[17:18], -v[17:18], v[53:54], v[21:22]
	v_fma_f64 v[15:16], v[15:16], v[53:54], v[19:20]
	v_fma_f64 v[19:20], -v[25:26], v[53:54], v[29:30]
	v_fma_f64 v[21:22], v[23:24], v[53:54], v[27:28]
	v_fma_f64 v[23:24], -v[33:34], v[53:54], v[37:38]
	v_fma_f64 v[25:26], v[31:32], v[53:54], v[35:36]
	v_fma_f64 v[27:28], -v[49:50], v[53:54], v[41:42]
	v_fma_f64 v[29:30], v[47:48], v[53:54], v[39:40]
	;; [unrolled: 17-line block ×4, first 2 shown]
	s_andn2_b32 exec_lo, exec_lo, s8
	s_cbranch_execnz .LBB59_17
; %bb.18:
	s_or_b32 exec_lo, exec_lo, s8
.LBB59_19:
	s_or_b32 exec_lo, exec_lo, s7
	s_mov_b32 s7, exec_lo
	v_cmpx_lt_u64_e32 0xbf, v[9:10]
	s_cbranch_execz .LBB59_23
; %bb.20:
	v_lshlrev_b64 v[9:10], 3, v[105:106]
	s_mov_b32 s8, 0
	v_add_co_u32 v9, vcc_lo, s12, v9
	v_add_co_ci_u32_e64 v10, null, s13, v10, vcc_lo
	v_add_co_u32 v109, vcc_lo, 0x400, v9
	v_add_co_ci_u32_e64 v110, null, 0, v10, vcc_lo
.LBB59_21:                              ; =>This Inner Loop Header: Depth=1
	global_load_dwordx2 v[115:116], v[109:110], off offset:-1024
	s_clause 0xf
	global_load_dwordx4 v[9:12], v[107:108], off offset:48
	global_load_dwordx4 v[17:20], v[107:108], off offset:32
	;; [unrolled: 1-line block ×3, first 2 shown]
	global_load_dwordx4 v[41:44], v[107:108], off
	global_load_dwordx4 v[13:16], v[107:108], off offset:112
	global_load_dwordx4 v[33:36], v[107:108], off offset:96
	;; [unrolled: 1-line block ×12, first 2 shown]
	s_clause 0x2
	global_load_dwordx2 v[167:168], v[109:110], off offset:-512
	global_load_dwordx2 v[111:112], v[109:110], off
	global_load_dwordx2 v[117:118], v[109:110], off offset:512
	v_add_co_u32 v169, vcc_lo, 0x4000, v107
	v_add_co_ci_u32_e64 v170, null, 0, v108, vcc_lo
	v_add_co_u32 v171, vcc_lo, 0x8000, v107
	v_add_co_ci_u32_e64 v172, null, 0, v108, vcc_lo
	;; [unrolled: 2-line block ×3, first 2 shown]
	s_clause 0xa
	global_load_dwordx4 v[69:72], v[169:170], off offset:48
	global_load_dwordx4 v[119:122], v[169:170], off offset:32
	global_load_dwordx4 v[123:126], v[169:170], off
	global_load_dwordx4 v[127:130], v[169:170], off offset:16
	global_load_dwordx4 v[131:134], v[169:170], off offset:112
	global_load_dwordx4 v[135:138], v[169:170], off offset:96
	global_load_dwordx4 v[139:142], v[169:170], off offset:80
	global_load_dwordx4 v[143:146], v[169:170], off offset:64
	global_load_dwordx4 v[147:150], v[169:170], off offset:176
	global_load_dwordx4 v[151:154], v[169:170], off offset:160
	global_load_dwordx4 v[155:158], v[169:170], off offset:144
	v_add_co_u32 v107, s1, 0x10000, v107
	v_add_co_ci_u32_e64 v108, null, 0, v108, s1
	s_waitcnt vmcnt(30)
	v_sub_co_u32 v115, vcc_lo, v115, v79
	v_sub_co_ci_u32_e64 v116, null, v116, v80, vcc_lo
	v_lshlrev_b64 v[115:116], 6, v[115:116]
	v_add_co_u32 v115, vcc_lo, s2, v115
	v_add_co_ci_u32_e64 v116, null, s3, v116, vcc_lo
	s_clause 0x1
	global_load_dwordx4 v[159:162], v[115:116], off
	global_load_dwordx4 v[163:166], v[115:116], off offset:16
	s_waitcnt vmcnt(1)
	v_fma_f64 v[99:100], v[41:42], v[159:160], v[99:100]
	v_fma_f64 v[97:98], v[43:44], v[159:160], v[97:98]
	;; [unrolled: 1-line block ×7, first 2 shown]
	v_fma_f64 v[43:44], -v[43:44], v[161:162], v[99:100]
	v_fma_f64 v[41:42], v[41:42], v[161:162], v[97:98]
	v_fma_f64 v[101:102], -v[59:60], v[161:162], v[101:102]
	v_fma_f64 v[173:174], v[57:58], v[161:162], v[91:92]
	v_fma_f64 v[91:92], v[65:66], v[159:160], v[95:96]
	s_clause 0x1
	global_load_dwordx4 v[97:100], v[169:170], off offset:128
	global_load_dwordx4 v[57:60], v[169:170], off offset:240
	v_fma_f64 v[175:176], v[65:66], v[161:162], v[93:94]
	v_fma_f64 v[159:160], -v[75:76], v[161:162], v[87:88]
	s_waitcnt vmcnt(2)
	v_fma_f64 v[43:44], v[25:26], v[163:164], v[43:44]
	v_fma_f64 v[41:42], v[27:28], v[163:164], v[41:42]
	v_fma_f64 v[95:96], -v[67:68], v[161:162], v[91:92]
	global_load_dwordx4 v[65:68], v[169:170], off offset:224
	v_fma_f64 v[161:162], v[73:74], v[161:162], v[89:90]
	s_clause 0x2
	global_load_dwordx4 v[73:76], v[169:170], off offset:208
	global_load_dwordx4 v[87:90], v[169:170], off offset:192
	global_load_dwordx4 v[91:94], v[171:172], off
	v_fma_f64 v[169:170], -v[27:28], v[165:166], v[43:44]
	v_fma_f64 v[177:178], v[25:26], v[165:166], v[41:42]
	v_fma_f64 v[25:26], v[45:46], v[163:164], v[101:102]
	;; [unrolled: 1-line block ×5, first 2 shown]
	v_fma_f64 v[101:102], -v[47:48], v[165:166], v[25:26]
	v_fma_f64 v[173:174], v[45:46], v[165:166], v[27:28]
	v_fma_f64 v[45:46], v[61:62], v[163:164], v[159:160]
	;; [unrolled: 1-line block ×3, first 2 shown]
	global_load_dwordx4 v[25:28], v[171:172], off offset:48
	v_fma_f64 v[95:96], -v[55:56], v[165:166], v[41:42]
	v_fma_f64 v[175:176], v[53:54], v[165:166], v[43:44]
	global_load_dwordx4 v[41:44], v[171:172], off offset:32
	v_fma_f64 v[159:160], -v[63:64], v[165:166], v[45:46]
	v_fma_f64 v[161:162], v[61:62], v[165:166], v[47:48]
	global_load_dwordx4 v[45:48], v[171:172], off offset:16
	s_clause 0x1
	global_load_dwordx4 v[53:56], v[115:116], off offset:32
	global_load_dwordx4 v[61:64], v[115:116], off offset:48
	s_waitcnt vmcnt(1)
	v_fma_f64 v[115:116], v[17:18], v[53:54], v[169:170]
	v_fma_f64 v[163:164], v[19:20], v[53:54], v[177:178]
	;; [unrolled: 1-line block ×8, first 2 shown]
	v_fma_f64 v[115:116], -v[19:20], v[55:56], v[115:116]
	v_fma_f64 v[163:164], v[17:18], v[55:56], v[163:164]
	v_fma_f64 v[101:102], -v[35:36], v[55:56], v[101:102]
	v_fma_f64 v[165:166], v[33:34], v[55:56], v[165:166]
	;; [unrolled: 2-line block ×4, first 2 shown]
	v_sub_co_u32 v53, vcc_lo, v167, v79
	v_sub_co_ci_u32_e64 v54, null, v168, v80, vcc_lo
	s_clause 0x3
	global_load_dwordx4 v[17:20], v[171:172], off offset:112
	global_load_dwordx4 v[33:36], v[171:172], off offset:96
	;; [unrolled: 1-line block ×4, first 2 shown]
	v_lshlrev_b64 v[53:54], 6, v[53:54]
	s_waitcnt vmcnt(4)
	v_fma_f64 v[115:116], v[9:10], v[61:62], v[115:116]
	v_fma_f64 v[163:164], v[11:12], v[61:62], v[163:164]
	;; [unrolled: 1-line block ×8, first 2 shown]
	v_add_co_u32 v167, vcc_lo, s2, v53
	v_add_co_ci_u32_e64 v168, null, s3, v54, vcc_lo
	global_load_dwordx4 v[53:56], v[171:172], off offset:176
	v_fma_f64 v[115:116], -v[11:12], v[63:64], v[115:116]
	v_fma_f64 v[163:164], v[9:10], v[63:64], v[163:164]
	global_load_dwordx4 v[9:12], v[171:172], off offset:160
	v_fma_f64 v[101:102], -v[15:16], v[63:64], v[101:102]
	v_fma_f64 v[165:166], v[13:14], v[63:64], v[165:166]
	;; [unrolled: 3-line block ×4, first 2 shown]
	s_clause 0x1
	global_load_dwordx4 v[29:32], v[167:168], off
	global_load_dwordx4 v[61:64], v[167:168], off offset:16
	s_waitcnt vmcnt(1)
	v_fma_f64 v[115:116], v[123:124], v[29:30], v[115:116]
	v_fma_f64 v[95:96], v[97:98], v[29:30], v[95:96]
	v_fma_f64 v[163:164], v[125:126], v[29:30], v[163:164]
	v_fma_f64 v[101:102], v[143:144], v[29:30], v[101:102]
	v_fma_f64 v[169:170], v[99:100], v[29:30], v[169:170]
	v_fma_f64 v[165:166], v[145:146], v[29:30], v[165:166]
	v_fma_f64 v[115:116], -v[125:126], v[31:32], v[115:116]
	v_fma_f64 v[173:174], -v[99:100], v[31:32], v[95:96]
	v_fma_f64 v[99:100], v[87:88], v[29:30], v[159:160]
	v_fma_f64 v[163:164], v[123:124], v[31:32], v[163:164]
	v_fma_f64 v[101:102], -v[145:146], v[31:32], v[101:102]
	v_fma_f64 v[165:166], v[143:144], v[31:32], v[165:166]
	v_fma_f64 v[169:170], v[97:98], v[31:32], v[169:170]
	;; [unrolled: 1-line block ×3, first 2 shown]
	s_clause 0x2
	global_load_dwordx4 v[123:126], v[171:172], off offset:240
	global_load_dwordx4 v[143:146], v[171:172], off offset:224
	;; [unrolled: 1-line block ×3, first 2 shown]
	v_fma_f64 v[159:160], -v[89:90], v[31:32], v[99:100]
	s_waitcnt vmcnt(3)
	v_fma_f64 v[99:100], v[127:128], v[61:62], v[115:116]
	v_fma_f64 v[115:116], v[129:130], v[61:62], v[163:164]
	;; [unrolled: 1-line block ×3, first 2 shown]
	s_clause 0x1
	global_load_dwordx4 v[29:32], v[171:172], off offset:192
	global_load_dwordx4 v[87:90], v[113:114], off
	v_fma_f64 v[163:164], -v[129:130], v[63:64], v[99:100]
	v_fma_f64 v[99:100], v[139:140], v[61:62], v[101:102]
	v_fma_f64 v[101:102], v[141:142], v[61:62], v[165:166]
	;; [unrolled: 1-line block ×3, first 2 shown]
	global_load_dwordx4 v[127:130], v[113:114], off offset:48
	v_fma_f64 v[165:166], -v[141:142], v[63:64], v[99:100]
	v_fma_f64 v[141:142], v[157:158], v[61:62], v[169:170]
	v_fma_f64 v[171:172], v[139:140], v[63:64], v[101:102]
	;; [unrolled: 1-line block ×3, first 2 shown]
	global_load_dwordx4 v[99:102], v[113:114], off offset:32
	v_fma_f64 v[173:174], v[155:156], v[63:64], v[141:142]
	v_fma_f64 v[155:156], v[73:74], v[61:62], v[159:160]
	;; [unrolled: 1-line block ×3, first 2 shown]
	v_fma_f64 v[169:170], -v[157:158], v[63:64], v[139:140]
	global_load_dwordx4 v[139:142], v[113:114], off offset:16
	v_fma_f64 v[159:160], -v[75:76], v[63:64], v[155:156]
	v_fma_f64 v[161:162], v[73:74], v[63:64], v[61:62]
	global_load_dwordx4 v[61:64], v[113:114], off offset:80
	s_clause 0x1
	global_load_dwordx4 v[73:76], v[167:168], off offset:32
	global_load_dwordx4 v[155:158], v[167:168], off offset:48
	s_waitcnt vmcnt(1)
	v_fma_f64 v[163:164], v[119:120], v[73:74], v[163:164]
	v_fma_f64 v[115:116], v[121:122], v[73:74], v[115:116]
	;; [unrolled: 1-line block ×8, first 2 shown]
	v_fma_f64 v[163:164], -v[121:122], v[75:76], v[163:164]
	v_fma_f64 v[115:116], v[119:120], v[75:76], v[115:116]
	v_fma_f64 v[165:166], -v[137:138], v[75:76], v[165:166]
	v_fma_f64 v[167:168], v[135:136], v[75:76], v[167:168]
	;; [unrolled: 2-line block ×4, first 2 shown]
	v_sub_co_u32 v73, vcc_lo, v111, v79
	v_sub_co_ci_u32_e64 v74, null, v112, v80, vcc_lo
	s_clause 0x2
	global_load_dwordx4 v[119:122], v[113:114], off offset:64
	global_load_dwordx4 v[151:154], v[113:114], off offset:128
	;; [unrolled: 1-line block ×3, first 2 shown]
	v_lshlrev_b64 v[73:74], 6, v[73:74]
	global_load_dwordx4 v[65:68], v[113:114], off offset:208
	v_add_co_u32 v111, vcc_lo, s2, v73
	v_add_co_ci_u32_e64 v112, null, s3, v74, vcc_lo
	s_waitcnt vmcnt(4)
	v_fma_f64 v[163:164], v[69:70], v[155:156], v[163:164]
	v_fma_f64 v[115:116], v[71:72], v[155:156], v[115:116]
	;; [unrolled: 1-line block ×3, first 2 shown]
	global_load_dwordx4 v[73:76], v[111:112], off
	v_fma_f64 v[171:172], v[149:150], v[155:156], v[171:172]
	v_fma_f64 v[165:166], v[131:132], v[155:156], v[165:166]
	;; [unrolled: 1-line block ×5, first 2 shown]
	v_sub_co_u32 v117, vcc_lo, v117, v79
	v_sub_co_ci_u32_e64 v118, null, v118, v80, vcc_lo
	v_fma_f64 v[163:164], -v[71:72], v[157:158], v[163:164]
	v_fma_f64 v[115:116], v[69:70], v[157:158], v[115:116]
	global_load_dwordx4 v[69:72], v[111:112], off offset:16
	v_fma_f64 v[169:170], -v[149:150], v[157:158], v[169:170]
	v_fma_f64 v[171:172], v[147:148], v[157:158], v[171:172]
	global_load_dwordx4 v[147:150], v[111:112], off offset:32
	;; [unrolled: 3-line block ×3, first 2 shown]
	v_fma_f64 v[159:160], -v[59:60], v[157:158], v[159:160]
	v_fma_f64 v[161:162], v[57:58], v[157:158], v[155:156]
	s_clause 0x1
	global_load_dwordx4 v[57:60], v[113:114], off offset:112
	global_load_dwordx4 v[155:158], v[113:114], off offset:96
	s_waitcnt vmcnt(5)
	v_fma_f64 v[163:164], v[91:92], v[73:74], v[163:164]
	v_fma_f64 v[115:116], v[93:94], v[73:74], v[115:116]
	;; [unrolled: 1-line block ×3, first 2 shown]
	v_fma_f64 v[163:164], -v[93:94], v[75:76], v[163:164]
	v_fma_f64 v[115:116], v[91:92], v[75:76], v[115:116]
	global_load_dwordx4 v[91:94], v[111:112], off offset:48
	v_lshlrev_b64 v[111:112], 6, v[117:118]
	v_fma_f64 v[159:160], -v[31:32], v[75:76], v[159:160]
	v_add_co_u32 v117, vcc_lo, s2, v111
	v_add_co_ci_u32_e64 v118, null, s3, v112, vcc_lo
	v_fma_f64 v[111:112], v[49:50], v[73:74], v[165:166]
	v_fma_f64 v[165:166], v[51:52], v[73:74], v[167:168]
	v_fma_f64 v[167:168], v[21:22], v[73:74], v[169:170]
	v_fma_f64 v[169:170], v[23:24], v[73:74], v[171:172]
	v_fma_f64 v[73:74], v[31:32], v[73:74], v[161:162]
	v_add_co_u32 v105, vcc_lo, 0x100, v105
	v_add_co_ci_u32_e64 v106, null, 0, v106, vcc_lo
	s_waitcnt vmcnt(5)
	v_fma_f64 v[163:164], v[45:46], v[69:70], v[163:164]
	v_fma_f64 v[115:116], v[47:48], v[69:70], v[115:116]
	v_add_co_u32 v109, vcc_lo, 0x800, v109
	v_add_co_ci_u32_e64 v110, null, 0, v110, vcc_lo
	v_cmp_ge_i64_e32 vcc_lo, v[105:106], v[83:84]
	s_or_b32 s8, vcc_lo, s8
	v_fma_f64 v[111:112], -v[51:52], v[75:76], v[111:112]
	v_fma_f64 v[165:166], v[49:50], v[75:76], v[165:166]
	global_load_dwordx4 v[49:52], v[117:118], off
	v_fma_f64 v[167:168], -v[23:24], v[75:76], v[167:168]
	v_fma_f64 v[169:170], v[21:22], v[75:76], v[169:170]
	global_load_dwordx4 v[21:24], v[117:118], off offset:16
	v_fma_f64 v[161:162], v[29:30], v[75:76], v[73:74]
	s_clause 0x1
	global_load_dwordx4 v[29:32], v[113:114], off offset:160
	global_load_dwordx4 v[73:76], v[113:114], off offset:224
	v_fma_f64 v[163:164], -v[47:48], v[71:72], v[163:164]
	v_fma_f64 v[115:116], v[45:46], v[71:72], v[115:116]
	global_load_dwordx4 v[45:48], v[117:118], off offset:32
	v_fma_f64 v[111:112], v[37:38], v[69:70], v[111:112]
	v_fma_f64 v[165:166], v[39:40], v[69:70], v[165:166]
	;; [unrolled: 1-line block ×4, first 2 shown]
	v_fma_f64 v[171:172], -v[39:40], v[71:72], v[111:112]
	v_fma_f64 v[165:166], v[37:38], v[71:72], v[165:166]
	s_clause 0x1
	global_load_dwordx4 v[37:40], v[113:114], off offset:176
	global_load_dwordx4 v[111:114], v[113:114], off offset:240
	v_fma_f64 v[167:168], -v[15:16], v[71:72], v[167:168]
	v_fma_f64 v[169:170], v[13:14], v[71:72], v[169:170]
	global_load_dwordx4 v[13:16], v[117:118], off offset:48
	v_fma_f64 v[117:118], v[95:96], v[69:70], v[159:160]
	v_fma_f64 v[69:70], v[97:98], v[69:70], v[161:162]
	s_waitcnt vmcnt(12)
	v_fma_f64 v[159:160], v[9:10], v[147:148], v[167:168]
	v_fma_f64 v[161:162], v[11:12], v[147:148], v[169:170]
	v_fma_f64 v[97:98], -v[97:98], v[71:72], v[117:118]
	v_fma_f64 v[69:70], v[95:96], v[71:72], v[69:70]
	v_fma_f64 v[71:72], v[41:42], v[147:148], v[163:164]
	;; [unrolled: 1-line block ×5, first 2 shown]
	v_fma_f64 v[11:12], -v[11:12], v[149:150], v[159:160]
	v_fma_f64 v[9:10], v[9:10], v[149:150], v[161:162]
	v_fma_f64 v[97:98], v[143:144], v[147:148], v[97:98]
	;; [unrolled: 1-line block ×3, first 2 shown]
	v_fma_f64 v[43:44], -v[43:44], v[149:150], v[71:72]
	v_fma_f64 v[41:42], v[41:42], v[149:150], v[95:96]
	v_fma_f64 v[35:36], -v[35:36], v[149:150], v[115:116]
	v_fma_f64 v[33:34], v[33:34], v[149:150], v[117:118]
	v_fma_f64 v[71:72], -v[145:146], v[149:150], v[97:98]
	v_fma_f64 v[69:70], v[143:144], v[149:150], v[69:70]
	s_waitcnt vmcnt(8)
	v_fma_f64 v[43:44], v[25:26], v[91:92], v[43:44]
	v_fma_f64 v[41:42], v[27:28], v[91:92], v[41:42]
	v_fma_f64 v[35:36], v[17:18], v[91:92], v[35:36]
	v_fma_f64 v[33:34], v[19:20], v[91:92], v[33:34]
	v_fma_f64 v[11:12], v[53:54], v[91:92], v[11:12]
	v_fma_f64 v[9:10], v[55:56], v[91:92], v[9:10]
	v_fma_f64 v[71:72], v[123:124], v[91:92], v[71:72]
	v_fma_f64 v[69:70], v[125:126], v[91:92], v[69:70]
	v_fma_f64 v[27:28], -v[27:28], v[93:94], v[43:44]
	v_fma_f64 v[25:26], v[25:26], v[93:94], v[41:42]
	v_fma_f64 v[19:20], -v[19:20], v[93:94], v[35:36]
	v_fma_f64 v[17:18], v[17:18], v[93:94], v[33:34]
	v_fma_f64 v[11:12], -v[55:56], v[93:94], v[11:12]
	v_fma_f64 v[9:10], v[53:54], v[93:94], v[9:10]
	v_fma_f64 v[33:34], -v[125:126], v[93:94], v[71:72]
	v_fma_f64 v[35:36], v[123:124], v[93:94], v[69:70]
	s_waitcnt vmcnt(7)
	v_fma_f64 v[27:28], v[87:88], v[49:50], v[27:28]
	v_fma_f64 v[25:26], v[89:90], v[49:50], v[25:26]
	v_fma_f64 v[19:20], v[119:120], v[49:50], v[19:20]
	v_fma_f64 v[17:18], v[121:122], v[49:50], v[17:18]
	v_fma_f64 v[11:12], v[151:152], v[49:50], v[11:12]
	v_fma_f64 v[9:10], v[153:154], v[49:50], v[9:10]
	v_fma_f64 v[33:34], v[131:132], v[49:50], v[33:34]
	v_fma_f64 v[35:36], v[133:134], v[49:50], v[35:36]
	v_fma_f64 v[27:28], -v[89:90], v[51:52], v[27:28]
	v_fma_f64 v[25:26], v[87:88], v[51:52], v[25:26]
	;; [unrolled: 17-line block ×5, first 2 shown]
	v_fma_f64 v[101:102], -v[59:60], v[15:16], v[19:20]
	v_fma_f64 v[91:92], v[57:58], v[15:16], v[17:18]
	v_fma_f64 v[95:96], -v[39:40], v[15:16], v[11:12]
	v_fma_f64 v[93:94], v[37:38], v[15:16], v[9:10]
	;; [unrolled: 2-line block ×3, first 2 shown]
	s_andn2_b32 exec_lo, exec_lo, s8
	s_cbranch_execnz .LBB59_21
; %bb.22:
	s_or_b32 exec_lo, exec_lo, s8
.LBB59_23:
	s_or_b32 exec_lo, exec_lo, s7
.LBB59_24:
	s_or_b32 exec_lo, exec_lo, s6
	s_cbranch_execz .LBB59_26
	s_branch .LBB59_37
.LBB59_25:
                                        ; implicit-def: $vgpr97_vgpr98
                                        ; implicit-def: $vgpr99_vgpr100
                                        ; implicit-def: $vgpr87_vgpr88
                                        ; implicit-def: $vgpr89_vgpr90
                                        ; implicit-def: $vgpr95_vgpr96
                                        ; implicit-def: $vgpr93_vgpr94
                                        ; implicit-def: $vgpr101_vgpr102
                                        ; implicit-def: $vgpr91_vgpr92
.LBB59_26:
	v_mov_b32_e32 v97, 0
	v_mov_b32_e32 v99, 0
	;; [unrolled: 1-line block ×16, first 2 shown]
	s_and_saveexec_b32 s1, s0
	s_cbranch_execz .LBB59_36
; %bb.27:
	v_or_b32_e32 v9, 64, v0
	v_not_b32_e32 v13, v103
	v_sub_co_u32 v14, s0, v79, v0
	v_not_b32_e32 v11, v104
	v_sub_co_u32 v9, vcc_lo, v9, v79
	v_sub_co_ci_u32_e64 v10, null, 0, v80, vcc_lo
	v_subrev_co_ci_u32_e64 v15, null, 0, v80, s0
	v_add_co_u32 v9, vcc_lo, v9, v103
	v_add_co_ci_u32_e64 v10, null, v10, v104, vcc_lo
	v_add_co_u32 v13, s0, v14, v13
	v_add_co_ci_u32_e64 v11, null, v15, v11, s0
	v_cmp_gt_i64_e32 vcc_lo, v[9:10], v[83:84]
	v_mov_b32_e32 v91, 0
	v_mov_b32_e32 v101, 0
	;; [unrolled: 1-line block ×5, first 2 shown]
	v_cndmask_b32_e32 v9, v83, v9, vcc_lo
	v_cndmask_b32_e32 v10, v84, v10, vcc_lo
	v_mov_b32_e32 v87, 0
	v_mov_b32_e32 v99, 0
	;; [unrolled: 1-line block ×3, first 2 shown]
	v_add_co_u32 v9, vcc_lo, v13, v9
	v_mov_b32_e32 v12, 0
	v_mov_b32_e32 v92, 0
	v_mov_b32_e32 v102, 0
	v_mov_b32_e32 v94, 0
	v_add_co_ci_u32_e64 v10, null, v11, v10, vcc_lo
	v_and_b32_e32 v11, 0xc0, v9
	v_mov_b32_e32 v96, 0
	v_mov_b32_e32 v90, 0
	;; [unrolled: 1-line block ×5, first 2 shown]
	s_mov_b32 s6, exec_lo
	v_cmpx_ne_u64_e32 0xc0, v[11:12]
	s_cbranch_execz .LBB59_31
; %bb.28:
	v_lshrrev_b32_e32 v13, 6, v9
	v_lshlrev_b64 v[11:12], 3, v[81:82]
	v_mov_b32_e32 v97, 0
	v_mov_b32_e32 v99, 0
	;; [unrolled: 1-line block ×3, first 2 shown]
	v_add_nc_u32_e32 v13, 1, v13
	v_mov_b32_e32 v89, 0
	v_add_co_u32 v11, vcc_lo, s12, v11
	v_mov_b32_e32 v95, 0
	v_and_b32_e32 v13, 3, v13
	v_mov_b32_e32 v93, 0
	v_mov_b32_e32 v101, 0
	;; [unrolled: 1-line block ×4, first 2 shown]
	v_sub_co_u32 v13, s0, 0, v13
	v_mov_b32_e32 v100, 0
	v_mov_b32_e32 v88, 0
	v_add_co_ci_u32_e64 v12, null, s13, v12, vcc_lo
	v_mov_b32_e32 v90, 0
	v_mov_b32_e32 v96, 0
	v_mov_b32_e32 v94, 0
	v_mov_b32_e32 v102, 0
	v_mov_b32_e32 v92, 0
	v_sub_co_ci_u32_e64 v14, null, 0, 0, s0
	s_mov_b32 s7, 0
.LBB59_29:                              ; =>This Inner Loop Header: Depth=1
	global_load_dwordx2 v[31:32], v[11:12], off
	s_clause 0x3
	global_load_dwordx4 v[15:18], v[85:86], off offset:48
	global_load_dwordx4 v[19:22], v[85:86], off offset:32
	;; [unrolled: 1-line block ×3, first 2 shown]
	global_load_dwordx4 v[27:30], v[85:86], off
	v_add_co_u32 v11, s0, 0x200, v11
	v_add_co_ci_u32_e64 v12, null, 0, v12, s0
	s_waitcnt vmcnt(4)
	v_sub_co_u32 v31, vcc_lo, v31, v79
	v_sub_co_ci_u32_e64 v32, null, v32, v80, vcc_lo
	v_lshlrev_b64 v[31:32], 6, v[31:32]
	v_add_co_u32 v75, vcc_lo, s2, v31
	v_add_co_ci_u32_e64 v76, null, s3, v32, vcc_lo
	global_load_dwordx4 v[31:34], v[75:76], off
	s_clause 0x3
	global_load_dwordx4 v[35:38], v[85:86], off offset:112
	global_load_dwordx4 v[39:42], v[85:86], off offset:96
	;; [unrolled: 1-line block ×5, first 2 shown]
	s_clause 0x3
	global_load_dwordx4 v[55:58], v[85:86], off offset:176
	global_load_dwordx4 v[59:62], v[85:86], off offset:160
	;; [unrolled: 1-line block ×4, first 2 shown]
	s_clause 0x1
	global_load_dwordx4 v[71:74], v[75:76], off offset:32
	global_load_dwordx4 v[103:106], v[75:76], off offset:48
	s_clause 0x3
	global_load_dwordx4 v[107:110], v[85:86], off offset:192
	global_load_dwordx4 v[111:114], v[85:86], off offset:208
	;; [unrolled: 1-line block ×4, first 2 shown]
	v_add_co_u32 v85, vcc_lo, 0x4000, v85
	v_add_co_ci_u32_e64 v86, null, 0, v86, vcc_lo
	v_add_co_u32 v13, vcc_lo, v13, 1
	v_add_co_ci_u32_e64 v14, null, 0, v14, vcc_lo
	;; [unrolled: 2-line block ×3, first 2 shown]
	v_cmp_eq_u64_e32 vcc_lo, 0, v[13:14]
	s_or_b32 s7, vcc_lo, s7
	s_waitcnt vmcnt(15)
	v_fma_f64 v[75:76], v[27:28], v[31:32], v[99:100]
	v_fma_f64 v[97:98], v[29:30], v[31:32], v[97:98]
	v_fma_f64 v[99:100], v[23:24], v[31:32], v[101:102]
	v_fma_f64 v[91:92], v[25:26], v[31:32], v[91:92]
	v_fma_f64 v[95:96], v[19:20], v[31:32], v[95:96]
	v_fma_f64 v[93:94], v[21:22], v[31:32], v[93:94]
	v_fma_f64 v[87:88], v[15:16], v[31:32], v[87:88]
	v_fma_f64 v[31:32], v[17:18], v[31:32], v[89:90]
	v_fma_f64 v[29:30], -v[29:30], v[33:34], v[75:76]
	v_fma_f64 v[27:28], v[27:28], v[33:34], v[97:98]
	v_fma_f64 v[25:26], -v[25:26], v[33:34], v[99:100]
	v_fma_f64 v[23:24], v[23:24], v[33:34], v[91:92]
	v_fma_f64 v[21:22], -v[21:22], v[33:34], v[95:96]
	v_fma_f64 v[19:20], v[19:20], v[33:34], v[93:94]
	v_fma_f64 v[17:18], -v[17:18], v[33:34], v[87:88]
	v_fma_f64 v[15:16], v[15:16], v[33:34], v[31:32]
	s_waitcnt vmcnt(10)
	v_fma_f64 v[29:30], v[47:48], v[51:52], v[29:30]
	v_fma_f64 v[27:28], v[49:50], v[51:52], v[27:28]
	v_fma_f64 v[25:26], v[43:44], v[51:52], v[25:26]
	v_fma_f64 v[23:24], v[45:46], v[51:52], v[23:24]
	v_fma_f64 v[21:22], v[39:40], v[51:52], v[21:22]
	v_fma_f64 v[19:20], v[41:42], v[51:52], v[19:20]
	v_fma_f64 v[17:18], v[35:36], v[51:52], v[17:18]
	v_fma_f64 v[15:16], v[37:38], v[51:52], v[15:16]
	v_fma_f64 v[29:30], -v[49:50], v[53:54], v[29:30]
	v_fma_f64 v[27:28], v[47:48], v[53:54], v[27:28]
	v_fma_f64 v[25:26], -v[45:46], v[53:54], v[25:26]
	v_fma_f64 v[23:24], v[43:44], v[53:54], v[23:24]
	v_fma_f64 v[21:22], -v[41:42], v[53:54], v[21:22]
	v_fma_f64 v[19:20], v[39:40], v[53:54], v[19:20]
	v_fma_f64 v[17:18], -v[37:38], v[53:54], v[17:18]
	v_fma_f64 v[15:16], v[35:36], v[53:54], v[15:16]
	;; [unrolled: 17-line block ×3, first 2 shown]
	s_waitcnt vmcnt(3)
	v_fma_f64 v[29:30], v[107:108], v[103:104], v[29:30]
	v_fma_f64 v[27:28], v[109:110], v[103:104], v[27:28]
	s_waitcnt vmcnt(2)
	v_fma_f64 v[25:26], v[111:112], v[103:104], v[25:26]
	v_fma_f64 v[23:24], v[113:114], v[103:104], v[23:24]
	;; [unrolled: 3-line block ×4, first 2 shown]
	v_fma_f64 v[99:100], -v[109:110], v[105:106], v[29:30]
	v_fma_f64 v[97:98], v[107:108], v[105:106], v[27:28]
	v_fma_f64 v[101:102], -v[113:114], v[105:106], v[25:26]
	v_fma_f64 v[91:92], v[111:112], v[105:106], v[23:24]
	;; [unrolled: 2-line block ×4, first 2 shown]
	s_andn2_b32 exec_lo, exec_lo, s7
	s_cbranch_execnz .LBB59_29
; %bb.30:
	s_or_b32 exec_lo, exec_lo, s7
.LBB59_31:
	s_or_b32 exec_lo, exec_lo, s6
	s_mov_b32 s6, exec_lo
	v_cmpx_lt_u64_e32 0xbf, v[9:10]
	s_cbranch_execz .LBB59_35
; %bb.32:
	v_lshlrev_b64 v[9:10], 3, v[81:82]
	s_mov_b32 s7, 0
	v_add_co_u32 v9, vcc_lo, s12, v9
	v_add_co_ci_u32_e64 v10, null, s13, v10, vcc_lo
	v_add_co_u32 v73, vcc_lo, 0x400, v9
	v_add_co_ci_u32_e64 v74, null, 0, v10, vcc_lo
.LBB59_33:                              ; =>This Inner Loop Header: Depth=1
	global_load_dwordx2 v[103:104], v[73:74], off offset:-1024
	s_clause 0xf
	global_load_dwordx4 v[9:12], v[85:86], off offset:48
	global_load_dwordx4 v[17:20], v[85:86], off offset:32
	;; [unrolled: 1-line block ×3, first 2 shown]
	global_load_dwordx4 v[49:52], v[85:86], off
	global_load_dwordx4 v[29:32], v[85:86], off offset:112
	global_load_dwordx4 v[45:48], v[85:86], off offset:96
	;; [unrolled: 1-line block ×12, first 2 shown]
	v_add_co_u32 v143, vcc_lo, 0x4000, v85
	v_add_co_ci_u32_e64 v144, null, 0, v86, vcc_lo
	v_add_co_u32 v145, vcc_lo, 0x8000, v85
	v_add_co_ci_u32_e64 v146, null, 0, v86, vcc_lo
	;; [unrolled: 2-line block ×3, first 2 shown]
	s_clause 0x2
	global_load_dwordx2 v[147:148], v[73:74], off offset:-512
	global_load_dwordx2 v[105:106], v[73:74], off
	global_load_dwordx2 v[149:150], v[73:74], off offset:512
	s_clause 0x6
	global_load_dwordx4 v[107:110], v[143:144], off offset:48
	global_load_dwordx4 v[111:114], v[143:144], off offset:32
	global_load_dwordx4 v[115:118], v[143:144], off
	global_load_dwordx4 v[119:122], v[143:144], off offset:16
	global_load_dwordx4 v[123:126], v[143:144], off offset:112
	;; [unrolled: 1-line block ×4, first 2 shown]
	v_add_co_u32 v85, s0, 0x10000, v85
	v_add_co_ci_u32_e64 v86, null, 0, v86, s0
	s_waitcnt vmcnt(26)
	v_sub_co_u32 v103, vcc_lo, v103, v79
	v_sub_co_ci_u32_e64 v104, null, v104, v80, vcc_lo
	v_lshlrev_b64 v[103:104], 6, v[103:104]
	v_add_co_u32 v103, vcc_lo, s2, v103
	v_add_co_ci_u32_e64 v104, null, s3, v104, vcc_lo
	s_clause 0x1
	global_load_dwordx4 v[135:138], v[103:104], off
	global_load_dwordx4 v[139:142], v[103:104], off offset:16
	s_waitcnt vmcnt(1)
	v_fma_f64 v[91:92], v[35:36], v[135:136], v[91:92]
	v_fma_f64 v[97:98], v[51:52], v[135:136], v[97:98]
	;; [unrolled: 1-line block ×10, first 2 shown]
	v_fma_f64 v[95:96], -v[19:20], v[137:138], v[95:96]
	v_fma_f64 v[93:94], v[17:18], v[137:138], v[93:94]
	v_fma_f64 v[99:100], -v[51:52], v[137:138], v[99:100]
	v_fma_f64 v[101:102], -v[35:36], v[137:138], v[101:102]
	;; [unrolled: 1-line block ×3, first 2 shown]
	v_fma_f64 v[137:138], v[9:10], v[137:138], v[89:90]
	s_clause 0x4
	global_load_dwordx4 v[49:52], v[143:144], off offset:64
	global_load_dwordx4 v[17:20], v[143:144], off offset:160
	;; [unrolled: 1-line block ×5, first 2 shown]
	s_waitcnt vmcnt(5)
	v_fma_f64 v[91:92], v[59:60], v[139:140], v[91:92]
	v_fma_f64 v[97:98], v[67:68], v[139:140], v[97:98]
	;; [unrolled: 1-line block ×10, first 2 shown]
	v_fma_f64 v[99:100], -v[67:68], v[141:142], v[99:100]
	global_load_dwordx4 v[65:68], v[143:144], off offset:240
	v_fma_f64 v[155:156], -v[47:48], v[141:142], v[91:92]
	v_fma_f64 v[91:92], v[29:30], v[139:140], v[135:136]
	v_fma_f64 v[101:102], -v[59:60], v[141:142], v[97:98]
	s_clause 0x1
	global_load_dwordx4 v[57:60], v[143:144], off offset:224
	global_load_dwordx4 v[45:48], v[143:144], off offset:208
	v_fma_f64 v[137:138], v[29:30], v[141:142], v[93:94]
	v_fma_f64 v[135:136], -v[31:32], v[141:142], v[91:92]
	global_load_dwordx4 v[29:32], v[143:144], off offset:192
	s_clause 0x1
	global_load_dwordx4 v[91:94], v[103:104], off offset:32
	global_load_dwordx4 v[95:98], v[103:104], off offset:48
	s_waitcnt vmcnt(1)
	v_fma_f64 v[101:102], v[61:62], v[91:92], v[101:102]
	v_fma_f64 v[141:142], v[41:42], v[91:92], v[155:156]
	;; [unrolled: 1-line block ×8, first 2 shown]
	v_fma_f64 v[101:102], -v[63:64], v[93:94], v[101:102]
	v_fma_f64 v[141:142], -v[43:44], v[93:94], v[141:142]
	;; [unrolled: 1-line block ×3, first 2 shown]
	v_fma_f64 v[103:104], v[69:70], v[93:94], v[103:104]
	v_fma_f64 v[139:140], v[61:62], v[93:94], v[139:140]
	;; [unrolled: 1-line block ×3, first 2 shown]
	v_fma_f64 v[135:136], -v[27:28], v[93:94], v[135:136]
	v_fma_f64 v[137:138], v[25:26], v[93:94], v[91:92]
	v_sub_co_u32 v91, vcc_lo, v147, v79
	v_sub_co_ci_u32_e64 v92, null, v148, v80, vcc_lo
	s_clause 0x3
	global_load_dwordx4 v[69:72], v[145:146], off
	global_load_dwordx4 v[25:28], v[145:146], off offset:16
	global_load_dwordx4 v[61:64], v[145:146], off offset:48
	;; [unrolled: 1-line block ×3, first 2 shown]
	v_lshlrev_b64 v[91:92], 6, v[91:92]
	v_add_co_u32 v147, vcc_lo, s2, v91
	s_waitcnt vmcnt(4)
	v_fma_f64 v[101:102], v[37:38], v[95:96], v[101:102]
	v_fma_f64 v[99:100], v[53:54], v[95:96], v[99:100]
	;; [unrolled: 1-line block ×4, first 2 shown]
	v_add_co_ci_u32_e64 v148, null, s3, v92, vcc_lo
	global_load_dwordx4 v[91:94], v[145:146], off offset:112
	v_fma_f64 v[151:152], -v[39:40], v[97:98], v[101:102]
	v_fma_f64 v[101:102], v[21:22], v[95:96], v[141:142]
	v_fma_f64 v[141:142], v[23:24], v[95:96], v[143:144]
	v_fma_f64 v[99:100], -v[55:56], v[97:98], v[99:100]
	v_fma_f64 v[103:104], v[53:54], v[97:98], v[103:104]
	global_load_dwordx4 v[53:56], v[145:146], off offset:96
	v_fma_f64 v[139:140], v[37:38], v[97:98], v[139:140]
	global_load_dwordx4 v[37:40], v[145:146], off offset:80
	v_fma_f64 v[143:144], -v[23:24], v[97:98], v[101:102]
	v_fma_f64 v[101:102], v[13:14], v[95:96], v[135:136]
	v_fma_f64 v[95:96], v[15:16], v[95:96], v[137:138]
	;; [unrolled: 1-line block ×3, first 2 shown]
	global_load_dwordx4 v[21:24], v[145:146], off offset:64
	v_fma_f64 v[135:136], -v[15:16], v[97:98], v[101:102]
	v_fma_f64 v[137:138], v[13:14], v[97:98], v[95:96]
	s_clause 0x1
	global_load_dwordx4 v[13:16], v[147:148], off
	global_load_dwordx4 v[95:98], v[147:148], off offset:16
	s_waitcnt vmcnt(1)
	v_fma_f64 v[99:100], v[115:116], v[13:14], v[99:100]
	v_fma_f64 v[101:102], v[117:118], v[13:14], v[103:104]
	;; [unrolled: 1-line block ×4, first 2 shown]
	v_fma_f64 v[103:104], -v[117:118], v[15:16], v[99:100]
	v_fma_f64 v[117:118], v[121:122], v[13:14], v[139:140]
	v_fma_f64 v[153:154], v[115:116], v[15:16], v[101:102]
	v_fma_f64 v[115:116], v[119:120], v[13:14], v[151:152]
	v_fma_f64 v[139:140], v[111:112], v[13:14], v[143:144]
	v_fma_f64 v[13:14], v[109:110], v[13:14], v[137:138]
	v_fma_f64 v[141:142], v[111:112], v[15:16], v[141:142]
	v_fma_f64 v[135:136], -v[109:110], v[15:16], v[135:136]
	global_load_dwordx4 v[99:102], v[145:146], off offset:176
	s_waitcnt vmcnt(1)
	v_fma_f64 v[103:104], v[49:50], v[95:96], v[103:104]
	v_fma_f64 v[119:120], v[119:120], v[15:16], v[117:118]
	;; [unrolled: 1-line block ×3, first 2 shown]
	v_fma_f64 v[121:122], -v[121:122], v[15:16], v[115:116]
	v_fma_f64 v[139:140], -v[113:114], v[15:16], v[139:140]
	v_fma_f64 v[137:138], v[107:108], v[15:16], v[13:14]
	s_clause 0x3
	global_load_dwordx4 v[115:118], v[145:146], off offset:160
	global_load_dwordx4 v[111:114], v[145:146], off offset:144
	;; [unrolled: 1-line block ×4, first 2 shown]
	v_fma_f64 v[103:104], -v[51:52], v[97:98], v[103:104]
	v_fma_f64 v[119:120], v[133:134], v[95:96], v[119:120]
	v_fma_f64 v[143:144], v[49:50], v[97:98], v[143:144]
	;; [unrolled: 1-line block ×3, first 2 shown]
	global_load_dwordx4 v[49:52], v[145:146], off offset:224
	v_fma_f64 v[153:154], v[131:132], v[97:98], v[119:120]
	v_fma_f64 v[131:132], v[127:128], v[95:96], v[139:140]
	v_fma_f64 v[151:152], -v[133:134], v[97:98], v[121:122]
	v_fma_f64 v[133:134], v[129:130], v[95:96], v[141:142]
	global_load_dwordx4 v[119:122], v[145:146], off offset:208
	v_fma_f64 v[139:140], -v[129:130], v[97:98], v[131:132]
	v_fma_f64 v[131:132], v[123:124], v[95:96], v[135:136]
	v_fma_f64 v[95:96], v[125:126], v[95:96], v[137:138]
	;; [unrolled: 1-line block ×3, first 2 shown]
	global_load_dwordx4 v[127:130], v[145:146], off offset:192
	v_fma_f64 v[135:136], -v[125:126], v[97:98], v[131:132]
	v_fma_f64 v[137:138], v[123:124], v[97:98], v[95:96]
	global_load_dwordx4 v[95:98], v[75:76], off
	s_clause 0x1
	global_load_dwordx4 v[123:126], v[147:148], off offset:32
	global_load_dwordx4 v[131:134], v[147:148], off offset:48
	s_waitcnt vmcnt(1)
	v_fma_f64 v[103:104], v[87:88], v[123:124], v[103:104]
	v_fma_f64 v[143:144], v[89:90], v[123:124], v[143:144]
	;; [unrolled: 1-line block ×3, first 2 shown]
	v_fma_f64 v[145:146], -v[89:90], v[125:126], v[103:104]
	v_fma_f64 v[103:104], v[9:10], v[123:124], v[151:152]
	v_fma_f64 v[143:144], v[87:88], v[125:126], v[143:144]
	;; [unrolled: 1-line block ×3, first 2 shown]
	global_load_dwordx4 v[87:90], v[75:76], off offset:48
	v_fma_f64 v[151:152], -v[11:12], v[125:126], v[103:104]
	v_fma_f64 v[103:104], v[17:18], v[123:124], v[139:140]
	v_fma_f64 v[139:140], v[19:20], v[123:124], v[141:142]
	s_waitcnt vmcnt(1)
	v_fma_f64 v[143:144], v[31:32], v[131:132], v[143:144]
	v_fma_f64 v[147:148], v[47:48], v[131:132], v[147:148]
	global_load_dwordx4 v[9:12], v[75:76], off offset:32
	v_fma_f64 v[141:142], -v[19:20], v[125:126], v[103:104]
	v_fma_f64 v[103:104], v[33:34], v[123:124], v[135:136]
	v_fma_f64 v[123:124], v[35:36], v[123:124], v[137:138]
	;; [unrolled: 1-line block ×3, first 2 shown]
	global_load_dwordx4 v[17:20], v[75:76], off offset:16
	v_fma_f64 v[143:144], v[29:30], v[133:134], v[143:144]
	v_fma_f64 v[147:148], v[45:46], v[133:134], v[147:148]
	v_fma_f64 v[135:136], -v[35:36], v[125:126], v[103:104]
	v_fma_f64 v[123:124], v[33:34], v[125:126], v[123:124]
	v_fma_f64 v[125:126], v[29:30], v[131:132], v[145:146]
	;; [unrolled: 1-line block ×3, first 2 shown]
	v_sub_co_u32 v103, vcc_lo, v105, v79
	v_sub_co_ci_u32_e64 v104, null, v106, v80, vcc_lo
	v_sub_co_u32 v105, vcc_lo, v149, v79
	v_sub_co_ci_u32_e64 v106, null, v150, v80, vcc_lo
	v_lshlrev_b64 v[103:104], 6, v[103:104]
	global_load_dwordx4 v[33:36], v[75:76], off offset:112
	v_lshlrev_b64 v[105:106], 6, v[105:106]
	v_add_co_u32 v137, vcc_lo, s2, v103
	v_add_co_ci_u32_e64 v138, null, s3, v104, vcc_lo
	v_add_co_u32 v149, vcc_lo, s2, v105
	v_fma_f64 v[145:146], -v[31:32], v[133:134], v[125:126]
	v_fma_f64 v[125:126], v[45:46], v[131:132], v[151:152]
	v_fma_f64 v[123:124], v[67:68], v[131:132], v[123:124]
	v_add_co_ci_u32_e64 v150, null, s3, v106, vcc_lo
	s_clause 0x1
	global_load_dwordx4 v[103:106], v[75:76], off offset:96
	global_load_dwordx4 v[29:32], v[75:76], off offset:80
	v_fma_f64 v[139:140], v[57:58], v[133:134], v[139:140]
	v_add_co_u32 v81, vcc_lo, 0x100, v81
	v_add_co_ci_u32_e64 v82, null, 0, v82, vcc_lo
	v_add_co_u32 v73, vcc_lo, 0x800, v73
	v_add_co_ci_u32_e64 v74, null, 0, v74, vcc_lo
	v_cmp_ge_i64_e32 vcc_lo, v[81:82], v[83:84]
	s_or_b32 s7, vcc_lo, s7
	v_fma_f64 v[151:152], -v[47:48], v[133:134], v[125:126]
	v_fma_f64 v[125:126], v[57:58], v[131:132], v[141:142]
	global_load_dwordx4 v[45:48], v[75:76], off offset:64
	v_fma_f64 v[141:142], -v[59:60], v[133:134], v[125:126]
	v_fma_f64 v[125:126], v[65:66], v[131:132], v[135:136]
	global_load_dwordx4 v[57:60], v[75:76], off offset:176
	v_fma_f64 v[131:132], -v[67:68], v[133:134], v[125:126]
	v_fma_f64 v[133:134], v[65:66], v[133:134], v[123:124]
	s_clause 0x1
	global_load_dwordx4 v[65:68], v[137:138], off
	global_load_dwordx4 v[123:126], v[137:138], off offset:16
	s_waitcnt vmcnt(1)
	v_fma_f64 v[135:136], v[69:70], v[65:66], v[145:146]
	v_fma_f64 v[143:144], v[71:72], v[65:66], v[143:144]
	;; [unrolled: 1-line block ×8, first 2 shown]
	v_fma_f64 v[135:136], -v[71:72], v[67:68], v[135:136]
	v_fma_f64 v[143:144], v[69:70], v[67:68], v[143:144]
	global_load_dwordx4 v[69:72], v[137:138], off offset:32
	v_fma_f64 v[141:142], -v[43:44], v[67:68], v[141:142]
	v_fma_f64 v[139:140], v[41:42], v[67:68], v[139:140]
	global_load_dwordx4 v[41:44], v[137:138], off offset:48
	v_fma_f64 v[145:146], -v[27:28], v[67:68], v[145:146]
	v_fma_f64 v[147:148], v[25:26], v[67:68], v[147:148]
	global_load_dwordx4 v[25:28], v[75:76], off offset:160
	v_fma_f64 v[131:132], -v[63:64], v[67:68], v[131:132]
	v_fma_f64 v[133:134], v[61:62], v[67:68], v[65:66]
	s_clause 0x1
	global_load_dwordx4 v[61:64], v[149:150], off offset:16
	global_load_dwordx4 v[65:68], v[149:150], off
	s_waitcnt vmcnt(5)
	v_fma_f64 v[135:136], v[21:22], v[123:124], v[135:136]
	v_fma_f64 v[137:138], v[23:24], v[123:124], v[143:144]
	;; [unrolled: 1-line block ×8, first 2 shown]
	v_fma_f64 v[135:136], -v[23:24], v[125:126], v[135:136]
	v_fma_f64 v[137:138], v[21:22], v[125:126], v[137:138]
	global_load_dwordx4 v[21:24], v[75:76], off offset:144
	v_fma_f64 v[141:142], -v[55:56], v[125:126], v[141:142]
	v_fma_f64 v[139:140], v[53:54], v[125:126], v[139:140]
	global_load_dwordx4 v[53:56], v[75:76], off offset:208
	;; [unrolled: 3-line block ×4, first 2 shown]
	s_clause 0x1
	global_load_dwordx4 v[123:126], v[149:150], off offset:48
	global_load_dwordx4 v[131:134], v[149:150], off offset:32
	s_waitcnt vmcnt(10)
	v_fma_f64 v[135:136], v[13:14], v[69:70], v[135:136]
	v_fma_f64 v[137:138], v[15:16], v[69:70], v[137:138]
	;; [unrolled: 1-line block ×5, first 2 shown]
	v_fma_f64 v[135:136], -v[15:16], v[71:72], v[135:136]
	v_fma_f64 v[137:138], v[13:14], v[71:72], v[137:138]
	global_load_dwordx4 v[13:16], v[75:76], off offset:224
	v_fma_f64 v[143:144], -v[113:114], v[71:72], v[143:144]
	v_fma_f64 v[145:146], v[111:112], v[71:72], v[145:146]
	global_load_dwordx4 v[111:114], v[75:76], off offset:240
	v_fma_f64 v[75:76], v[115:116], v[69:70], v[141:142]
	v_fma_f64 v[141:142], v[99:100], v[69:70], v[147:148]
	;; [unrolled: 1-line block ×4, first 2 shown]
	v_fma_f64 v[75:76], -v[117:118], v[71:72], v[75:76]
	v_fma_f64 v[101:102], -v[101:102], v[71:72], v[141:142]
	v_fma_f64 v[69:70], v[99:100], v[71:72], v[69:70]
	s_waitcnt vmcnt(11)
	v_fma_f64 v[71:72], v[127:128], v[41:42], v[135:136]
	v_fma_f64 v[99:100], v[129:130], v[41:42], v[137:138]
	;; [unrolled: 1-line block ×8, first 2 shown]
	v_fma_f64 v[69:70], -v[129:130], v[43:44], v[71:72]
	v_fma_f64 v[71:72], v[127:128], v[43:44], v[99:100]
	v_fma_f64 v[99:100], -v[121:122], v[43:44], v[117:118]
	v_fma_f64 v[117:118], v[119:120], v[43:44], v[135:136]
	v_fma_f64 v[49:50], v[49:50], v[43:44], v[115:116]
	v_fma_f64 v[51:52], -v[51:52], v[43:44], v[75:76]
	v_fma_f64 v[75:76], -v[109:110], v[43:44], v[101:102]
	v_fma_f64 v[41:42], v[107:108], v[43:44], v[41:42]
	s_waitcnt vmcnt(8)
	v_fma_f64 v[43:44], v[95:96], v[65:66], v[69:70]
	v_fma_f64 v[69:70], v[97:98], v[65:66], v[71:72]
	v_fma_f64 v[71:72], v[17:18], v[65:66], v[99:100]
	v_fma_f64 v[99:100], v[19:20], v[65:66], v[117:118]
	v_fma_f64 v[49:50], v[11:12], v[65:66], v[49:50]
	v_fma_f64 v[51:52], v[9:10], v[65:66], v[51:52]
	v_fma_f64 v[75:76], v[87:88], v[65:66], v[75:76]
	v_fma_f64 v[41:42], v[89:90], v[65:66], v[41:42]
	v_fma_f64 v[43:44], -v[97:98], v[67:68], v[43:44]
	v_fma_f64 v[65:66], v[95:96], v[67:68], v[69:70]
	v_fma_f64 v[19:20], -v[19:20], v[67:68], v[71:72]
	v_fma_f64 v[17:18], v[17:18], v[67:68], v[99:100]
	v_fma_f64 v[9:10], v[9:10], v[67:68], v[49:50]
	v_fma_f64 v[11:12], -v[11:12], v[67:68], v[51:52]
	v_fma_f64 v[49:50], -v[89:90], v[67:68], v[75:76]
	v_fma_f64 v[41:42], v[87:88], v[67:68], v[41:42]
	v_fma_f64 v[43:44], v[45:46], v[61:62], v[43:44]
	;; [unrolled: 1-line block ×9, first 2 shown]
	v_fma_f64 v[43:44], -v[47:48], v[63:64], v[43:44]
	v_fma_f64 v[45:46], v[45:46], v[63:64], v[51:52]
	v_fma_f64 v[19:20], -v[31:32], v[63:64], v[19:20]
	v_fma_f64 v[17:18], v[29:30], v[63:64], v[17:18]
	v_fma_f64 v[9:10], v[103:104], v[63:64], v[9:10]
	v_fma_f64 v[11:12], -v[105:106], v[63:64], v[11:12]
	v_fma_f64 v[29:30], -v[35:36], v[63:64], v[49:50]
	v_fma_f64 v[31:32], v[33:34], v[63:64], v[41:42]
	s_waitcnt vmcnt(2)
	v_fma_f64 v[33:34], v[37:38], v[131:132], v[43:44]
	v_fma_f64 v[35:36], v[39:40], v[131:132], v[45:46]
	;; [unrolled: 1-line block ×8, first 2 shown]
	v_fma_f64 v[33:34], -v[39:40], v[133:134], v[33:34]
	v_fma_f64 v[35:36], v[37:38], v[133:134], v[35:36]
	v_fma_f64 v[19:20], -v[23:24], v[133:134], v[19:20]
	v_fma_f64 v[17:18], v[21:22], v[133:134], v[17:18]
	v_fma_f64 v[9:10], v[25:26], v[133:134], v[9:10]
	v_fma_f64 v[11:12], -v[27:28], v[133:134], v[11:12]
	v_fma_f64 v[21:22], -v[59:60], v[133:134], v[29:30]
	v_fma_f64 v[23:24], v[57:58], v[133:134], v[31:32]
	v_fma_f64 v[25:26], v[91:92], v[123:124], v[33:34]
	;; [unrolled: 1-line block ×5, first 2 shown]
	v_fma_f64 v[99:100], -v[93:94], v[125:126], v[25:26]
	v_fma_f64 v[97:98], v[91:92], v[125:126], v[27:28]
	v_fma_f64 v[101:102], -v[55:56], v[125:126], v[19:20]
	v_fma_f64 v[91:92], v[53:54], v[125:126], v[17:18]
	s_waitcnt vmcnt(1)
	v_fma_f64 v[11:12], v[13:14], v[123:124], v[11:12]
	v_fma_f64 v[9:10], v[15:16], v[123:124], v[9:10]
	s_waitcnt vmcnt(0)
	v_fma_f64 v[21:22], v[111:112], v[123:124], v[21:22]
	v_fma_f64 v[23:24], v[113:114], v[123:124], v[23:24]
	v_fma_f64 v[95:96], -v[15:16], v[125:126], v[11:12]
	v_fma_f64 v[93:94], v[13:14], v[125:126], v[9:10]
	v_fma_f64 v[87:88], -v[113:114], v[125:126], v[21:22]
	v_fma_f64 v[89:90], v[111:112], v[125:126], v[23:24]
	s_andn2_b32 exec_lo, exec_lo, s7
	s_cbranch_execnz .LBB59_33
; %bb.34:
	s_or_b32 exec_lo, exec_lo, s7
.LBB59_35:
	s_or_b32 exec_lo, exec_lo, s6
.LBB59_36:
	s_or_b32 exec_lo, exec_lo, s1
.LBB59_37:
	v_mbcnt_lo_u32_b32 v41, -1, 0
	v_or_b32_e32 v9, 32, v41
	v_xor_b32_e32 v25, 16, v41
	v_cmp_gt_i32_e32 vcc_lo, 32, v9
	v_cndmask_b32_e32 v9, v41, v9, vcc_lo
	v_cmp_gt_i32_e32 vcc_lo, 32, v25
	v_lshlrev_b32_e32 v24, 2, v9
	v_cndmask_b32_e32 v25, v41, v25, vcc_lo
	ds_bpermute_b32 v9, v24, v99
	ds_bpermute_b32 v10, v24, v100
	;; [unrolled: 1-line block ×16, first 2 shown]
	v_lshlrev_b32_e32 v40, 2, v25
	s_waitcnt lgkmcnt(14)
	v_add_f64 v[9:10], v[99:100], v[9:10]
	s_waitcnt lgkmcnt(12)
	v_add_f64 v[11:12], v[97:98], v[11:12]
	;; [unrolled: 2-line block ×8, first 2 shown]
	ds_bpermute_b32 v25, v40, v9
	ds_bpermute_b32 v26, v40, v10
	ds_bpermute_b32 v27, v40, v11
	ds_bpermute_b32 v28, v40, v12
	ds_bpermute_b32 v29, v40, v13
	ds_bpermute_b32 v30, v40, v14
	ds_bpermute_b32 v31, v40, v15
	ds_bpermute_b32 v32, v40, v16
	ds_bpermute_b32 v33, v40, v17
	ds_bpermute_b32 v34, v40, v18
	ds_bpermute_b32 v35, v40, v19
	ds_bpermute_b32 v36, v40, v20
	ds_bpermute_b32 v37, v40, v21
	ds_bpermute_b32 v38, v40, v22
	ds_bpermute_b32 v39, v40, v23
	ds_bpermute_b32 v40, v40, v24
	s_waitcnt lgkmcnt(14)
	v_add_f64 v[9:10], v[9:10], v[25:26]
	v_xor_b32_e32 v25, 8, v41
	s_waitcnt lgkmcnt(12)
	v_add_f64 v[11:12], v[11:12], v[27:28]
	s_waitcnt lgkmcnt(10)
	v_add_f64 v[13:14], v[13:14], v[29:30]
	v_cmp_gt_i32_e32 vcc_lo, 32, v25
	s_waitcnt lgkmcnt(8)
	v_add_f64 v[15:16], v[15:16], v[31:32]
	s_waitcnt lgkmcnt(6)
	v_add_f64 v[17:18], v[17:18], v[33:34]
	s_waitcnt lgkmcnt(4)
	v_add_f64 v[19:20], v[19:20], v[35:36]
	v_cndmask_b32_e32 v25, v41, v25, vcc_lo
	s_waitcnt lgkmcnt(2)
	v_add_f64 v[21:22], v[21:22], v[37:38]
	s_waitcnt lgkmcnt(0)
	v_add_f64 v[23:24], v[23:24], v[39:40]
	v_lshlrev_b32_e32 v40, 2, v25
	ds_bpermute_b32 v25, v40, v9
	ds_bpermute_b32 v26, v40, v10
	ds_bpermute_b32 v27, v40, v11
	ds_bpermute_b32 v28, v40, v12
	ds_bpermute_b32 v29, v40, v13
	ds_bpermute_b32 v30, v40, v14
	ds_bpermute_b32 v31, v40, v15
	ds_bpermute_b32 v32, v40, v16
	ds_bpermute_b32 v33, v40, v17
	ds_bpermute_b32 v34, v40, v18
	ds_bpermute_b32 v35, v40, v19
	ds_bpermute_b32 v36, v40, v20
	ds_bpermute_b32 v37, v40, v21
	ds_bpermute_b32 v38, v40, v22
	ds_bpermute_b32 v39, v40, v23
	ds_bpermute_b32 v40, v40, v24
	s_waitcnt lgkmcnt(14)
	v_add_f64 v[9:10], v[9:10], v[25:26]
	v_xor_b32_e32 v25, 4, v41
	s_waitcnt lgkmcnt(12)
	v_add_f64 v[11:12], v[11:12], v[27:28]
	s_waitcnt lgkmcnt(10)
	v_add_f64 v[13:14], v[13:14], v[29:30]
	v_cmp_gt_i32_e32 vcc_lo, 32, v25
	s_waitcnt lgkmcnt(8)
	v_add_f64 v[15:16], v[15:16], v[31:32]
	s_waitcnt lgkmcnt(6)
	v_add_f64 v[17:18], v[17:18], v[33:34]
	s_waitcnt lgkmcnt(4)
	v_add_f64 v[19:20], v[19:20], v[35:36]
	v_cndmask_b32_e32 v25, v41, v25, vcc_lo
	s_waitcnt lgkmcnt(2)
	v_add_f64 v[21:22], v[21:22], v[37:38]
	s_waitcnt lgkmcnt(0)
	v_add_f64 v[23:24], v[23:24], v[39:40]
	v_lshlrev_b32_e32 v40, 2, v25
	;; [unrolled: 36-line block ×3, first 2 shown]
	ds_bpermute_b32 v23, v40, v9
	ds_bpermute_b32 v24, v40, v10
	;; [unrolled: 1-line block ×16, first 2 shown]
	s_waitcnt lgkmcnt(14)
	v_add_f64 v[9:10], v[9:10], v[23:24]
	s_waitcnt lgkmcnt(12)
	v_add_f64 v[27:28], v[11:12], v[27:28]
	;; [unrolled: 2-line block ×3, first 2 shown]
	v_xor_b32_e32 v29, 1, v41
	s_waitcnt lgkmcnt(8)
	v_add_f64 v[23:24], v[15:16], v[31:32]
	s_waitcnt lgkmcnt(6)
	v_add_f64 v[13:14], v[17:18], v[33:34]
	v_cmp_gt_i32_e32 vcc_lo, 32, v29
	s_waitcnt lgkmcnt(4)
	v_add_f64 v[17:18], v[19:20], v[35:36]
	s_waitcnt lgkmcnt(2)
	v_add_f64 v[15:16], v[21:22], v[37:38]
	;; [unrolled: 2-line block ×3, first 2 shown]
	v_cndmask_b32_e32 v29, v41, v29, vcc_lo
	v_cmp_eq_u32_e32 vcc_lo, 63, v0
	v_lshlrev_b32_e32 v34, 2, v29
	ds_bpermute_b32 v21, v34, v9
	ds_bpermute_b32 v22, v34, v10
	ds_bpermute_b32 v39, v34, v27
	ds_bpermute_b32 v40, v34, v28
	ds_bpermute_b32 v25, v34, v11
	ds_bpermute_b32 v26, v34, v12
	ds_bpermute_b32 v37, v34, v23
	ds_bpermute_b32 v38, v34, v24
	ds_bpermute_b32 v29, v34, v13
	ds_bpermute_b32 v30, v34, v14
	ds_bpermute_b32 v35, v34, v17
	ds_bpermute_b32 v36, v34, v18
	ds_bpermute_b32 v31, v34, v15
	ds_bpermute_b32 v32, v34, v16
	ds_bpermute_b32 v33, v34, v19
	ds_bpermute_b32 v34, v34, v20
	s_and_b32 exec_lo, exec_lo, vcc_lo
	s_cbranch_execz .LBB59_8
; %bb.38:
	s_waitcnt lgkmcnt(12)
	v_add_f64 v[27:28], v[27:28], v[39:40]
	s_waitcnt lgkmcnt(8)
	v_add_f64 v[23:24], v[23:24], v[37:38]
	;; [unrolled: 2-line block ×4, first 2 shown]
	v_add_f64 v[9:10], v[9:10], v[21:22]
	v_add_f64 v[11:12], v[11:12], v[25:26]
	;; [unrolled: 1-line block ×4, first 2 shown]
	v_cmp_eq_f64_e32 vcc_lo, 0, v[1:2]
	v_cmp_eq_f64_e64 s0, 0, v[3:4]
	s_load_dwordx2 s[2:3], s[4:5], 0x68
	v_mul_f64 v[13:14], v[27:28], -v[7:8]
	v_mul_f64 v[15:16], v[5:6], v[27:28]
	v_mul_f64 v[27:28], v[23:24], -v[7:8]
	v_mul_f64 v[23:24], v[5:6], v[23:24]
	;; [unrolled: 2-line block ×4, first 2 shown]
	s_and_b32 s0, vcc_lo, s0
	v_fma_f64 v[17:18], v[5:6], v[9:10], v[13:14]
	v_fma_f64 v[19:20], v[7:8], v[9:10], v[15:16]
	;; [unrolled: 1-line block ×8, first 2 shown]
	v_lshlrev_b64 v[21:22], 6, v[77:78]
	s_and_saveexec_b32 s1, s0
	s_xor_b32 s0, exec_lo, s1
	s_cbranch_execz .LBB59_40
; %bb.39:
	s_waitcnt lgkmcnt(0)
	v_add_co_u32 v0, vcc_lo, s2, v21
	v_add_co_ci_u32_e64 v1, null, s3, v22, vcc_lo
                                        ; implicit-def: $vgpr21_vgpr22
	global_store_dwordx4 v[0:1], v[17:20], off
	global_store_dwordx4 v[0:1], v[13:16], off offset:16
	global_store_dwordx4 v[0:1], v[9:12], off offset:32
	;; [unrolled: 1-line block ×3, first 2 shown]
                                        ; implicit-def: $vgpr3_vgpr4
                                        ; implicit-def: $vgpr17_vgpr18
                                        ; implicit-def: $vgpr13_vgpr14
                                        ; implicit-def: $vgpr9_vgpr10
                                        ; implicit-def: $vgpr5_vgpr6
.LBB59_40:
	s_andn2_saveexec_b32 s0, s0
	s_cbranch_execz .LBB59_8
; %bb.41:
	s_waitcnt lgkmcnt(0)
	v_add_co_u32 v37, vcc_lo, s2, v21
	v_add_co_ci_u32_e64 v38, null, s3, v22, vcc_lo
	s_clause 0x3
	global_load_dwordx4 v[21:24], v[37:38], off
	global_load_dwordx4 v[25:28], v[37:38], off offset:16
	global_load_dwordx4 v[29:32], v[37:38], off offset:32
	;; [unrolled: 1-line block ×3, first 2 shown]
	s_waitcnt vmcnt(3)
	v_fma_f64 v[17:18], v[1:2], v[21:22], v[17:18]
	v_fma_f64 v[19:20], v[3:4], v[21:22], v[19:20]
	s_waitcnt vmcnt(2)
	v_fma_f64 v[13:14], v[1:2], v[25:26], v[13:14]
	v_fma_f64 v[15:16], v[3:4], v[25:26], v[15:16]
	s_waitcnt vmcnt(1)
	v_fma_f64 v[21:22], v[1:2], v[29:30], v[9:10]
	v_fma_f64 v[25:26], v[3:4], v[29:30], v[11:12]
	s_waitcnt vmcnt(0)
	v_fma_f64 v[29:30], v[1:2], v[33:34], v[5:6]
	v_fma_f64 v[33:34], v[3:4], v[33:34], v[7:8]
	v_fma_f64 v[5:6], -v[3:4], v[23:24], v[17:18]
	v_fma_f64 v[7:8], v[1:2], v[23:24], v[19:20]
	v_fma_f64 v[9:10], -v[3:4], v[27:28], v[13:14]
	v_fma_f64 v[11:12], v[1:2], v[27:28], v[15:16]
	;; [unrolled: 2-line block ×4, first 2 shown]
	global_store_dwordx4 v[37:38], v[5:8], off
	global_store_dwordx4 v[37:38], v[9:12], off offset:16
	global_store_dwordx4 v[37:38], v[13:16], off offset:32
	;; [unrolled: 1-line block ×3, first 2 shown]
	s_endpgm
	.section	.rodata,"a",@progbits
	.p2align	6, 0x0
	.amdhsa_kernel _ZN9rocsparseL18bsrxmvn_4x4_kernelILj128ELj64E21rocsparse_complex_numIdEllS2_S2_S2_EEvT3_20rocsparse_direction_NS_24const_host_device_scalarIT1_EES3_PKS3_PKT2_SC_S9_PKT4_PKT5_S7_PT6_21rocsparse_index_base_b
		.amdhsa_group_segment_fixed_size 0
		.amdhsa_private_segment_fixed_size 0
		.amdhsa_kernarg_size 120
		.amdhsa_user_sgpr_count 6
		.amdhsa_user_sgpr_private_segment_buffer 1
		.amdhsa_user_sgpr_dispatch_ptr 0
		.amdhsa_user_sgpr_queue_ptr 0
		.amdhsa_user_sgpr_kernarg_segment_ptr 1
		.amdhsa_user_sgpr_dispatch_id 0
		.amdhsa_user_sgpr_flat_scratch_init 0
		.amdhsa_user_sgpr_private_segment_size 0
		.amdhsa_wavefront_size32 1
		.amdhsa_uses_dynamic_stack 0
		.amdhsa_system_sgpr_private_segment_wavefront_offset 0
		.amdhsa_system_sgpr_workgroup_id_x 1
		.amdhsa_system_sgpr_workgroup_id_y 0
		.amdhsa_system_sgpr_workgroup_id_z 0
		.amdhsa_system_sgpr_workgroup_info 0
		.amdhsa_system_vgpr_workitem_id 0
		.amdhsa_next_free_vgpr 179
		.amdhsa_next_free_sgpr 16
		.amdhsa_reserve_vcc 1
		.amdhsa_reserve_flat_scratch 0
		.amdhsa_float_round_mode_32 0
		.amdhsa_float_round_mode_16_64 0
		.amdhsa_float_denorm_mode_32 3
		.amdhsa_float_denorm_mode_16_64 3
		.amdhsa_dx10_clamp 1
		.amdhsa_ieee_mode 1
		.amdhsa_fp16_overflow 0
		.amdhsa_workgroup_processor_mode 1
		.amdhsa_memory_ordered 1
		.amdhsa_forward_progress 1
		.amdhsa_shared_vgpr_count 0
		.amdhsa_exception_fp_ieee_invalid_op 0
		.amdhsa_exception_fp_denorm_src 0
		.amdhsa_exception_fp_ieee_div_zero 0
		.amdhsa_exception_fp_ieee_overflow 0
		.amdhsa_exception_fp_ieee_underflow 0
		.amdhsa_exception_fp_ieee_inexact 0
		.amdhsa_exception_int_div_zero 0
	.end_amdhsa_kernel
	.section	.text._ZN9rocsparseL18bsrxmvn_4x4_kernelILj128ELj64E21rocsparse_complex_numIdEllS2_S2_S2_EEvT3_20rocsparse_direction_NS_24const_host_device_scalarIT1_EES3_PKS3_PKT2_SC_S9_PKT4_PKT5_S7_PT6_21rocsparse_index_base_b,"axG",@progbits,_ZN9rocsparseL18bsrxmvn_4x4_kernelILj128ELj64E21rocsparse_complex_numIdEllS2_S2_S2_EEvT3_20rocsparse_direction_NS_24const_host_device_scalarIT1_EES3_PKS3_PKT2_SC_S9_PKT4_PKT5_S7_PT6_21rocsparse_index_base_b,comdat
.Lfunc_end59:
	.size	_ZN9rocsparseL18bsrxmvn_4x4_kernelILj128ELj64E21rocsparse_complex_numIdEllS2_S2_S2_EEvT3_20rocsparse_direction_NS_24const_host_device_scalarIT1_EES3_PKS3_PKT2_SC_S9_PKT4_PKT5_S7_PT6_21rocsparse_index_base_b, .Lfunc_end59-_ZN9rocsparseL18bsrxmvn_4x4_kernelILj128ELj64E21rocsparse_complex_numIdEllS2_S2_S2_EEvT3_20rocsparse_direction_NS_24const_host_device_scalarIT1_EES3_PKS3_PKT2_SC_S9_PKT4_PKT5_S7_PT6_21rocsparse_index_base_b
                                        ; -- End function
	.set _ZN9rocsparseL18bsrxmvn_4x4_kernelILj128ELj64E21rocsparse_complex_numIdEllS2_S2_S2_EEvT3_20rocsparse_direction_NS_24const_host_device_scalarIT1_EES3_PKS3_PKT2_SC_S9_PKT4_PKT5_S7_PT6_21rocsparse_index_base_b.num_vgpr, 179
	.set _ZN9rocsparseL18bsrxmvn_4x4_kernelILj128ELj64E21rocsparse_complex_numIdEllS2_S2_S2_EEvT3_20rocsparse_direction_NS_24const_host_device_scalarIT1_EES3_PKS3_PKT2_SC_S9_PKT4_PKT5_S7_PT6_21rocsparse_index_base_b.num_agpr, 0
	.set _ZN9rocsparseL18bsrxmvn_4x4_kernelILj128ELj64E21rocsparse_complex_numIdEllS2_S2_S2_EEvT3_20rocsparse_direction_NS_24const_host_device_scalarIT1_EES3_PKS3_PKT2_SC_S9_PKT4_PKT5_S7_PT6_21rocsparse_index_base_b.numbered_sgpr, 16
	.set _ZN9rocsparseL18bsrxmvn_4x4_kernelILj128ELj64E21rocsparse_complex_numIdEllS2_S2_S2_EEvT3_20rocsparse_direction_NS_24const_host_device_scalarIT1_EES3_PKS3_PKT2_SC_S9_PKT4_PKT5_S7_PT6_21rocsparse_index_base_b.num_named_barrier, 0
	.set _ZN9rocsparseL18bsrxmvn_4x4_kernelILj128ELj64E21rocsparse_complex_numIdEllS2_S2_S2_EEvT3_20rocsparse_direction_NS_24const_host_device_scalarIT1_EES3_PKS3_PKT2_SC_S9_PKT4_PKT5_S7_PT6_21rocsparse_index_base_b.private_seg_size, 0
	.set _ZN9rocsparseL18bsrxmvn_4x4_kernelILj128ELj64E21rocsparse_complex_numIdEllS2_S2_S2_EEvT3_20rocsparse_direction_NS_24const_host_device_scalarIT1_EES3_PKS3_PKT2_SC_S9_PKT4_PKT5_S7_PT6_21rocsparse_index_base_b.uses_vcc, 1
	.set _ZN9rocsparseL18bsrxmvn_4x4_kernelILj128ELj64E21rocsparse_complex_numIdEllS2_S2_S2_EEvT3_20rocsparse_direction_NS_24const_host_device_scalarIT1_EES3_PKS3_PKT2_SC_S9_PKT4_PKT5_S7_PT6_21rocsparse_index_base_b.uses_flat_scratch, 0
	.set _ZN9rocsparseL18bsrxmvn_4x4_kernelILj128ELj64E21rocsparse_complex_numIdEllS2_S2_S2_EEvT3_20rocsparse_direction_NS_24const_host_device_scalarIT1_EES3_PKS3_PKT2_SC_S9_PKT4_PKT5_S7_PT6_21rocsparse_index_base_b.has_dyn_sized_stack, 0
	.set _ZN9rocsparseL18bsrxmvn_4x4_kernelILj128ELj64E21rocsparse_complex_numIdEllS2_S2_S2_EEvT3_20rocsparse_direction_NS_24const_host_device_scalarIT1_EES3_PKS3_PKT2_SC_S9_PKT4_PKT5_S7_PT6_21rocsparse_index_base_b.has_recursion, 0
	.set _ZN9rocsparseL18bsrxmvn_4x4_kernelILj128ELj64E21rocsparse_complex_numIdEllS2_S2_S2_EEvT3_20rocsparse_direction_NS_24const_host_device_scalarIT1_EES3_PKS3_PKT2_SC_S9_PKT4_PKT5_S7_PT6_21rocsparse_index_base_b.has_indirect_call, 0
	.section	.AMDGPU.csdata,"",@progbits
; Kernel info:
; codeLenInByte = 11504
; TotalNumSgprs: 18
; NumVgprs: 179
; ScratchSize: 0
; MemoryBound: 1
; FloatMode: 240
; IeeeMode: 1
; LDSByteSize: 0 bytes/workgroup (compile time only)
; SGPRBlocks: 0
; VGPRBlocks: 22
; NumSGPRsForWavesPerEU: 18
; NumVGPRsForWavesPerEU: 179
; Occupancy: 5
; WaveLimiterHint : 1
; COMPUTE_PGM_RSRC2:SCRATCH_EN: 0
; COMPUTE_PGM_RSRC2:USER_SGPR: 6
; COMPUTE_PGM_RSRC2:TRAP_HANDLER: 0
; COMPUTE_PGM_RSRC2:TGID_X_EN: 1
; COMPUTE_PGM_RSRC2:TGID_Y_EN: 0
; COMPUTE_PGM_RSRC2:TGID_Z_EN: 0
; COMPUTE_PGM_RSRC2:TIDIG_COMP_CNT: 0
	.section	.text._ZN9rocsparseL18bsrxmvn_4x4_kernelILj128ELj4EiiiaaiEEvT3_20rocsparse_direction_NS_24const_host_device_scalarIT1_EES1_PKS1_PKT2_SA_S7_PKT4_PKT5_S5_PT6_21rocsparse_index_base_b,"axG",@progbits,_ZN9rocsparseL18bsrxmvn_4x4_kernelILj128ELj4EiiiaaiEEvT3_20rocsparse_direction_NS_24const_host_device_scalarIT1_EES1_PKS1_PKT2_SA_S7_PKT4_PKT5_S5_PT6_21rocsparse_index_base_b,comdat
	.globl	_ZN9rocsparseL18bsrxmvn_4x4_kernelILj128ELj4EiiiaaiEEvT3_20rocsparse_direction_NS_24const_host_device_scalarIT1_EES1_PKS1_PKT2_SA_S7_PKT4_PKT5_S5_PT6_21rocsparse_index_base_b ; -- Begin function _ZN9rocsparseL18bsrxmvn_4x4_kernelILj128ELj4EiiiaaiEEvT3_20rocsparse_direction_NS_24const_host_device_scalarIT1_EES1_PKS1_PKT2_SA_S7_PKT4_PKT5_S5_PT6_21rocsparse_index_base_b
	.p2align	8
	.type	_ZN9rocsparseL18bsrxmvn_4x4_kernelILj128ELj4EiiiaaiEEvT3_20rocsparse_direction_NS_24const_host_device_scalarIT1_EES1_PKS1_PKT2_SA_S7_PKT4_PKT5_S5_PT6_21rocsparse_index_base_b,@function
_ZN9rocsparseL18bsrxmvn_4x4_kernelILj128ELj4EiiiaaiEEvT3_20rocsparse_direction_NS_24const_host_device_scalarIT1_EES1_PKS1_PKT2_SA_S7_PKT4_PKT5_S5_PT6_21rocsparse_index_base_b: ; @_ZN9rocsparseL18bsrxmvn_4x4_kernelILj128ELj4EiiiaaiEEvT3_20rocsparse_direction_NS_24const_host_device_scalarIT1_EES1_PKS1_PKT2_SA_S7_PKT4_PKT5_S5_PT6_21rocsparse_index_base_b
; %bb.0:
	s_clause 0x1
	s_load_dwordx2 s[16:17], s[4:5], 0x58
	s_load_dwordx2 s[2:3], s[4:5], 0x8
	s_mov_b32 s8, -1
	s_waitcnt lgkmcnt(0)
	s_bitcmp1_b32 s17, 0
                                        ; implicit-def: $sgpr17
	s_cselect_b32 s0, -1, 0
	s_xor_b32 s7, s0, -1
	s_and_b32 vcc_lo, exec_lo, s7
	s_cbranch_vccnz .LBB60_4
; %bb.1:
	s_load_dwordx2 s[0:1], s[4:5], 0x48
	s_andn2_b32 vcc_lo, exec_lo, s8
	s_cbranch_vccz .LBB60_5
.LBB60_2:
	s_and_b32 vcc_lo, exec_lo, s7
	s_cbranch_vccz .LBB60_6
.LBB60_3:
	s_waitcnt lgkmcnt(0)
	s_load_dword s18, s[0:1], 0x0
	s_cbranch_execz .LBB60_7
	s_branch .LBB60_8
.LBB60_4:
	s_load_dword s17, s[2:3], 0x0
	s_load_dwordx2 s[0:1], s[4:5], 0x48
	s_cbranch_execnz .LBB60_2
.LBB60_5:
	s_waitcnt lgkmcnt(0)
	s_mov_b32 s17, s2
	s_and_b32 vcc_lo, exec_lo, s7
	s_cbranch_vccnz .LBB60_3
.LBB60_6:
	s_waitcnt lgkmcnt(0)
                                        ; implicit-def: $sgpr18
.LBB60_7:
	s_waitcnt lgkmcnt(0)
	s_mov_b32 s18, s0
.LBB60_8:
	s_cmp_lg_u32 s17, 0
	s_mov_b32 s7, 0
	s_cselect_b32 s0, -1, 0
	s_waitcnt lgkmcnt(0)
	s_cmp_lg_u32 s18, 1
	s_cselect_b32 s1, -1, 0
	s_or_b32 s0, s0, s1
	s_andn2_b32 vcc_lo, exec_lo, s0
	s_cbranch_vccnz .LBB60_14
; %bb.9:
	s_clause 0x1
	s_load_dwordx2 s[2:3], s[4:5], 0x18
	s_load_dwordx2 s[0:1], s[4:5], 0x0
	v_lshrrev_b32_e32 v1, 2, v0
	v_lshl_or_b32 v3, s6, 5, v1
	s_waitcnt lgkmcnt(0)
	s_cmp_lg_u64 s[2:3], 0
	s_cbranch_scc0 .LBB60_15
; %bb.10:
	s_load_dword s6, s[4:5], 0x10
                                        ; implicit-def: $vgpr1
	s_waitcnt lgkmcnt(0)
	v_cmp_gt_i32_e32 vcc_lo, s6, v3
	s_mov_b32 s6, 0
	s_and_saveexec_b32 s8, vcc_lo
	s_xor_b32 s8, exec_lo, s8
	s_cbranch_execz .LBB60_12
; %bb.11:
	v_ashrrev_i32_e32 v4, 31, v3
	s_mov_b32 s7, exec_lo
	v_lshlrev_b64 v[1:2], 2, v[3:4]
	v_add_co_u32 v1, vcc_lo, s2, v1
	v_add_co_ci_u32_e64 v2, null, s3, v2, vcc_lo
	global_load_dword v1, v[1:2], off
	s_waitcnt vmcnt(0)
	v_subrev_nc_u32_e32 v1, s16, v1
.LBB60_12:
	s_or_b32 exec_lo, exec_lo, s8
	s_and_b32 vcc_lo, exec_lo, s6
	s_cbranch_vccz .LBB60_16
.LBB60_13:
	v_cmp_gt_i32_e32 vcc_lo, s0, v3
	s_andn2_b32 s0, s7, exec_lo
	s_and_b32 s2, vcc_lo, exec_lo
	s_or_b32 s7, s0, s2
	s_and_saveexec_b32 s0, s7
	s_cbranch_execnz .LBB60_17
.LBB60_14:
	s_endpgm
.LBB60_15:
                                        ; implicit-def: $vgpr1
	s_cbranch_execnz .LBB60_13
.LBB60_16:
	v_mov_b32_e32 v3, v1
	s_and_saveexec_b32 s0, s7
	s_cbranch_execz .LBB60_14
.LBB60_17:
	s_load_dwordx8 s[8:15], s[4:5], 0x20
	v_ashrrev_i32_e32 v4, 31, v3
	v_and_b32_e32 v8, 3, v0
	s_load_dwordx2 s[6:7], s[4:5], 0x40
	v_lshlrev_b64 v[1:2], 2, v[3:4]
	s_waitcnt lgkmcnt(0)
	v_add_co_u32 v4, vcc_lo, s8, v1
	v_add_co_ci_u32_e64 v5, null, s9, v2, vcc_lo
	v_add_co_u32 v1, vcc_lo, s10, v1
	v_add_co_ci_u32_e64 v2, null, s11, v2, vcc_lo
	global_load_dword v14, v[4:5], off
	v_add_co_u32 v4, vcc_lo, v4, 4
	v_add_co_ci_u32_e64 v5, null, 0, v5, vcc_lo
	s_cmp_eq_u64 s[10:11], 0
	s_cselect_b32 vcc_lo, -1, 0
	s_cmp_eq_u32 s1, 1
	v_cndmask_b32_e32 v2, v2, v5, vcc_lo
	v_cndmask_b32_e32 v1, v1, v4, vcc_lo
	global_load_dword v4, v[1:2], off
	s_waitcnt vmcnt(1)
	v_subrev_nc_u32_e32 v0, s16, v14
	v_add_nc_u32_e32 v0, v0, v8
	v_ashrrev_i32_e32 v1, 31, v0
	s_waitcnt vmcnt(0)
	v_subrev_nc_u32_e32 v10, s16, v4
	v_lshlrev_b64 v[1:2], 4, v[0:1]
	v_cmp_lt_i32_e64 s0, v0, v10
	v_add_co_u32 v4, vcc_lo, s14, v1
	v_add_co_ci_u32_e64 v5, null, s15, v2, vcc_lo
	s_cbranch_scc1 .LBB60_29
; %bb.18:
	v_mov_b32_e32 v12, 0
	v_mov_b32_e32 v13, 0
	v_mov_b32_e32 v11, 0
	v_mov_b32_e32 v9, 0
	s_and_saveexec_b32 s8, s0
	s_cbranch_execz .LBB60_28
; %bb.19:
	v_add_nc_u32_e32 v1, v14, v8
	v_not_b32_e32 v2, v14
	v_mov_b32_e32 v9, 0
	v_mov_b32_e32 v7, v5
	;; [unrolled: 1-line block ×3, first 2 shown]
	v_subrev_nc_u32_e32 v1, s16, v1
	s_mov_b32 s2, 0
	v_mov_b32_e32 v11, v9
	v_mov_b32_e32 v13, v9
	v_mov_b32_e32 v12, v9
	v_add_nc_u32_e32 v1, 4, v1
	s_mov_b32 s1, exec_lo
	v_max_i32_e32 v1, v1, v10
	v_add3_u32 v1, s16, v1, v2
	v_sub_nc_u32_e32 v15, v1, v8
	v_mov_b32_e32 v1, v0
	v_and_b32_e32 v2, 12, v15
	v_cmpx_ne_u32_e32 12, v2
	s_cbranch_execz .LBB60_23
; %bb.20:
	v_lshrrev_b32_e32 v1, 2, v15
	v_mov_b32_e32 v7, v5
	v_mov_b32_e32 v11, 0
	;; [unrolled: 1-line block ×4, first 2 shown]
	v_add_nc_u32_e32 v1, 1, v1
	v_mov_b32_e32 v6, v4
	v_and_b32_e32 v1, 3, v1
	v_sub_nc_u32_e32 v16, 0, v1
	v_mov_b32_e32 v1, v0
	s_inst_prefetch 0x1
	.p2align	6
.LBB60_21:                              ; =>This Inner Loop Header: Depth=1
	v_ashrrev_i32_e32 v2, 31, v1
	v_add_co_u32 v16, s3, v16, 1
	s_or_b32 s2, s3, s2
	v_lshlrev_b64 v[17:18], 2, v[1:2]
	v_add_nc_u32_e32 v1, 4, v1
	v_add_co_u32 v17, vcc_lo, s12, v17
	v_add_co_ci_u32_e64 v18, null, s13, v18, vcc_lo
	global_load_dword v2, v[17:18], off
	s_waitcnt vmcnt(0)
	v_subrev_nc_u32_e32 v2, s16, v2
	v_lshlrev_b32_e32 v2, 2, v2
	v_ashrrev_i32_e32 v17, 31, v2
	v_add_co_u32 v21, vcc_lo, s6, v2
	v_add_co_ci_u32_e64 v22, null, s7, v17, vcc_lo
	global_load_dwordx4 v[17:20], v[6:7], off
	global_load_dword v2, v[21:22], off
	v_add_co_u32 v6, vcc_lo, v6, 64
	v_add_co_ci_u32_e64 v7, null, 0, v7, vcc_lo
	s_waitcnt vmcnt(0)
	v_dot4c_i32_i8 v12, v2, v20
	v_dot4c_i32_i8 v13, v2, v19
	;; [unrolled: 1-line block ×4, first 2 shown]
	s_andn2_b32 exec_lo, exec_lo, s2
	s_cbranch_execnz .LBB60_21
; %bb.22:
	s_inst_prefetch 0x2
	s_or_b32 exec_lo, exec_lo, s2
.LBB60_23:
	s_or_b32 exec_lo, exec_lo, s1
	s_mov_b32 s9, exec_lo
	v_cmpx_lt_u32_e32 11, v15
	s_cbranch_execz .LBB60_27
; %bb.24:
	s_mov_b32 s10, 0
.LBB60_25:                              ; =>This Inner Loop Header: Depth=1
	v_ashrrev_i32_e32 v2, 31, v1
	v_lshlrev_b64 v[15:16], 2, v[1:2]
	v_add_nc_u32_e32 v1, 16, v1
	v_add_co_u32 v15, vcc_lo, s12, v15
	v_add_co_ci_u32_e64 v16, null, s13, v16, vcc_lo
	s_clause 0x3
	global_load_dword v2, v[15:16], off
	global_load_dword v27, v[15:16], off offset:16
	global_load_dword v28, v[15:16], off offset:32
	;; [unrolled: 1-line block ×3, first 2 shown]
	s_clause 0x2
	global_load_dwordx4 v[15:18], v[6:7], off
	global_load_dwordx4 v[19:22], v[6:7], off offset:64
	global_load_dwordx4 v[23:26], v[6:7], off offset:128
	s_waitcnt vmcnt(6)
	v_subrev_nc_u32_e32 v2, s16, v2
	s_waitcnt vmcnt(5)
	v_subrev_nc_u32_e32 v27, s16, v27
	;; [unrolled: 2-line block ×4, first 2 shown]
	v_lshlrev_b32_e32 v2, 2, v2
	v_lshlrev_b32_e32 v27, 2, v27
	;; [unrolled: 1-line block ×4, first 2 shown]
	v_ashrrev_i32_e32 v33, 31, v2
	v_add_co_u32 v32, s3, s6, v2
	v_ashrrev_i32_e32 v34, 31, v27
	v_add_co_u32 v27, vcc_lo, s6, v27
	v_add_co_ci_u32_e64 v33, null, s7, v33, s3
	v_ashrrev_i32_e32 v35, 31, v28
	v_add_co_u32 v29, s1, s6, v28
	v_add_co_ci_u32_e64 v28, null, s7, v34, vcc_lo
	global_load_dword v2, v[32:33], off
	v_ashrrev_i32_e32 v36, 31, v30
	v_add_co_u32 v31, s2, s6, v30
	global_load_dword v33, v[27:28], off
	v_add_co_ci_u32_e64 v30, null, s7, v35, s1
	v_add_co_ci_u32_e64 v32, null, s7, v36, s2
	global_load_dword v34, v[29:30], off
	global_load_dwordx4 v[27:30], v[6:7], off offset:192
	global_load_dword v31, v[31:32], off
	v_add_co_u32 v6, vcc_lo, 0x100, v6
	v_add_co_ci_u32_e64 v7, null, 0, v7, vcc_lo
	v_cmp_ge_i32_e32 vcc_lo, v1, v10
	s_or_b32 s10, vcc_lo, s10
	s_waitcnt vmcnt(4)
	v_dot4c_i32_i8 v9, v2, v15
	v_dot4c_i32_i8 v12, v2, v18
	v_dot4c_i32_i8 v13, v2, v17
	v_dot4c_i32_i8 v11, v2, v16
	s_waitcnt vmcnt(3)
	v_dot4c_i32_i8 v9, v33, v19
	v_dot4c_i32_i8 v12, v33, v22
	v_dot4c_i32_i8 v13, v33, v21
	v_dot4c_i32_i8 v11, v33, v20
	;; [unrolled: 5-line block ×4, first 2 shown]
	s_andn2_b32 exec_lo, exec_lo, s10
	s_cbranch_execnz .LBB60_25
; %bb.26:
	s_or_b32 exec_lo, exec_lo, s10
.LBB60_27:
	s_or_b32 exec_lo, exec_lo, s9
.LBB60_28:
	s_or_b32 exec_lo, exec_lo, s8
	s_cbranch_execz .LBB60_30
	s_branch .LBB60_41
.LBB60_29:
                                        ; implicit-def: $vgpr12
                                        ; implicit-def: $vgpr9
                                        ; implicit-def: $vgpr11
                                        ; implicit-def: $vgpr13
.LBB60_30:
	v_mov_b32_e32 v12, 0
	v_mov_b32_e32 v13, 0
	;; [unrolled: 1-line block ×4, first 2 shown]
	s_and_saveexec_b32 s3, s0
	s_cbranch_execz .LBB60_40
; %bb.31:
	v_add_nc_u32_e32 v1, v14, v8
	v_not_b32_e32 v2, v14
	v_mov_b32_e32 v9, 0
	s_mov_b32 s1, 0
	s_mov_b32 s0, exec_lo
	v_subrev_nc_u32_e32 v1, s16, v1
	v_mov_b32_e32 v11, v9
	v_mov_b32_e32 v13, v9
	;; [unrolled: 1-line block ×3, first 2 shown]
	v_add_nc_u32_e32 v1, 4, v1
	v_max_i32_e32 v1, v1, v10
	v_add3_u32 v1, s16, v1, v2
	v_sub_nc_u32_e32 v2, v1, v8
	v_and_b32_e32 v1, 12, v2
	v_cmpx_ne_u32_e32 12, v1
	s_cbranch_execz .LBB60_35
; %bb.32:
	v_lshrrev_b32_e32 v1, 2, v2
	v_mov_b32_e32 v11, 0
	v_mov_b32_e32 v13, 0
	;; [unrolled: 1-line block ×3, first 2 shown]
	v_add_nc_u32_e32 v1, 1, v1
	v_and_b32_e32 v1, 3, v1
	v_sub_nc_u32_e32 v6, 0, v1
.LBB60_33:                              ; =>This Inner Loop Header: Depth=1
	v_ashrrev_i32_e32 v1, 31, v0
	v_add_co_u32 v6, s2, v6, 1
	s_or_b32 s1, s2, s1
	v_lshlrev_b64 v[14:15], 2, v[0:1]
	v_add_nc_u32_e32 v0, 4, v0
	v_add_co_u32 v14, vcc_lo, s12, v14
	v_add_co_ci_u32_e64 v15, null, s13, v15, vcc_lo
	global_load_dword v1, v[14:15], off
	global_load_dwordx4 v[14:17], v[4:5], off
	s_waitcnt vmcnt(1)
	v_subrev_nc_u32_e32 v1, s16, v1
	s_waitcnt vmcnt(0)
	v_perm_b32 v20, v17, v16, 0x6020c0c
	v_perm_b32 v21, v15, v14, 0xc0c0501
	v_perm_b32 v22, v17, v16, 0x5010c0c
	v_lshlrev_b32_e32 v1, 2, v1
	v_ashrrev_i32_e32 v7, 31, v1
	v_add_co_u32 v18, vcc_lo, s6, v1
	v_add_co_ci_u32_e64 v19, null, s7, v7, vcc_lo
	v_perm_b32 v7, v15, v14, 0xc0c0703
	v_add_co_u32 v4, vcc_lo, v4, 64
	global_load_dword v1, v[18:19], off
	v_perm_b32 v18, v17, v16, 0x7030c0c
	v_perm_b32 v19, v15, v14, 0xc0c0602
	;; [unrolled: 1-line block ×4, first 2 shown]
	v_or_b32_e32 v17, v22, v21
	v_or_b32_e32 v7, v18, v7
	v_or_b32_e32 v16, v20, v19
	v_add_co_ci_u32_e64 v5, null, 0, v5, vcc_lo
	v_or_b32_e32 v14, v15, v14
	s_waitcnt vmcnt(0)
	v_dot4c_i32_i8 v12, v1, v7
	v_dot4c_i32_i8 v13, v1, v16
	v_dot4c_i32_i8 v11, v1, v17
	v_dot4c_i32_i8 v9, v1, v14
	s_andn2_b32 exec_lo, exec_lo, s1
	s_cbranch_execnz .LBB60_33
; %bb.34:
	s_or_b32 exec_lo, exec_lo, s1
.LBB60_35:
	s_or_b32 exec_lo, exec_lo, s0
	s_mov_b32 s8, exec_lo
	v_cmpx_lt_u32_e32 11, v2
	s_cbranch_execz .LBB60_39
; %bb.36:
	s_mov_b32 s9, 0
.LBB60_37:                              ; =>This Inner Loop Header: Depth=1
	v_ashrrev_i32_e32 v1, 31, v0
	v_lshlrev_b64 v[1:2], 2, v[0:1]
	v_add_nc_u32_e32 v0, 16, v0
	v_add_co_u32 v1, vcc_lo, s12, v1
	v_add_co_ci_u32_e64 v2, null, s13, v2, vcc_lo
	s_clause 0x3
	global_load_dword v6, v[1:2], off
	global_load_dword v7, v[1:2], off offset:16
	global_load_dword v30, v[1:2], off offset:32
	;; [unrolled: 1-line block ×3, first 2 shown]
	s_clause 0x3
	global_load_dwordx4 v[14:17], v[4:5], off
	global_load_dwordx4 v[18:21], v[4:5], off offset:64
	global_load_dwordx4 v[22:25], v[4:5], off offset:128
	global_load_dwordx4 v[26:29], v[4:5], off offset:192
	s_waitcnt vmcnt(7)
	v_subrev_nc_u32_e32 v2, s16, v6
	s_waitcnt vmcnt(6)
	v_subrev_nc_u32_e32 v6, s16, v7
	;; [unrolled: 2-line block ×4, first 2 shown]
	v_lshlrev_b32_e32 v2, 2, v2
	v_lshlrev_b32_e32 v6, 2, v6
	;; [unrolled: 1-line block ×4, first 2 shown]
	s_waitcnt vmcnt(2)
	v_perm_b32 v36, v19, v18, 0xc0c0602
	v_ashrrev_i32_e32 v32, 31, v2
	v_add_co_u32 v31, s2, s6, v2
	v_ashrrev_i32_e32 v33, 31, v6
	v_add_co_u32 v1, vcc_lo, s6, v6
	v_add_co_ci_u32_e64 v32, null, s7, v32, s2
	v_add_co_ci_u32_e64 v2, null, s7, v33, vcc_lo
	v_ashrrev_i32_e32 v34, 31, v7
	global_load_dword v32, v[31:32], off
	v_ashrrev_i32_e32 v35, 31, v30
	v_add_co_u32 v6, s0, s6, v7
	v_add_co_u32 v30, s1, s6, v30
	global_load_dword v1, v[1:2], off
	v_add_co_ci_u32_e64 v7, null, s7, v34, s0
	v_add_co_ci_u32_e64 v31, null, s7, v35, s1
	s_clause 0x1
	global_load_dword v2, v[6:7], off
	global_load_dword v6, v[30:31], off
	v_perm_b32 v7, v15, v14, 0xc0c0400
	v_perm_b32 v30, v17, v16, 0x4000c0c
	;; [unrolled: 1-line block ×15, first 2 shown]
	s_waitcnt vmcnt(5)
	v_perm_b32 v20, v23, v22, 0xc0c0400
	v_perm_b32 v21, v25, v24, 0x4000c0c
	;; [unrolled: 1-line block ×8, first 2 shown]
	s_waitcnt vmcnt(4)
	v_perm_b32 v24, v27, v26, 0xc0c0703
	v_perm_b32 v25, v29, v28, 0x7030c0c
	;; [unrolled: 1-line block ×8, first 2 shown]
	v_or_b32_e32 v7, v30, v7
	v_or_b32_e32 v28, v33, v31
	;; [unrolled: 1-line block ×14, first 2 shown]
	v_add_co_u32 v4, vcc_lo, 0x100, v4
	v_add_co_ci_u32_e64 v5, null, 0, v5, vcc_lo
	v_cmp_ge_i32_e32 vcc_lo, v0, v10
	s_or_b32 s9, vcc_lo, s9
	s_waitcnt vmcnt(3)
	v_dot4c_i32_i8 v12, v32, v14
	v_dot4c_i32_i8 v13, v32, v29
	;; [unrolled: 1-line block ×4, first 2 shown]
	v_or_b32_e32 v7, v47, v46
	s_waitcnt vmcnt(2)
	v_dot4c_i32_i8 v12, v1, v15
	v_dot4c_i32_i8 v13, v1, v16
	;; [unrolled: 1-line block ×4, first 2 shown]
	v_or_b32_e32 v1, v27, v26
	s_waitcnt vmcnt(1)
	v_dot4c_i32_i8 v12, v2, v22
	v_dot4c_i32_i8 v13, v2, v21
	;; [unrolled: 1-line block ×4, first 2 shown]
	s_waitcnt vmcnt(0)
	v_dot4c_i32_i8 v12, v6, v23
	v_dot4c_i32_i8 v13, v6, v24
	;; [unrolled: 1-line block ×4, first 2 shown]
	s_andn2_b32 exec_lo, exec_lo, s9
	s_cbranch_execnz .LBB60_37
; %bb.38:
	s_or_b32 exec_lo, exec_lo, s9
.LBB60_39:
	s_or_b32 exec_lo, exec_lo, s8
.LBB60_40:
	s_or_b32 exec_lo, exec_lo, s3
.LBB60_41:
	v_mbcnt_lo_u32_b32 v0, -1, 0
	s_mov_b32 s2, -1
	v_xor_b32_e32 v1, 2, v0
	v_cmp_gt_i32_e32 vcc_lo, 32, v1
	v_cndmask_b32_e32 v1, v0, v1, vcc_lo
	v_lshlrev_b32_e32 v1, 2, v1
	ds_bpermute_b32 v2, v1, v9
	ds_bpermute_b32 v4, v1, v11
	;; [unrolled: 1-line block ×4, first 2 shown]
	v_xor_b32_e32 v1, 1, v0
	v_cmp_gt_i32_e32 vcc_lo, 32, v1
	v_cndmask_b32_e32 v0, v0, v1, vcc_lo
	v_cmp_eq_u32_e32 vcc_lo, 3, v8
	v_lshlrev_b32_e32 v10, 2, v0
	s_waitcnt lgkmcnt(3)
	v_add_nc_u32_e32 v0, v2, v9
	s_waitcnt lgkmcnt(2)
	v_add_nc_u32_e32 v1, v4, v11
	;; [unrolled: 2-line block ×4, first 2 shown]
	ds_bpermute_b32 v5, v10, v0
	ds_bpermute_b32 v6, v10, v1
	;; [unrolled: 1-line block ×4, first 2 shown]
	s_and_b32 exec_lo, exec_lo, vcc_lo
	s_cbranch_execz .LBB60_14
; %bb.42:
	s_load_dwordx2 s[0:1], s[4:5], 0x50
	s_waitcnt lgkmcnt(0)
	v_add_nc_u32_e32 v0, v5, v0
	v_add_nc_u32_e32 v1, v6, v1
	v_add_nc_u32_e32 v2, v7, v2
	v_add_nc_u32_e32 v4, v9, v4
	v_lshlrev_b32_e32 v5, 2, v3
	v_mul_lo_u32 v0, v0, s17
	v_mul_lo_u32 v1, v1, s17
	;; [unrolled: 1-line block ×4, first 2 shown]
	s_cmp_eq_u32 s18, 0
	s_cbranch_scc1 .LBB60_44
; %bb.43:
	v_ashrrev_i32_e32 v6, 31, v5
	s_mov_b32 s2, 0
	v_lshlrev_b64 v[6:7], 2, v[5:6]
	v_add_co_u32 v13, vcc_lo, s0, v6
	v_add_co_ci_u32_e64 v14, null, s1, v7, vcc_lo
	global_load_dwordx4 v[6:9], v[13:14], off
	s_waitcnt vmcnt(0)
	v_mad_u64_u32 v[15:16], null, v9, s18, v[4:5]
	v_mad_u64_u32 v[9:10], null, v6, s18, v[0:1]
	;; [unrolled: 1-line block ×4, first 2 shown]
	v_mov_b32_e32 v12, v15
	global_store_dwordx4 v[13:14], v[9:12], off
.LBB60_44:
	s_andn2_b32 vcc_lo, exec_lo, s2
	s_cbranch_vccnz .LBB60_14
; %bb.45:
	v_ashrrev_i32_e32 v6, 31, v5
	v_mov_b32_e32 v3, v4
	v_lshlrev_b64 v[5:6], 2, v[5:6]
	v_add_co_u32 v5, vcc_lo, s0, v5
	v_add_co_ci_u32_e64 v6, null, s1, v6, vcc_lo
	global_store_dwordx4 v[5:6], v[0:3], off
	s_endpgm
	.section	.rodata,"a",@progbits
	.p2align	6, 0x0
	.amdhsa_kernel _ZN9rocsparseL18bsrxmvn_4x4_kernelILj128ELj4EiiiaaiEEvT3_20rocsparse_direction_NS_24const_host_device_scalarIT1_EES1_PKS1_PKT2_SA_S7_PKT4_PKT5_S5_PT6_21rocsparse_index_base_b
		.amdhsa_group_segment_fixed_size 0
		.amdhsa_private_segment_fixed_size 0
		.amdhsa_kernarg_size 96
		.amdhsa_user_sgpr_count 6
		.amdhsa_user_sgpr_private_segment_buffer 1
		.amdhsa_user_sgpr_dispatch_ptr 0
		.amdhsa_user_sgpr_queue_ptr 0
		.amdhsa_user_sgpr_kernarg_segment_ptr 1
		.amdhsa_user_sgpr_dispatch_id 0
		.amdhsa_user_sgpr_flat_scratch_init 0
		.amdhsa_user_sgpr_private_segment_size 0
		.amdhsa_wavefront_size32 1
		.amdhsa_uses_dynamic_stack 0
		.amdhsa_system_sgpr_private_segment_wavefront_offset 0
		.amdhsa_system_sgpr_workgroup_id_x 1
		.amdhsa_system_sgpr_workgroup_id_y 0
		.amdhsa_system_sgpr_workgroup_id_z 0
		.amdhsa_system_sgpr_workgroup_info 0
		.amdhsa_system_vgpr_workitem_id 0
		.amdhsa_next_free_vgpr 48
		.amdhsa_next_free_sgpr 19
		.amdhsa_reserve_vcc 1
		.amdhsa_reserve_flat_scratch 0
		.amdhsa_float_round_mode_32 0
		.amdhsa_float_round_mode_16_64 0
		.amdhsa_float_denorm_mode_32 3
		.amdhsa_float_denorm_mode_16_64 3
		.amdhsa_dx10_clamp 1
		.amdhsa_ieee_mode 1
		.amdhsa_fp16_overflow 0
		.amdhsa_workgroup_processor_mode 1
		.amdhsa_memory_ordered 1
		.amdhsa_forward_progress 1
		.amdhsa_shared_vgpr_count 0
		.amdhsa_exception_fp_ieee_invalid_op 0
		.amdhsa_exception_fp_denorm_src 0
		.amdhsa_exception_fp_ieee_div_zero 0
		.amdhsa_exception_fp_ieee_overflow 0
		.amdhsa_exception_fp_ieee_underflow 0
		.amdhsa_exception_fp_ieee_inexact 0
		.amdhsa_exception_int_div_zero 0
	.end_amdhsa_kernel
	.section	.text._ZN9rocsparseL18bsrxmvn_4x4_kernelILj128ELj4EiiiaaiEEvT3_20rocsparse_direction_NS_24const_host_device_scalarIT1_EES1_PKS1_PKT2_SA_S7_PKT4_PKT5_S5_PT6_21rocsparse_index_base_b,"axG",@progbits,_ZN9rocsparseL18bsrxmvn_4x4_kernelILj128ELj4EiiiaaiEEvT3_20rocsparse_direction_NS_24const_host_device_scalarIT1_EES1_PKS1_PKT2_SA_S7_PKT4_PKT5_S5_PT6_21rocsparse_index_base_b,comdat
.Lfunc_end60:
	.size	_ZN9rocsparseL18bsrxmvn_4x4_kernelILj128ELj4EiiiaaiEEvT3_20rocsparse_direction_NS_24const_host_device_scalarIT1_EES1_PKS1_PKT2_SA_S7_PKT4_PKT5_S5_PT6_21rocsparse_index_base_b, .Lfunc_end60-_ZN9rocsparseL18bsrxmvn_4x4_kernelILj128ELj4EiiiaaiEEvT3_20rocsparse_direction_NS_24const_host_device_scalarIT1_EES1_PKS1_PKT2_SA_S7_PKT4_PKT5_S5_PT6_21rocsparse_index_base_b
                                        ; -- End function
	.set _ZN9rocsparseL18bsrxmvn_4x4_kernelILj128ELj4EiiiaaiEEvT3_20rocsparse_direction_NS_24const_host_device_scalarIT1_EES1_PKS1_PKT2_SA_S7_PKT4_PKT5_S5_PT6_21rocsparse_index_base_b.num_vgpr, 48
	.set _ZN9rocsparseL18bsrxmvn_4x4_kernelILj128ELj4EiiiaaiEEvT3_20rocsparse_direction_NS_24const_host_device_scalarIT1_EES1_PKS1_PKT2_SA_S7_PKT4_PKT5_S5_PT6_21rocsparse_index_base_b.num_agpr, 0
	.set _ZN9rocsparseL18bsrxmvn_4x4_kernelILj128ELj4EiiiaaiEEvT3_20rocsparse_direction_NS_24const_host_device_scalarIT1_EES1_PKS1_PKT2_SA_S7_PKT4_PKT5_S5_PT6_21rocsparse_index_base_b.numbered_sgpr, 19
	.set _ZN9rocsparseL18bsrxmvn_4x4_kernelILj128ELj4EiiiaaiEEvT3_20rocsparse_direction_NS_24const_host_device_scalarIT1_EES1_PKS1_PKT2_SA_S7_PKT4_PKT5_S5_PT6_21rocsparse_index_base_b.num_named_barrier, 0
	.set _ZN9rocsparseL18bsrxmvn_4x4_kernelILj128ELj4EiiiaaiEEvT3_20rocsparse_direction_NS_24const_host_device_scalarIT1_EES1_PKS1_PKT2_SA_S7_PKT4_PKT5_S5_PT6_21rocsparse_index_base_b.private_seg_size, 0
	.set _ZN9rocsparseL18bsrxmvn_4x4_kernelILj128ELj4EiiiaaiEEvT3_20rocsparse_direction_NS_24const_host_device_scalarIT1_EES1_PKS1_PKT2_SA_S7_PKT4_PKT5_S5_PT6_21rocsparse_index_base_b.uses_vcc, 1
	.set _ZN9rocsparseL18bsrxmvn_4x4_kernelILj128ELj4EiiiaaiEEvT3_20rocsparse_direction_NS_24const_host_device_scalarIT1_EES1_PKS1_PKT2_SA_S7_PKT4_PKT5_S5_PT6_21rocsparse_index_base_b.uses_flat_scratch, 0
	.set _ZN9rocsparseL18bsrxmvn_4x4_kernelILj128ELj4EiiiaaiEEvT3_20rocsparse_direction_NS_24const_host_device_scalarIT1_EES1_PKS1_PKT2_SA_S7_PKT4_PKT5_S5_PT6_21rocsparse_index_base_b.has_dyn_sized_stack, 0
	.set _ZN9rocsparseL18bsrxmvn_4x4_kernelILj128ELj4EiiiaaiEEvT3_20rocsparse_direction_NS_24const_host_device_scalarIT1_EES1_PKS1_PKT2_SA_S7_PKT4_PKT5_S5_PT6_21rocsparse_index_base_b.has_recursion, 0
	.set _ZN9rocsparseL18bsrxmvn_4x4_kernelILj128ELj4EiiiaaiEEvT3_20rocsparse_direction_NS_24const_host_device_scalarIT1_EES1_PKS1_PKT2_SA_S7_PKT4_PKT5_S5_PT6_21rocsparse_index_base_b.has_indirect_call, 0
	.section	.AMDGPU.csdata,"",@progbits
; Kernel info:
; codeLenInByte = 2900
; TotalNumSgprs: 21
; NumVgprs: 48
; ScratchSize: 0
; MemoryBound: 0
; FloatMode: 240
; IeeeMode: 1
; LDSByteSize: 0 bytes/workgroup (compile time only)
; SGPRBlocks: 0
; VGPRBlocks: 5
; NumSGPRsForWavesPerEU: 21
; NumVGPRsForWavesPerEU: 48
; Occupancy: 16
; WaveLimiterHint : 1
; COMPUTE_PGM_RSRC2:SCRATCH_EN: 0
; COMPUTE_PGM_RSRC2:USER_SGPR: 6
; COMPUTE_PGM_RSRC2:TRAP_HANDLER: 0
; COMPUTE_PGM_RSRC2:TGID_X_EN: 1
; COMPUTE_PGM_RSRC2:TGID_Y_EN: 0
; COMPUTE_PGM_RSRC2:TGID_Z_EN: 0
; COMPUTE_PGM_RSRC2:TIDIG_COMP_CNT: 0
	.section	.text._ZN9rocsparseL18bsrxmvn_4x4_kernelILj128ELj8EiiiaaiEEvT3_20rocsparse_direction_NS_24const_host_device_scalarIT1_EES1_PKS1_PKT2_SA_S7_PKT4_PKT5_S5_PT6_21rocsparse_index_base_b,"axG",@progbits,_ZN9rocsparseL18bsrxmvn_4x4_kernelILj128ELj8EiiiaaiEEvT3_20rocsparse_direction_NS_24const_host_device_scalarIT1_EES1_PKS1_PKT2_SA_S7_PKT4_PKT5_S5_PT6_21rocsparse_index_base_b,comdat
	.globl	_ZN9rocsparseL18bsrxmvn_4x4_kernelILj128ELj8EiiiaaiEEvT3_20rocsparse_direction_NS_24const_host_device_scalarIT1_EES1_PKS1_PKT2_SA_S7_PKT4_PKT5_S5_PT6_21rocsparse_index_base_b ; -- Begin function _ZN9rocsparseL18bsrxmvn_4x4_kernelILj128ELj8EiiiaaiEEvT3_20rocsparse_direction_NS_24const_host_device_scalarIT1_EES1_PKS1_PKT2_SA_S7_PKT4_PKT5_S5_PT6_21rocsparse_index_base_b
	.p2align	8
	.type	_ZN9rocsparseL18bsrxmvn_4x4_kernelILj128ELj8EiiiaaiEEvT3_20rocsparse_direction_NS_24const_host_device_scalarIT1_EES1_PKS1_PKT2_SA_S7_PKT4_PKT5_S5_PT6_21rocsparse_index_base_b,@function
_ZN9rocsparseL18bsrxmvn_4x4_kernelILj128ELj8EiiiaaiEEvT3_20rocsparse_direction_NS_24const_host_device_scalarIT1_EES1_PKS1_PKT2_SA_S7_PKT4_PKT5_S5_PT6_21rocsparse_index_base_b: ; @_ZN9rocsparseL18bsrxmvn_4x4_kernelILj128ELj8EiiiaaiEEvT3_20rocsparse_direction_NS_24const_host_device_scalarIT1_EES1_PKS1_PKT2_SA_S7_PKT4_PKT5_S5_PT6_21rocsparse_index_base_b
; %bb.0:
	s_clause 0x1
	s_load_dwordx2 s[16:17], s[4:5], 0x58
	s_load_dwordx2 s[2:3], s[4:5], 0x8
	s_mov_b32 s8, -1
	s_waitcnt lgkmcnt(0)
	s_bitcmp1_b32 s17, 0
                                        ; implicit-def: $sgpr17
	s_cselect_b32 s0, -1, 0
	s_xor_b32 s7, s0, -1
	s_and_b32 vcc_lo, exec_lo, s7
	s_cbranch_vccnz .LBB61_4
; %bb.1:
	s_load_dwordx2 s[0:1], s[4:5], 0x48
	s_andn2_b32 vcc_lo, exec_lo, s8
	s_cbranch_vccz .LBB61_5
.LBB61_2:
	s_and_b32 vcc_lo, exec_lo, s7
	s_cbranch_vccz .LBB61_6
.LBB61_3:
	s_waitcnt lgkmcnt(0)
	s_load_dword s18, s[0:1], 0x0
	s_cbranch_execz .LBB61_7
	s_branch .LBB61_8
.LBB61_4:
	s_load_dword s17, s[2:3], 0x0
	s_load_dwordx2 s[0:1], s[4:5], 0x48
	s_cbranch_execnz .LBB61_2
.LBB61_5:
	s_waitcnt lgkmcnt(0)
	s_mov_b32 s17, s2
	s_and_b32 vcc_lo, exec_lo, s7
	s_cbranch_vccnz .LBB61_3
.LBB61_6:
	s_waitcnt lgkmcnt(0)
                                        ; implicit-def: $sgpr18
.LBB61_7:
	s_waitcnt lgkmcnt(0)
	s_mov_b32 s18, s0
.LBB61_8:
	s_cmp_lg_u32 s17, 0
	s_mov_b32 s7, 0
	s_cselect_b32 s0, -1, 0
	s_waitcnt lgkmcnt(0)
	s_cmp_lg_u32 s18, 1
	s_cselect_b32 s1, -1, 0
	s_or_b32 s0, s0, s1
	s_andn2_b32 vcc_lo, exec_lo, s0
	s_cbranch_vccnz .LBB61_14
; %bb.9:
	s_clause 0x1
	s_load_dwordx2 s[2:3], s[4:5], 0x18
	s_load_dwordx2 s[0:1], s[4:5], 0x0
	v_lshrrev_b32_e32 v1, 3, v0
	v_lshl_or_b32 v3, s6, 4, v1
	s_waitcnt lgkmcnt(0)
	s_cmp_lg_u64 s[2:3], 0
	s_cbranch_scc0 .LBB61_15
; %bb.10:
	s_load_dword s6, s[4:5], 0x10
                                        ; implicit-def: $vgpr1
	s_waitcnt lgkmcnt(0)
	v_cmp_gt_i32_e32 vcc_lo, s6, v3
	s_mov_b32 s6, 0
	s_and_saveexec_b32 s8, vcc_lo
	s_xor_b32 s8, exec_lo, s8
	s_cbranch_execz .LBB61_12
; %bb.11:
	v_ashrrev_i32_e32 v4, 31, v3
	s_mov_b32 s7, exec_lo
	v_lshlrev_b64 v[1:2], 2, v[3:4]
	v_add_co_u32 v1, vcc_lo, s2, v1
	v_add_co_ci_u32_e64 v2, null, s3, v2, vcc_lo
	global_load_dword v1, v[1:2], off
	s_waitcnt vmcnt(0)
	v_subrev_nc_u32_e32 v1, s16, v1
.LBB61_12:
	s_or_b32 exec_lo, exec_lo, s8
	s_and_b32 vcc_lo, exec_lo, s6
	s_cbranch_vccz .LBB61_16
.LBB61_13:
	v_cmp_gt_i32_e32 vcc_lo, s0, v3
	s_andn2_b32 s0, s7, exec_lo
	s_and_b32 s2, vcc_lo, exec_lo
	s_or_b32 s7, s0, s2
	s_and_saveexec_b32 s0, s7
	s_cbranch_execnz .LBB61_17
.LBB61_14:
	s_endpgm
.LBB61_15:
                                        ; implicit-def: $vgpr1
	s_cbranch_execnz .LBB61_13
.LBB61_16:
	v_mov_b32_e32 v3, v1
	s_and_saveexec_b32 s0, s7
	s_cbranch_execz .LBB61_14
.LBB61_17:
	s_load_dwordx8 s[8:15], s[4:5], 0x20
	v_ashrrev_i32_e32 v4, 31, v3
	v_and_b32_e32 v8, 7, v0
	s_load_dwordx2 s[6:7], s[4:5], 0x40
	v_lshlrev_b64 v[1:2], 2, v[3:4]
	s_waitcnt lgkmcnt(0)
	v_add_co_u32 v4, vcc_lo, s8, v1
	v_add_co_ci_u32_e64 v5, null, s9, v2, vcc_lo
	v_add_co_u32 v1, vcc_lo, s10, v1
	v_add_co_ci_u32_e64 v2, null, s11, v2, vcc_lo
	global_load_dword v14, v[4:5], off
	v_add_co_u32 v4, vcc_lo, v4, 4
	v_add_co_ci_u32_e64 v5, null, 0, v5, vcc_lo
	s_cmp_eq_u64 s[10:11], 0
	s_cselect_b32 vcc_lo, -1, 0
	s_cmp_eq_u32 s1, 1
	v_cndmask_b32_e32 v2, v2, v5, vcc_lo
	v_cndmask_b32_e32 v1, v1, v4, vcc_lo
	global_load_dword v4, v[1:2], off
	s_waitcnt vmcnt(1)
	v_subrev_nc_u32_e32 v0, s16, v14
	v_add_nc_u32_e32 v0, v0, v8
	v_ashrrev_i32_e32 v1, 31, v0
	s_waitcnt vmcnt(0)
	v_subrev_nc_u32_e32 v13, s16, v4
	v_lshlrev_b64 v[1:2], 4, v[0:1]
	v_cmp_lt_i32_e64 s0, v0, v13
	v_add_co_u32 v4, vcc_lo, s14, v1
	v_add_co_ci_u32_e64 v5, null, s15, v2, vcc_lo
	s_cbranch_scc1 .LBB61_29
; %bb.18:
	v_mov_b32_e32 v11, 0
	v_mov_b32_e32 v12, 0
	;; [unrolled: 1-line block ×4, first 2 shown]
	s_and_saveexec_b32 s8, s0
	s_cbranch_execz .LBB61_28
; %bb.19:
	v_add_nc_u32_e32 v1, v14, v8
	v_not_b32_e32 v2, v14
	v_mov_b32_e32 v9, 0
	v_mov_b32_e32 v7, v5
	;; [unrolled: 1-line block ×3, first 2 shown]
	v_subrev_nc_u32_e32 v1, s16, v1
	s_mov_b32 s2, 0
	v_mov_b32_e32 v10, v9
	v_mov_b32_e32 v12, v9
	;; [unrolled: 1-line block ×3, first 2 shown]
	v_add_nc_u32_e32 v1, 8, v1
	s_mov_b32 s1, exec_lo
	v_max_i32_e32 v1, v1, v13
	v_add3_u32 v1, s16, v1, v2
	v_sub_nc_u32_e32 v15, v1, v8
	v_mov_b32_e32 v1, v0
	v_and_b32_e32 v2, 24, v15
	v_cmpx_ne_u32_e32 24, v2
	s_cbranch_execz .LBB61_23
; %bb.20:
	v_lshrrev_b32_e32 v1, 3, v15
	v_mov_b32_e32 v7, v5
	v_mov_b32_e32 v10, 0
	;; [unrolled: 1-line block ×4, first 2 shown]
	v_add_nc_u32_e32 v1, 1, v1
	v_mov_b32_e32 v6, v4
	v_and_b32_e32 v1, 3, v1
	v_sub_nc_u32_e32 v16, 0, v1
	v_mov_b32_e32 v1, v0
	s_inst_prefetch 0x1
	.p2align	6
.LBB61_21:                              ; =>This Inner Loop Header: Depth=1
	v_ashrrev_i32_e32 v2, 31, v1
	v_add_co_u32 v16, s3, v16, 1
	s_or_b32 s2, s3, s2
	v_lshlrev_b64 v[17:18], 2, v[1:2]
	v_add_nc_u32_e32 v1, 8, v1
	v_add_co_u32 v17, vcc_lo, s12, v17
	v_add_co_ci_u32_e64 v18, null, s13, v18, vcc_lo
	global_load_dword v2, v[17:18], off
	s_waitcnt vmcnt(0)
	v_subrev_nc_u32_e32 v2, s16, v2
	v_lshlrev_b32_e32 v2, 2, v2
	v_ashrrev_i32_e32 v17, 31, v2
	v_add_co_u32 v21, vcc_lo, s6, v2
	v_add_co_ci_u32_e64 v22, null, s7, v17, vcc_lo
	global_load_dwordx4 v[17:20], v[6:7], off
	global_load_dword v2, v[21:22], off
	v_add_co_u32 v6, vcc_lo, 0x80, v6
	v_add_co_ci_u32_e64 v7, null, 0, v7, vcc_lo
	s_waitcnt vmcnt(0)
	v_dot4c_i32_i8 v11, v2, v20
	v_dot4c_i32_i8 v12, v2, v19
	v_dot4c_i32_i8 v10, v2, v18
	v_dot4c_i32_i8 v9, v2, v17
	s_andn2_b32 exec_lo, exec_lo, s2
	s_cbranch_execnz .LBB61_21
; %bb.22:
	s_inst_prefetch 0x2
	s_or_b32 exec_lo, exec_lo, s2
.LBB61_23:
	s_or_b32 exec_lo, exec_lo, s1
	s_mov_b32 s9, exec_lo
	v_cmpx_lt_u32_e32 23, v15
	s_cbranch_execz .LBB61_27
; %bb.24:
	s_mov_b32 s10, 0
.LBB61_25:                              ; =>This Inner Loop Header: Depth=1
	v_ashrrev_i32_e32 v2, 31, v1
	v_lshlrev_b64 v[15:16], 2, v[1:2]
	v_add_nc_u32_e32 v1, 32, v1
	v_add_co_u32 v15, vcc_lo, s12, v15
	v_add_co_ci_u32_e64 v16, null, s13, v16, vcc_lo
	s_clause 0x3
	global_load_dword v2, v[15:16], off
	global_load_dword v27, v[15:16], off offset:32
	global_load_dword v28, v[15:16], off offset:64
	;; [unrolled: 1-line block ×3, first 2 shown]
	s_clause 0x2
	global_load_dwordx4 v[15:18], v[6:7], off
	global_load_dwordx4 v[19:22], v[6:7], off offset:128
	global_load_dwordx4 v[23:26], v[6:7], off offset:256
	s_waitcnt vmcnt(6)
	v_subrev_nc_u32_e32 v2, s16, v2
	s_waitcnt vmcnt(5)
	v_subrev_nc_u32_e32 v27, s16, v27
	;; [unrolled: 2-line block ×4, first 2 shown]
	v_lshlrev_b32_e32 v2, 2, v2
	v_lshlrev_b32_e32 v27, 2, v27
	;; [unrolled: 1-line block ×4, first 2 shown]
	v_ashrrev_i32_e32 v33, 31, v2
	v_add_co_u32 v32, s3, s6, v2
	v_ashrrev_i32_e32 v34, 31, v27
	v_add_co_u32 v27, vcc_lo, s6, v27
	v_add_co_ci_u32_e64 v33, null, s7, v33, s3
	v_ashrrev_i32_e32 v35, 31, v28
	v_add_co_u32 v29, s1, s6, v28
	v_add_co_ci_u32_e64 v28, null, s7, v34, vcc_lo
	global_load_dword v2, v[32:33], off
	v_ashrrev_i32_e32 v36, 31, v30
	v_add_co_u32 v31, s2, s6, v30
	global_load_dword v33, v[27:28], off
	v_add_co_ci_u32_e64 v30, null, s7, v35, s1
	v_add_co_ci_u32_e64 v32, null, s7, v36, s2
	global_load_dword v34, v[29:30], off
	global_load_dwordx4 v[27:30], v[6:7], off offset:384
	global_load_dword v31, v[31:32], off
	v_add_co_u32 v6, vcc_lo, 0x200, v6
	v_add_co_ci_u32_e64 v7, null, 0, v7, vcc_lo
	v_cmp_ge_i32_e32 vcc_lo, v1, v13
	s_or_b32 s10, vcc_lo, s10
	s_waitcnt vmcnt(4)
	v_dot4c_i32_i8 v9, v2, v15
	v_dot4c_i32_i8 v11, v2, v18
	v_dot4c_i32_i8 v12, v2, v17
	v_dot4c_i32_i8 v10, v2, v16
	s_waitcnt vmcnt(3)
	v_dot4c_i32_i8 v9, v33, v19
	v_dot4c_i32_i8 v11, v33, v22
	v_dot4c_i32_i8 v12, v33, v21
	v_dot4c_i32_i8 v10, v33, v20
	;; [unrolled: 5-line block ×4, first 2 shown]
	s_andn2_b32 exec_lo, exec_lo, s10
	s_cbranch_execnz .LBB61_25
; %bb.26:
	s_or_b32 exec_lo, exec_lo, s10
.LBB61_27:
	s_or_b32 exec_lo, exec_lo, s9
.LBB61_28:
	s_or_b32 exec_lo, exec_lo, s8
	s_cbranch_execz .LBB61_30
	s_branch .LBB61_41
.LBB61_29:
                                        ; implicit-def: $vgpr11
                                        ; implicit-def: $vgpr9
                                        ; implicit-def: $vgpr10
                                        ; implicit-def: $vgpr12
.LBB61_30:
	v_mov_b32_e32 v11, 0
	v_mov_b32_e32 v12, 0
	;; [unrolled: 1-line block ×4, first 2 shown]
	s_and_saveexec_b32 s3, s0
	s_cbranch_execz .LBB61_40
; %bb.31:
	v_add_nc_u32_e32 v1, v14, v8
	v_not_b32_e32 v2, v14
	v_mov_b32_e32 v9, 0
	s_mov_b32 s1, 0
	s_mov_b32 s0, exec_lo
	v_subrev_nc_u32_e32 v1, s16, v1
	v_mov_b32_e32 v10, v9
	v_mov_b32_e32 v12, v9
	;; [unrolled: 1-line block ×3, first 2 shown]
	v_add_nc_u32_e32 v1, 8, v1
	v_max_i32_e32 v1, v1, v13
	v_add3_u32 v1, s16, v1, v2
	v_sub_nc_u32_e32 v2, v1, v8
	v_and_b32_e32 v1, 24, v2
	v_cmpx_ne_u32_e32 24, v1
	s_cbranch_execz .LBB61_35
; %bb.32:
	v_lshrrev_b32_e32 v1, 3, v2
	v_mov_b32_e32 v10, 0
	v_mov_b32_e32 v12, 0
	;; [unrolled: 1-line block ×3, first 2 shown]
	v_add_nc_u32_e32 v1, 1, v1
	v_and_b32_e32 v1, 3, v1
	v_sub_nc_u32_e32 v6, 0, v1
.LBB61_33:                              ; =>This Inner Loop Header: Depth=1
	v_ashrrev_i32_e32 v1, 31, v0
	v_add_co_u32 v6, s2, v6, 1
	s_or_b32 s1, s2, s1
	v_lshlrev_b64 v[14:15], 2, v[0:1]
	v_add_nc_u32_e32 v0, 8, v0
	v_add_co_u32 v14, vcc_lo, s12, v14
	v_add_co_ci_u32_e64 v15, null, s13, v15, vcc_lo
	global_load_dword v1, v[14:15], off
	global_load_dwordx4 v[14:17], v[4:5], off
	s_waitcnt vmcnt(1)
	v_subrev_nc_u32_e32 v1, s16, v1
	s_waitcnt vmcnt(0)
	v_perm_b32 v20, v17, v16, 0x6020c0c
	v_perm_b32 v21, v15, v14, 0xc0c0501
	;; [unrolled: 1-line block ×3, first 2 shown]
	v_lshlrev_b32_e32 v1, 2, v1
	v_ashrrev_i32_e32 v7, 31, v1
	v_add_co_u32 v18, vcc_lo, s6, v1
	v_add_co_ci_u32_e64 v19, null, s7, v7, vcc_lo
	v_perm_b32 v7, v15, v14, 0xc0c0703
	v_add_co_u32 v4, vcc_lo, 0x80, v4
	global_load_dword v1, v[18:19], off
	v_perm_b32 v18, v17, v16, 0x7030c0c
	v_perm_b32 v19, v15, v14, 0xc0c0602
	;; [unrolled: 1-line block ×4, first 2 shown]
	v_or_b32_e32 v17, v22, v21
	v_or_b32_e32 v7, v18, v7
	;; [unrolled: 1-line block ×3, first 2 shown]
	v_add_co_ci_u32_e64 v5, null, 0, v5, vcc_lo
	v_or_b32_e32 v14, v15, v14
	s_waitcnt vmcnt(0)
	v_dot4c_i32_i8 v11, v1, v7
	v_dot4c_i32_i8 v12, v1, v16
	;; [unrolled: 1-line block ×4, first 2 shown]
	s_andn2_b32 exec_lo, exec_lo, s1
	s_cbranch_execnz .LBB61_33
; %bb.34:
	s_or_b32 exec_lo, exec_lo, s1
.LBB61_35:
	s_or_b32 exec_lo, exec_lo, s0
	s_mov_b32 s8, exec_lo
	v_cmpx_lt_u32_e32 23, v2
	s_cbranch_execz .LBB61_39
; %bb.36:
	s_mov_b32 s9, 0
.LBB61_37:                              ; =>This Inner Loop Header: Depth=1
	v_ashrrev_i32_e32 v1, 31, v0
	v_lshlrev_b64 v[1:2], 2, v[0:1]
	v_add_nc_u32_e32 v0, 32, v0
	v_add_co_u32 v1, vcc_lo, s12, v1
	v_add_co_ci_u32_e64 v2, null, s13, v2, vcc_lo
	s_clause 0x3
	global_load_dword v6, v[1:2], off
	global_load_dword v7, v[1:2], off offset:32
	global_load_dword v30, v[1:2], off offset:64
	;; [unrolled: 1-line block ×3, first 2 shown]
	s_clause 0x3
	global_load_dwordx4 v[14:17], v[4:5], off
	global_load_dwordx4 v[18:21], v[4:5], off offset:128
	global_load_dwordx4 v[22:25], v[4:5], off offset:256
	;; [unrolled: 1-line block ×3, first 2 shown]
	s_waitcnt vmcnt(7)
	v_subrev_nc_u32_e32 v2, s16, v6
	s_waitcnt vmcnt(6)
	v_subrev_nc_u32_e32 v6, s16, v7
	;; [unrolled: 2-line block ×4, first 2 shown]
	v_lshlrev_b32_e32 v2, 2, v2
	v_lshlrev_b32_e32 v6, 2, v6
	;; [unrolled: 1-line block ×4, first 2 shown]
	s_waitcnt vmcnt(2)
	v_perm_b32 v36, v19, v18, 0xc0c0602
	v_ashrrev_i32_e32 v32, 31, v2
	v_add_co_u32 v31, s2, s6, v2
	v_ashrrev_i32_e32 v33, 31, v6
	v_add_co_u32 v1, vcc_lo, s6, v6
	v_add_co_ci_u32_e64 v32, null, s7, v32, s2
	v_add_co_ci_u32_e64 v2, null, s7, v33, vcc_lo
	v_ashrrev_i32_e32 v34, 31, v7
	global_load_dword v32, v[31:32], off
	v_ashrrev_i32_e32 v35, 31, v30
	v_add_co_u32 v6, s0, s6, v7
	v_add_co_u32 v30, s1, s6, v30
	global_load_dword v1, v[1:2], off
	v_add_co_ci_u32_e64 v7, null, s7, v34, s0
	v_add_co_ci_u32_e64 v31, null, s7, v35, s1
	s_clause 0x1
	global_load_dword v2, v[6:7], off
	global_load_dword v6, v[30:31], off
	v_perm_b32 v7, v15, v14, 0xc0c0400
	v_perm_b32 v30, v17, v16, 0x4000c0c
	;; [unrolled: 1-line block ×15, first 2 shown]
	s_waitcnt vmcnt(5)
	v_perm_b32 v20, v23, v22, 0xc0c0400
	v_perm_b32 v21, v25, v24, 0x4000c0c
	;; [unrolled: 1-line block ×8, first 2 shown]
	s_waitcnt vmcnt(4)
	v_perm_b32 v24, v27, v26, 0xc0c0703
	v_perm_b32 v25, v29, v28, 0x7030c0c
	;; [unrolled: 1-line block ×8, first 2 shown]
	v_or_b32_e32 v7, v30, v7
	v_or_b32_e32 v28, v33, v31
	;; [unrolled: 1-line block ×14, first 2 shown]
	v_add_co_u32 v4, vcc_lo, 0x200, v4
	v_add_co_ci_u32_e64 v5, null, 0, v5, vcc_lo
	v_cmp_ge_i32_e32 vcc_lo, v0, v13
	s_or_b32 s9, vcc_lo, s9
	s_waitcnt vmcnt(3)
	v_dot4c_i32_i8 v11, v32, v14
	v_dot4c_i32_i8 v12, v32, v29
	;; [unrolled: 1-line block ×4, first 2 shown]
	v_or_b32_e32 v7, v47, v46
	s_waitcnt vmcnt(2)
	v_dot4c_i32_i8 v11, v1, v15
	v_dot4c_i32_i8 v12, v1, v16
	;; [unrolled: 1-line block ×4, first 2 shown]
	v_or_b32_e32 v1, v27, v26
	s_waitcnt vmcnt(1)
	v_dot4c_i32_i8 v11, v2, v22
	v_dot4c_i32_i8 v12, v2, v21
	;; [unrolled: 1-line block ×4, first 2 shown]
	s_waitcnt vmcnt(0)
	v_dot4c_i32_i8 v11, v6, v23
	v_dot4c_i32_i8 v12, v6, v24
	;; [unrolled: 1-line block ×4, first 2 shown]
	s_andn2_b32 exec_lo, exec_lo, s9
	s_cbranch_execnz .LBB61_37
; %bb.38:
	s_or_b32 exec_lo, exec_lo, s9
.LBB61_39:
	s_or_b32 exec_lo, exec_lo, s8
.LBB61_40:
	s_or_b32 exec_lo, exec_lo, s3
.LBB61_41:
	v_mbcnt_lo_u32_b32 v0, -1, 0
	s_mov_b32 s2, -1
	v_xor_b32_e32 v1, 4, v0
	v_xor_b32_e32 v6, 2, v0
	v_cmp_gt_i32_e32 vcc_lo, 32, v1
	v_cndmask_b32_e32 v1, v0, v1, vcc_lo
	v_cmp_gt_i32_e32 vcc_lo, 32, v6
	v_lshlrev_b32_e32 v1, 2, v1
	v_cndmask_b32_e32 v6, v0, v6, vcc_lo
	ds_bpermute_b32 v2, v1, v9
	ds_bpermute_b32 v4, v1, v10
	;; [unrolled: 1-line block ×4, first 2 shown]
	v_lshlrev_b32_e32 v6, 2, v6
	s_waitcnt lgkmcnt(3)
	v_add_nc_u32_e32 v2, v2, v9
	s_waitcnt lgkmcnt(2)
	v_add_nc_u32_e32 v4, v4, v10
	;; [unrolled: 2-line block ×4, first 2 shown]
	v_xor_b32_e32 v11, 1, v0
	ds_bpermute_b32 v1, v6, v2
	ds_bpermute_b32 v9, v6, v4
	;; [unrolled: 1-line block ×4, first 2 shown]
	v_cmp_gt_i32_e32 vcc_lo, 32, v11
	v_cndmask_b32_e32 v0, v0, v11, vcc_lo
	v_cmp_eq_u32_e32 vcc_lo, 7, v8
	v_lshlrev_b32_e32 v11, 2, v0
	s_waitcnt lgkmcnt(3)
	v_add_nc_u32_e32 v0, v1, v2
	s_waitcnt lgkmcnt(2)
	v_add_nc_u32_e32 v1, v9, v4
	;; [unrolled: 2-line block ×4, first 2 shown]
	ds_bpermute_b32 v5, v11, v0
	ds_bpermute_b32 v6, v11, v1
	;; [unrolled: 1-line block ×4, first 2 shown]
	s_and_b32 exec_lo, exec_lo, vcc_lo
	s_cbranch_execz .LBB61_14
; %bb.42:
	s_load_dwordx2 s[0:1], s[4:5], 0x50
	s_waitcnt lgkmcnt(0)
	v_add_nc_u32_e32 v0, v5, v0
	v_add_nc_u32_e32 v1, v6, v1
	;; [unrolled: 1-line block ×4, first 2 shown]
	v_lshlrev_b32_e32 v5, 2, v3
	v_mul_lo_u32 v0, v0, s17
	v_mul_lo_u32 v1, v1, s17
	;; [unrolled: 1-line block ×4, first 2 shown]
	s_cmp_eq_u32 s18, 0
	s_cbranch_scc1 .LBB61_44
; %bb.43:
	v_ashrrev_i32_e32 v6, 31, v5
	s_mov_b32 s2, 0
	v_lshlrev_b64 v[6:7], 2, v[5:6]
	v_add_co_u32 v13, vcc_lo, s0, v6
	v_add_co_ci_u32_e64 v14, null, s1, v7, vcc_lo
	global_load_dwordx4 v[6:9], v[13:14], off
	s_waitcnt vmcnt(0)
	v_mad_u64_u32 v[15:16], null, v9, s18, v[4:5]
	v_mad_u64_u32 v[9:10], null, v6, s18, v[0:1]
	;; [unrolled: 1-line block ×4, first 2 shown]
	v_mov_b32_e32 v12, v15
	global_store_dwordx4 v[13:14], v[9:12], off
.LBB61_44:
	s_andn2_b32 vcc_lo, exec_lo, s2
	s_cbranch_vccnz .LBB61_14
; %bb.45:
	v_ashrrev_i32_e32 v6, 31, v5
	v_mov_b32_e32 v3, v4
	v_lshlrev_b64 v[5:6], 2, v[5:6]
	v_add_co_u32 v5, vcc_lo, s0, v5
	v_add_co_ci_u32_e64 v6, null, s1, v6, vcc_lo
	global_store_dwordx4 v[5:6], v[0:3], off
	s_endpgm
	.section	.rodata,"a",@progbits
	.p2align	6, 0x0
	.amdhsa_kernel _ZN9rocsparseL18bsrxmvn_4x4_kernelILj128ELj8EiiiaaiEEvT3_20rocsparse_direction_NS_24const_host_device_scalarIT1_EES1_PKS1_PKT2_SA_S7_PKT4_PKT5_S5_PT6_21rocsparse_index_base_b
		.amdhsa_group_segment_fixed_size 0
		.amdhsa_private_segment_fixed_size 0
		.amdhsa_kernarg_size 96
		.amdhsa_user_sgpr_count 6
		.amdhsa_user_sgpr_private_segment_buffer 1
		.amdhsa_user_sgpr_dispatch_ptr 0
		.amdhsa_user_sgpr_queue_ptr 0
		.amdhsa_user_sgpr_kernarg_segment_ptr 1
		.amdhsa_user_sgpr_dispatch_id 0
		.amdhsa_user_sgpr_flat_scratch_init 0
		.amdhsa_user_sgpr_private_segment_size 0
		.amdhsa_wavefront_size32 1
		.amdhsa_uses_dynamic_stack 0
		.amdhsa_system_sgpr_private_segment_wavefront_offset 0
		.amdhsa_system_sgpr_workgroup_id_x 1
		.amdhsa_system_sgpr_workgroup_id_y 0
		.amdhsa_system_sgpr_workgroup_id_z 0
		.amdhsa_system_sgpr_workgroup_info 0
		.amdhsa_system_vgpr_workitem_id 0
		.amdhsa_next_free_vgpr 48
		.amdhsa_next_free_sgpr 19
		.amdhsa_reserve_vcc 1
		.amdhsa_reserve_flat_scratch 0
		.amdhsa_float_round_mode_32 0
		.amdhsa_float_round_mode_16_64 0
		.amdhsa_float_denorm_mode_32 3
		.amdhsa_float_denorm_mode_16_64 3
		.amdhsa_dx10_clamp 1
		.amdhsa_ieee_mode 1
		.amdhsa_fp16_overflow 0
		.amdhsa_workgroup_processor_mode 1
		.amdhsa_memory_ordered 1
		.amdhsa_forward_progress 1
		.amdhsa_shared_vgpr_count 0
		.amdhsa_exception_fp_ieee_invalid_op 0
		.amdhsa_exception_fp_denorm_src 0
		.amdhsa_exception_fp_ieee_div_zero 0
		.amdhsa_exception_fp_ieee_overflow 0
		.amdhsa_exception_fp_ieee_underflow 0
		.amdhsa_exception_fp_ieee_inexact 0
		.amdhsa_exception_int_div_zero 0
	.end_amdhsa_kernel
	.section	.text._ZN9rocsparseL18bsrxmvn_4x4_kernelILj128ELj8EiiiaaiEEvT3_20rocsparse_direction_NS_24const_host_device_scalarIT1_EES1_PKS1_PKT2_SA_S7_PKT4_PKT5_S5_PT6_21rocsparse_index_base_b,"axG",@progbits,_ZN9rocsparseL18bsrxmvn_4x4_kernelILj128ELj8EiiiaaiEEvT3_20rocsparse_direction_NS_24const_host_device_scalarIT1_EES1_PKS1_PKT2_SA_S7_PKT4_PKT5_S5_PT6_21rocsparse_index_base_b,comdat
.Lfunc_end61:
	.size	_ZN9rocsparseL18bsrxmvn_4x4_kernelILj128ELj8EiiiaaiEEvT3_20rocsparse_direction_NS_24const_host_device_scalarIT1_EES1_PKS1_PKT2_SA_S7_PKT4_PKT5_S5_PT6_21rocsparse_index_base_b, .Lfunc_end61-_ZN9rocsparseL18bsrxmvn_4x4_kernelILj128ELj8EiiiaaiEEvT3_20rocsparse_direction_NS_24const_host_device_scalarIT1_EES1_PKS1_PKT2_SA_S7_PKT4_PKT5_S5_PT6_21rocsparse_index_base_b
                                        ; -- End function
	.set _ZN9rocsparseL18bsrxmvn_4x4_kernelILj128ELj8EiiiaaiEEvT3_20rocsparse_direction_NS_24const_host_device_scalarIT1_EES1_PKS1_PKT2_SA_S7_PKT4_PKT5_S5_PT6_21rocsparse_index_base_b.num_vgpr, 48
	.set _ZN9rocsparseL18bsrxmvn_4x4_kernelILj128ELj8EiiiaaiEEvT3_20rocsparse_direction_NS_24const_host_device_scalarIT1_EES1_PKS1_PKT2_SA_S7_PKT4_PKT5_S5_PT6_21rocsparse_index_base_b.num_agpr, 0
	.set _ZN9rocsparseL18bsrxmvn_4x4_kernelILj128ELj8EiiiaaiEEvT3_20rocsparse_direction_NS_24const_host_device_scalarIT1_EES1_PKS1_PKT2_SA_S7_PKT4_PKT5_S5_PT6_21rocsparse_index_base_b.numbered_sgpr, 19
	.set _ZN9rocsparseL18bsrxmvn_4x4_kernelILj128ELj8EiiiaaiEEvT3_20rocsparse_direction_NS_24const_host_device_scalarIT1_EES1_PKS1_PKT2_SA_S7_PKT4_PKT5_S5_PT6_21rocsparse_index_base_b.num_named_barrier, 0
	.set _ZN9rocsparseL18bsrxmvn_4x4_kernelILj128ELj8EiiiaaiEEvT3_20rocsparse_direction_NS_24const_host_device_scalarIT1_EES1_PKS1_PKT2_SA_S7_PKT4_PKT5_S5_PT6_21rocsparse_index_base_b.private_seg_size, 0
	.set _ZN9rocsparseL18bsrxmvn_4x4_kernelILj128ELj8EiiiaaiEEvT3_20rocsparse_direction_NS_24const_host_device_scalarIT1_EES1_PKS1_PKT2_SA_S7_PKT4_PKT5_S5_PT6_21rocsparse_index_base_b.uses_vcc, 1
	.set _ZN9rocsparseL18bsrxmvn_4x4_kernelILj128ELj8EiiiaaiEEvT3_20rocsparse_direction_NS_24const_host_device_scalarIT1_EES1_PKS1_PKT2_SA_S7_PKT4_PKT5_S5_PT6_21rocsparse_index_base_b.uses_flat_scratch, 0
	.set _ZN9rocsparseL18bsrxmvn_4x4_kernelILj128ELj8EiiiaaiEEvT3_20rocsparse_direction_NS_24const_host_device_scalarIT1_EES1_PKS1_PKT2_SA_S7_PKT4_PKT5_S5_PT6_21rocsparse_index_base_b.has_dyn_sized_stack, 0
	.set _ZN9rocsparseL18bsrxmvn_4x4_kernelILj128ELj8EiiiaaiEEvT3_20rocsparse_direction_NS_24const_host_device_scalarIT1_EES1_PKS1_PKT2_SA_S7_PKT4_PKT5_S5_PT6_21rocsparse_index_base_b.has_recursion, 0
	.set _ZN9rocsparseL18bsrxmvn_4x4_kernelILj128ELj8EiiiaaiEEvT3_20rocsparse_direction_NS_24const_host_device_scalarIT1_EES1_PKS1_PKT2_SA_S7_PKT4_PKT5_S5_PT6_21rocsparse_index_base_b.has_indirect_call, 0
	.section	.AMDGPU.csdata,"",@progbits
; Kernel info:
; codeLenInByte = 2988
; TotalNumSgprs: 21
; NumVgprs: 48
; ScratchSize: 0
; MemoryBound: 0
; FloatMode: 240
; IeeeMode: 1
; LDSByteSize: 0 bytes/workgroup (compile time only)
; SGPRBlocks: 0
; VGPRBlocks: 5
; NumSGPRsForWavesPerEU: 21
; NumVGPRsForWavesPerEU: 48
; Occupancy: 16
; WaveLimiterHint : 1
; COMPUTE_PGM_RSRC2:SCRATCH_EN: 0
; COMPUTE_PGM_RSRC2:USER_SGPR: 6
; COMPUTE_PGM_RSRC2:TRAP_HANDLER: 0
; COMPUTE_PGM_RSRC2:TGID_X_EN: 1
; COMPUTE_PGM_RSRC2:TGID_Y_EN: 0
; COMPUTE_PGM_RSRC2:TGID_Z_EN: 0
; COMPUTE_PGM_RSRC2:TIDIG_COMP_CNT: 0
	.section	.text._ZN9rocsparseL18bsrxmvn_4x4_kernelILj128ELj16EiiiaaiEEvT3_20rocsparse_direction_NS_24const_host_device_scalarIT1_EES1_PKS1_PKT2_SA_S7_PKT4_PKT5_S5_PT6_21rocsparse_index_base_b,"axG",@progbits,_ZN9rocsparseL18bsrxmvn_4x4_kernelILj128ELj16EiiiaaiEEvT3_20rocsparse_direction_NS_24const_host_device_scalarIT1_EES1_PKS1_PKT2_SA_S7_PKT4_PKT5_S5_PT6_21rocsparse_index_base_b,comdat
	.globl	_ZN9rocsparseL18bsrxmvn_4x4_kernelILj128ELj16EiiiaaiEEvT3_20rocsparse_direction_NS_24const_host_device_scalarIT1_EES1_PKS1_PKT2_SA_S7_PKT4_PKT5_S5_PT6_21rocsparse_index_base_b ; -- Begin function _ZN9rocsparseL18bsrxmvn_4x4_kernelILj128ELj16EiiiaaiEEvT3_20rocsparse_direction_NS_24const_host_device_scalarIT1_EES1_PKS1_PKT2_SA_S7_PKT4_PKT5_S5_PT6_21rocsparse_index_base_b
	.p2align	8
	.type	_ZN9rocsparseL18bsrxmvn_4x4_kernelILj128ELj16EiiiaaiEEvT3_20rocsparse_direction_NS_24const_host_device_scalarIT1_EES1_PKS1_PKT2_SA_S7_PKT4_PKT5_S5_PT6_21rocsparse_index_base_b,@function
_ZN9rocsparseL18bsrxmvn_4x4_kernelILj128ELj16EiiiaaiEEvT3_20rocsparse_direction_NS_24const_host_device_scalarIT1_EES1_PKS1_PKT2_SA_S7_PKT4_PKT5_S5_PT6_21rocsparse_index_base_b: ; @_ZN9rocsparseL18bsrxmvn_4x4_kernelILj128ELj16EiiiaaiEEvT3_20rocsparse_direction_NS_24const_host_device_scalarIT1_EES1_PKS1_PKT2_SA_S7_PKT4_PKT5_S5_PT6_21rocsparse_index_base_b
; %bb.0:
	s_clause 0x1
	s_load_dwordx2 s[16:17], s[4:5], 0x58
	s_load_dwordx2 s[2:3], s[4:5], 0x8
	s_mov_b32 s8, -1
	s_waitcnt lgkmcnt(0)
	s_bitcmp1_b32 s17, 0
                                        ; implicit-def: $sgpr17
	s_cselect_b32 s0, -1, 0
	s_xor_b32 s7, s0, -1
	s_and_b32 vcc_lo, exec_lo, s7
	s_cbranch_vccnz .LBB62_4
; %bb.1:
	s_load_dwordx2 s[0:1], s[4:5], 0x48
	s_andn2_b32 vcc_lo, exec_lo, s8
	s_cbranch_vccz .LBB62_5
.LBB62_2:
	s_and_b32 vcc_lo, exec_lo, s7
	s_cbranch_vccz .LBB62_6
.LBB62_3:
	s_waitcnt lgkmcnt(0)
	s_load_dword s18, s[0:1], 0x0
	s_cbranch_execz .LBB62_7
	s_branch .LBB62_8
.LBB62_4:
	s_load_dword s17, s[2:3], 0x0
	s_load_dwordx2 s[0:1], s[4:5], 0x48
	s_cbranch_execnz .LBB62_2
.LBB62_5:
	s_waitcnt lgkmcnt(0)
	s_mov_b32 s17, s2
	s_and_b32 vcc_lo, exec_lo, s7
	s_cbranch_vccnz .LBB62_3
.LBB62_6:
	s_waitcnt lgkmcnt(0)
                                        ; implicit-def: $sgpr18
.LBB62_7:
	s_waitcnt lgkmcnt(0)
	s_mov_b32 s18, s0
.LBB62_8:
	s_cmp_lg_u32 s17, 0
	s_mov_b32 s7, 0
	s_cselect_b32 s0, -1, 0
	s_waitcnt lgkmcnt(0)
	s_cmp_lg_u32 s18, 1
	s_cselect_b32 s1, -1, 0
	s_or_b32 s0, s0, s1
	s_andn2_b32 vcc_lo, exec_lo, s0
	s_cbranch_vccnz .LBB62_14
; %bb.9:
	s_clause 0x1
	s_load_dwordx2 s[2:3], s[4:5], 0x18
	s_load_dwordx2 s[0:1], s[4:5], 0x0
	v_lshrrev_b32_e32 v1, 4, v0
	v_lshl_or_b32 v3, s6, 3, v1
	s_waitcnt lgkmcnt(0)
	s_cmp_lg_u64 s[2:3], 0
	s_cbranch_scc0 .LBB62_15
; %bb.10:
	s_load_dword s6, s[4:5], 0x10
                                        ; implicit-def: $vgpr1
	s_waitcnt lgkmcnt(0)
	v_cmp_gt_i32_e32 vcc_lo, s6, v3
	s_mov_b32 s6, 0
	s_and_saveexec_b32 s8, vcc_lo
	s_xor_b32 s8, exec_lo, s8
	s_cbranch_execz .LBB62_12
; %bb.11:
	v_ashrrev_i32_e32 v4, 31, v3
	s_mov_b32 s7, exec_lo
	v_lshlrev_b64 v[1:2], 2, v[3:4]
	v_add_co_u32 v1, vcc_lo, s2, v1
	v_add_co_ci_u32_e64 v2, null, s3, v2, vcc_lo
	global_load_dword v1, v[1:2], off
	s_waitcnt vmcnt(0)
	v_subrev_nc_u32_e32 v1, s16, v1
.LBB62_12:
	s_or_b32 exec_lo, exec_lo, s8
	s_and_b32 vcc_lo, exec_lo, s6
	s_cbranch_vccz .LBB62_16
.LBB62_13:
	v_cmp_gt_i32_e32 vcc_lo, s0, v3
	s_andn2_b32 s0, s7, exec_lo
	s_and_b32 s2, vcc_lo, exec_lo
	s_or_b32 s7, s0, s2
	s_and_saveexec_b32 s0, s7
	s_cbranch_execnz .LBB62_17
.LBB62_14:
	s_endpgm
.LBB62_15:
                                        ; implicit-def: $vgpr1
	s_cbranch_execnz .LBB62_13
.LBB62_16:
	v_mov_b32_e32 v3, v1
	s_and_saveexec_b32 s0, s7
	s_cbranch_execz .LBB62_14
.LBB62_17:
	s_load_dwordx8 s[8:15], s[4:5], 0x20
	v_ashrrev_i32_e32 v4, 31, v3
	v_and_b32_e32 v8, 15, v0
	s_load_dwordx2 s[6:7], s[4:5], 0x40
	v_lshlrev_b64 v[1:2], 2, v[3:4]
	s_waitcnt lgkmcnt(0)
	v_add_co_u32 v4, vcc_lo, s8, v1
	v_add_co_ci_u32_e64 v5, null, s9, v2, vcc_lo
	v_add_co_u32 v1, vcc_lo, s10, v1
	v_add_co_ci_u32_e64 v2, null, s11, v2, vcc_lo
	global_load_dword v14, v[4:5], off
	v_add_co_u32 v4, vcc_lo, v4, 4
	v_add_co_ci_u32_e64 v5, null, 0, v5, vcc_lo
	s_cmp_eq_u64 s[10:11], 0
	s_cselect_b32 vcc_lo, -1, 0
	s_cmp_eq_u32 s1, 1
	v_cndmask_b32_e32 v2, v2, v5, vcc_lo
	v_cndmask_b32_e32 v1, v1, v4, vcc_lo
	global_load_dword v4, v[1:2], off
	s_waitcnt vmcnt(1)
	v_subrev_nc_u32_e32 v0, s16, v14
	v_add_nc_u32_e32 v0, v0, v8
	v_ashrrev_i32_e32 v1, 31, v0
	s_waitcnt vmcnt(0)
	v_subrev_nc_u32_e32 v13, s16, v4
	v_lshlrev_b64 v[1:2], 4, v[0:1]
	v_cmp_lt_i32_e64 s0, v0, v13
	v_add_co_u32 v4, vcc_lo, s14, v1
	v_add_co_ci_u32_e64 v5, null, s15, v2, vcc_lo
	s_cbranch_scc1 .LBB62_29
; %bb.18:
	v_mov_b32_e32 v11, 0
	v_mov_b32_e32 v12, 0
	;; [unrolled: 1-line block ×4, first 2 shown]
	s_and_saveexec_b32 s8, s0
	s_cbranch_execz .LBB62_28
; %bb.19:
	v_add_nc_u32_e32 v1, v14, v8
	v_not_b32_e32 v2, v14
	v_mov_b32_e32 v9, 0
	v_mov_b32_e32 v7, v5
	v_mov_b32_e32 v6, v4
	v_subrev_nc_u32_e32 v1, s16, v1
	s_mov_b32 s2, 0
	v_mov_b32_e32 v10, v9
	v_mov_b32_e32 v12, v9
	;; [unrolled: 1-line block ×3, first 2 shown]
	v_add_nc_u32_e32 v1, 16, v1
	s_mov_b32 s1, exec_lo
	v_max_i32_e32 v1, v1, v13
	v_add3_u32 v1, s16, v1, v2
	v_sub_nc_u32_e32 v15, v1, v8
	v_mov_b32_e32 v1, v0
	v_and_b32_e32 v2, 48, v15
	v_cmpx_ne_u32_e32 48, v2
	s_cbranch_execz .LBB62_23
; %bb.20:
	v_lshrrev_b32_e32 v1, 4, v15
	v_mov_b32_e32 v7, v5
	v_mov_b32_e32 v10, 0
	;; [unrolled: 1-line block ×4, first 2 shown]
	v_add_nc_u32_e32 v1, 1, v1
	v_mov_b32_e32 v6, v4
	v_and_b32_e32 v1, 3, v1
	v_sub_nc_u32_e32 v16, 0, v1
	v_mov_b32_e32 v1, v0
	s_inst_prefetch 0x1
	.p2align	6
.LBB62_21:                              ; =>This Inner Loop Header: Depth=1
	v_ashrrev_i32_e32 v2, 31, v1
	v_add_co_u32 v16, s3, v16, 1
	s_or_b32 s2, s3, s2
	v_lshlrev_b64 v[17:18], 2, v[1:2]
	v_add_nc_u32_e32 v1, 16, v1
	v_add_co_u32 v17, vcc_lo, s12, v17
	v_add_co_ci_u32_e64 v18, null, s13, v18, vcc_lo
	global_load_dword v2, v[17:18], off
	s_waitcnt vmcnt(0)
	v_subrev_nc_u32_e32 v2, s16, v2
	v_lshlrev_b32_e32 v2, 2, v2
	v_ashrrev_i32_e32 v17, 31, v2
	v_add_co_u32 v21, vcc_lo, s6, v2
	v_add_co_ci_u32_e64 v22, null, s7, v17, vcc_lo
	global_load_dwordx4 v[17:20], v[6:7], off
	global_load_dword v2, v[21:22], off
	v_add_co_u32 v6, vcc_lo, 0x100, v6
	v_add_co_ci_u32_e64 v7, null, 0, v7, vcc_lo
	s_waitcnt vmcnt(0)
	v_dot4c_i32_i8 v11, v2, v20
	v_dot4c_i32_i8 v12, v2, v19
	;; [unrolled: 1-line block ×4, first 2 shown]
	s_andn2_b32 exec_lo, exec_lo, s2
	s_cbranch_execnz .LBB62_21
; %bb.22:
	s_inst_prefetch 0x2
	s_or_b32 exec_lo, exec_lo, s2
.LBB62_23:
	s_or_b32 exec_lo, exec_lo, s1
	s_mov_b32 s9, exec_lo
	v_cmpx_lt_u32_e32 47, v15
	s_cbranch_execz .LBB62_27
; %bb.24:
	s_mov_b32 s10, 0
.LBB62_25:                              ; =>This Inner Loop Header: Depth=1
	v_ashrrev_i32_e32 v2, 31, v1
	v_lshlrev_b64 v[15:16], 2, v[1:2]
	v_add_nc_u32_e32 v1, 64, v1
	v_add_co_u32 v15, vcc_lo, s12, v15
	v_add_co_ci_u32_e64 v16, null, s13, v16, vcc_lo
	s_clause 0x3
	global_load_dword v2, v[15:16], off
	global_load_dword v27, v[15:16], off offset:64
	global_load_dword v28, v[15:16], off offset:128
	;; [unrolled: 1-line block ×3, first 2 shown]
	s_clause 0x2
	global_load_dwordx4 v[15:18], v[6:7], off
	global_load_dwordx4 v[19:22], v[6:7], off offset:256
	global_load_dwordx4 v[23:26], v[6:7], off offset:512
	s_waitcnt vmcnt(6)
	v_subrev_nc_u32_e32 v2, s16, v2
	s_waitcnt vmcnt(5)
	v_subrev_nc_u32_e32 v27, s16, v27
	;; [unrolled: 2-line block ×4, first 2 shown]
	v_lshlrev_b32_e32 v2, 2, v2
	v_lshlrev_b32_e32 v27, 2, v27
	;; [unrolled: 1-line block ×4, first 2 shown]
	v_ashrrev_i32_e32 v33, 31, v2
	v_add_co_u32 v32, s3, s6, v2
	v_ashrrev_i32_e32 v34, 31, v27
	v_add_co_u32 v27, vcc_lo, s6, v27
	v_add_co_ci_u32_e64 v33, null, s7, v33, s3
	v_ashrrev_i32_e32 v35, 31, v28
	v_add_co_u32 v29, s1, s6, v28
	v_add_co_ci_u32_e64 v28, null, s7, v34, vcc_lo
	global_load_dword v2, v[32:33], off
	v_ashrrev_i32_e32 v36, 31, v30
	v_add_co_u32 v31, s2, s6, v30
	global_load_dword v33, v[27:28], off
	v_add_co_ci_u32_e64 v30, null, s7, v35, s1
	v_add_co_ci_u32_e64 v32, null, s7, v36, s2
	global_load_dword v34, v[29:30], off
	global_load_dwordx4 v[27:30], v[6:7], off offset:768
	global_load_dword v31, v[31:32], off
	v_add_co_u32 v6, vcc_lo, 0x400, v6
	v_add_co_ci_u32_e64 v7, null, 0, v7, vcc_lo
	v_cmp_ge_i32_e32 vcc_lo, v1, v13
	s_or_b32 s10, vcc_lo, s10
	s_waitcnt vmcnt(4)
	v_dot4c_i32_i8 v9, v2, v15
	v_dot4c_i32_i8 v11, v2, v18
	v_dot4c_i32_i8 v12, v2, v17
	v_dot4c_i32_i8 v10, v2, v16
	s_waitcnt vmcnt(3)
	v_dot4c_i32_i8 v9, v33, v19
	v_dot4c_i32_i8 v11, v33, v22
	v_dot4c_i32_i8 v12, v33, v21
	v_dot4c_i32_i8 v10, v33, v20
	;; [unrolled: 5-line block ×4, first 2 shown]
	s_andn2_b32 exec_lo, exec_lo, s10
	s_cbranch_execnz .LBB62_25
; %bb.26:
	s_or_b32 exec_lo, exec_lo, s10
.LBB62_27:
	s_or_b32 exec_lo, exec_lo, s9
.LBB62_28:
	s_or_b32 exec_lo, exec_lo, s8
	s_cbranch_execz .LBB62_30
	s_branch .LBB62_41
.LBB62_29:
                                        ; implicit-def: $vgpr11
                                        ; implicit-def: $vgpr9
                                        ; implicit-def: $vgpr10
                                        ; implicit-def: $vgpr12
.LBB62_30:
	v_mov_b32_e32 v11, 0
	v_mov_b32_e32 v12, 0
	;; [unrolled: 1-line block ×4, first 2 shown]
	s_and_saveexec_b32 s3, s0
	s_cbranch_execz .LBB62_40
; %bb.31:
	v_add_nc_u32_e32 v1, v14, v8
	v_not_b32_e32 v2, v14
	v_mov_b32_e32 v9, 0
	s_mov_b32 s1, 0
	s_mov_b32 s0, exec_lo
	v_subrev_nc_u32_e32 v1, s16, v1
	v_mov_b32_e32 v10, v9
	v_mov_b32_e32 v12, v9
	;; [unrolled: 1-line block ×3, first 2 shown]
	v_add_nc_u32_e32 v1, 16, v1
	v_max_i32_e32 v1, v1, v13
	v_add3_u32 v1, s16, v1, v2
	v_sub_nc_u32_e32 v2, v1, v8
	v_and_b32_e32 v1, 48, v2
	v_cmpx_ne_u32_e32 48, v1
	s_cbranch_execz .LBB62_35
; %bb.32:
	v_lshrrev_b32_e32 v1, 4, v2
	v_mov_b32_e32 v10, 0
	v_mov_b32_e32 v12, 0
	;; [unrolled: 1-line block ×3, first 2 shown]
	v_add_nc_u32_e32 v1, 1, v1
	v_and_b32_e32 v1, 3, v1
	v_sub_nc_u32_e32 v6, 0, v1
.LBB62_33:                              ; =>This Inner Loop Header: Depth=1
	v_ashrrev_i32_e32 v1, 31, v0
	v_add_co_u32 v6, s2, v6, 1
	s_or_b32 s1, s2, s1
	v_lshlrev_b64 v[14:15], 2, v[0:1]
	v_add_nc_u32_e32 v0, 16, v0
	v_add_co_u32 v14, vcc_lo, s12, v14
	v_add_co_ci_u32_e64 v15, null, s13, v15, vcc_lo
	global_load_dword v1, v[14:15], off
	global_load_dwordx4 v[14:17], v[4:5], off
	s_waitcnt vmcnt(1)
	v_subrev_nc_u32_e32 v1, s16, v1
	s_waitcnt vmcnt(0)
	v_perm_b32 v20, v17, v16, 0x6020c0c
	v_perm_b32 v21, v15, v14, 0xc0c0501
	;; [unrolled: 1-line block ×3, first 2 shown]
	v_lshlrev_b32_e32 v1, 2, v1
	v_ashrrev_i32_e32 v7, 31, v1
	v_add_co_u32 v18, vcc_lo, s6, v1
	v_add_co_ci_u32_e64 v19, null, s7, v7, vcc_lo
	v_perm_b32 v7, v15, v14, 0xc0c0703
	v_add_co_u32 v4, vcc_lo, 0x100, v4
	global_load_dword v1, v[18:19], off
	v_perm_b32 v18, v17, v16, 0x7030c0c
	v_perm_b32 v19, v15, v14, 0xc0c0602
	;; [unrolled: 1-line block ×4, first 2 shown]
	v_or_b32_e32 v17, v22, v21
	v_or_b32_e32 v7, v18, v7
	;; [unrolled: 1-line block ×3, first 2 shown]
	v_add_co_ci_u32_e64 v5, null, 0, v5, vcc_lo
	v_or_b32_e32 v14, v15, v14
	s_waitcnt vmcnt(0)
	v_dot4c_i32_i8 v11, v1, v7
	v_dot4c_i32_i8 v12, v1, v16
	;; [unrolled: 1-line block ×4, first 2 shown]
	s_andn2_b32 exec_lo, exec_lo, s1
	s_cbranch_execnz .LBB62_33
; %bb.34:
	s_or_b32 exec_lo, exec_lo, s1
.LBB62_35:
	s_or_b32 exec_lo, exec_lo, s0
	s_mov_b32 s8, exec_lo
	v_cmpx_lt_u32_e32 47, v2
	s_cbranch_execz .LBB62_39
; %bb.36:
	s_mov_b32 s9, 0
.LBB62_37:                              ; =>This Inner Loop Header: Depth=1
	v_ashrrev_i32_e32 v1, 31, v0
	v_lshlrev_b64 v[1:2], 2, v[0:1]
	v_add_nc_u32_e32 v0, 64, v0
	v_add_co_u32 v1, vcc_lo, s12, v1
	v_add_co_ci_u32_e64 v2, null, s13, v2, vcc_lo
	s_clause 0x3
	global_load_dword v6, v[1:2], off
	global_load_dword v7, v[1:2], off offset:64
	global_load_dword v30, v[1:2], off offset:128
	;; [unrolled: 1-line block ×3, first 2 shown]
	s_clause 0x3
	global_load_dwordx4 v[14:17], v[4:5], off
	global_load_dwordx4 v[18:21], v[4:5], off offset:256
	global_load_dwordx4 v[22:25], v[4:5], off offset:512
	;; [unrolled: 1-line block ×3, first 2 shown]
	s_waitcnt vmcnt(7)
	v_subrev_nc_u32_e32 v2, s16, v6
	s_waitcnt vmcnt(6)
	v_subrev_nc_u32_e32 v6, s16, v7
	;; [unrolled: 2-line block ×4, first 2 shown]
	v_lshlrev_b32_e32 v2, 2, v2
	v_lshlrev_b32_e32 v6, 2, v6
	;; [unrolled: 1-line block ×4, first 2 shown]
	s_waitcnt vmcnt(2)
	v_perm_b32 v36, v19, v18, 0xc0c0602
	v_ashrrev_i32_e32 v32, 31, v2
	v_add_co_u32 v31, s2, s6, v2
	v_ashrrev_i32_e32 v33, 31, v6
	v_add_co_u32 v1, vcc_lo, s6, v6
	v_add_co_ci_u32_e64 v32, null, s7, v32, s2
	v_add_co_ci_u32_e64 v2, null, s7, v33, vcc_lo
	v_ashrrev_i32_e32 v34, 31, v7
	global_load_dword v32, v[31:32], off
	v_ashrrev_i32_e32 v35, 31, v30
	v_add_co_u32 v6, s0, s6, v7
	v_add_co_u32 v30, s1, s6, v30
	global_load_dword v1, v[1:2], off
	v_add_co_ci_u32_e64 v7, null, s7, v34, s0
	v_add_co_ci_u32_e64 v31, null, s7, v35, s1
	s_clause 0x1
	global_load_dword v2, v[6:7], off
	global_load_dword v6, v[30:31], off
	v_perm_b32 v7, v15, v14, 0xc0c0400
	v_perm_b32 v30, v17, v16, 0x4000c0c
	;; [unrolled: 1-line block ×15, first 2 shown]
	s_waitcnt vmcnt(5)
	v_perm_b32 v20, v23, v22, 0xc0c0400
	v_perm_b32 v21, v25, v24, 0x4000c0c
	;; [unrolled: 1-line block ×8, first 2 shown]
	s_waitcnt vmcnt(4)
	v_perm_b32 v24, v27, v26, 0xc0c0703
	v_perm_b32 v25, v29, v28, 0x7030c0c
	;; [unrolled: 1-line block ×8, first 2 shown]
	v_or_b32_e32 v7, v30, v7
	v_or_b32_e32 v28, v33, v31
	;; [unrolled: 1-line block ×14, first 2 shown]
	v_add_co_u32 v4, vcc_lo, 0x400, v4
	v_add_co_ci_u32_e64 v5, null, 0, v5, vcc_lo
	v_cmp_ge_i32_e32 vcc_lo, v0, v13
	s_or_b32 s9, vcc_lo, s9
	s_waitcnt vmcnt(3)
	v_dot4c_i32_i8 v11, v32, v14
	v_dot4c_i32_i8 v12, v32, v29
	v_dot4c_i32_i8 v10, v32, v28
	v_dot4c_i32_i8 v9, v32, v7
	v_or_b32_e32 v7, v47, v46
	s_waitcnt vmcnt(2)
	v_dot4c_i32_i8 v11, v1, v15
	v_dot4c_i32_i8 v12, v1, v16
	;; [unrolled: 1-line block ×4, first 2 shown]
	v_or_b32_e32 v1, v27, v26
	s_waitcnt vmcnt(1)
	v_dot4c_i32_i8 v11, v2, v22
	v_dot4c_i32_i8 v12, v2, v21
	v_dot4c_i32_i8 v10, v2, v20
	v_dot4c_i32_i8 v9, v2, v19
	s_waitcnt vmcnt(0)
	v_dot4c_i32_i8 v11, v6, v23
	v_dot4c_i32_i8 v12, v6, v24
	;; [unrolled: 1-line block ×4, first 2 shown]
	s_andn2_b32 exec_lo, exec_lo, s9
	s_cbranch_execnz .LBB62_37
; %bb.38:
	s_or_b32 exec_lo, exec_lo, s9
.LBB62_39:
	s_or_b32 exec_lo, exec_lo, s8
.LBB62_40:
	s_or_b32 exec_lo, exec_lo, s3
.LBB62_41:
	v_mbcnt_lo_u32_b32 v0, -1, 0
	s_mov_b32 s2, -1
	v_xor_b32_e32 v1, 8, v0
	v_xor_b32_e32 v6, 4, v0
	v_cmp_gt_i32_e32 vcc_lo, 32, v1
	v_cndmask_b32_e32 v1, v0, v1, vcc_lo
	v_cmp_gt_i32_e32 vcc_lo, 32, v6
	v_lshlrev_b32_e32 v1, 2, v1
	v_cndmask_b32_e32 v6, v0, v6, vcc_lo
	ds_bpermute_b32 v2, v1, v9
	ds_bpermute_b32 v4, v1, v10
	ds_bpermute_b32 v5, v1, v12
	ds_bpermute_b32 v1, v1, v11
	v_lshlrev_b32_e32 v6, 2, v6
	s_waitcnt lgkmcnt(3)
	v_add_nc_u32_e32 v2, v2, v9
	s_waitcnt lgkmcnt(2)
	v_add_nc_u32_e32 v4, v4, v10
	;; [unrolled: 2-line block ×4, first 2 shown]
	v_xor_b32_e32 v11, 2, v0
	ds_bpermute_b32 v7, v6, v2
	ds_bpermute_b32 v9, v6, v4
	;; [unrolled: 1-line block ×4, first 2 shown]
	v_cmp_gt_i32_e32 vcc_lo, 32, v11
	v_cndmask_b32_e32 v11, v0, v11, vcc_lo
	v_lshlrev_b32_e32 v11, 2, v11
	s_waitcnt lgkmcnt(3)
	v_add_nc_u32_e32 v2, v7, v2
	s_waitcnt lgkmcnt(2)
	v_add_nc_u32_e32 v4, v9, v4
	;; [unrolled: 2-line block ×4, first 2 shown]
	ds_bpermute_b32 v1, v11, v2
	ds_bpermute_b32 v7, v11, v4
	;; [unrolled: 1-line block ×4, first 2 shown]
	v_xor_b32_e32 v11, 1, v0
	v_cmp_gt_i32_e32 vcc_lo, 32, v11
	v_cndmask_b32_e32 v0, v0, v11, vcc_lo
	v_cmp_eq_u32_e32 vcc_lo, 15, v8
	v_lshlrev_b32_e32 v11, 2, v0
	s_waitcnt lgkmcnt(3)
	v_add_nc_u32_e32 v0, v1, v2
	s_waitcnt lgkmcnt(2)
	v_add_nc_u32_e32 v1, v7, v4
	;; [unrolled: 2-line block ×4, first 2 shown]
	ds_bpermute_b32 v5, v11, v0
	ds_bpermute_b32 v6, v11, v1
	ds_bpermute_b32 v7, v11, v2
	ds_bpermute_b32 v9, v11, v4
	s_and_b32 exec_lo, exec_lo, vcc_lo
	s_cbranch_execz .LBB62_14
; %bb.42:
	s_load_dwordx2 s[0:1], s[4:5], 0x50
	s_waitcnt lgkmcnt(0)
	v_add_nc_u32_e32 v0, v5, v0
	v_add_nc_u32_e32 v1, v6, v1
	;; [unrolled: 1-line block ×4, first 2 shown]
	v_lshlrev_b32_e32 v5, 2, v3
	v_mul_lo_u32 v0, v0, s17
	v_mul_lo_u32 v1, v1, s17
	;; [unrolled: 1-line block ×4, first 2 shown]
	s_cmp_eq_u32 s18, 0
	s_cbranch_scc1 .LBB62_44
; %bb.43:
	v_ashrrev_i32_e32 v6, 31, v5
	s_mov_b32 s2, 0
	v_lshlrev_b64 v[6:7], 2, v[5:6]
	v_add_co_u32 v13, vcc_lo, s0, v6
	v_add_co_ci_u32_e64 v14, null, s1, v7, vcc_lo
	global_load_dwordx4 v[6:9], v[13:14], off
	s_waitcnt vmcnt(0)
	v_mad_u64_u32 v[15:16], null, v9, s18, v[4:5]
	v_mad_u64_u32 v[9:10], null, v6, s18, v[0:1]
	;; [unrolled: 1-line block ×4, first 2 shown]
	v_mov_b32_e32 v12, v15
	global_store_dwordx4 v[13:14], v[9:12], off
.LBB62_44:
	s_andn2_b32 vcc_lo, exec_lo, s2
	s_cbranch_vccnz .LBB62_14
; %bb.45:
	v_ashrrev_i32_e32 v6, 31, v5
	v_mov_b32_e32 v3, v4
	v_lshlrev_b64 v[5:6], 2, v[5:6]
	v_add_co_u32 v5, vcc_lo, s0, v5
	v_add_co_ci_u32_e64 v6, null, s1, v6, vcc_lo
	global_store_dwordx4 v[5:6], v[0:3], off
	s_endpgm
	.section	.rodata,"a",@progbits
	.p2align	6, 0x0
	.amdhsa_kernel _ZN9rocsparseL18bsrxmvn_4x4_kernelILj128ELj16EiiiaaiEEvT3_20rocsparse_direction_NS_24const_host_device_scalarIT1_EES1_PKS1_PKT2_SA_S7_PKT4_PKT5_S5_PT6_21rocsparse_index_base_b
		.amdhsa_group_segment_fixed_size 0
		.amdhsa_private_segment_fixed_size 0
		.amdhsa_kernarg_size 96
		.amdhsa_user_sgpr_count 6
		.amdhsa_user_sgpr_private_segment_buffer 1
		.amdhsa_user_sgpr_dispatch_ptr 0
		.amdhsa_user_sgpr_queue_ptr 0
		.amdhsa_user_sgpr_kernarg_segment_ptr 1
		.amdhsa_user_sgpr_dispatch_id 0
		.amdhsa_user_sgpr_flat_scratch_init 0
		.amdhsa_user_sgpr_private_segment_size 0
		.amdhsa_wavefront_size32 1
		.amdhsa_uses_dynamic_stack 0
		.amdhsa_system_sgpr_private_segment_wavefront_offset 0
		.amdhsa_system_sgpr_workgroup_id_x 1
		.amdhsa_system_sgpr_workgroup_id_y 0
		.amdhsa_system_sgpr_workgroup_id_z 0
		.amdhsa_system_sgpr_workgroup_info 0
		.amdhsa_system_vgpr_workitem_id 0
		.amdhsa_next_free_vgpr 48
		.amdhsa_next_free_sgpr 19
		.amdhsa_reserve_vcc 1
		.amdhsa_reserve_flat_scratch 0
		.amdhsa_float_round_mode_32 0
		.amdhsa_float_round_mode_16_64 0
		.amdhsa_float_denorm_mode_32 3
		.amdhsa_float_denorm_mode_16_64 3
		.amdhsa_dx10_clamp 1
		.amdhsa_ieee_mode 1
		.amdhsa_fp16_overflow 0
		.amdhsa_workgroup_processor_mode 1
		.amdhsa_memory_ordered 1
		.amdhsa_forward_progress 1
		.amdhsa_shared_vgpr_count 0
		.amdhsa_exception_fp_ieee_invalid_op 0
		.amdhsa_exception_fp_denorm_src 0
		.amdhsa_exception_fp_ieee_div_zero 0
		.amdhsa_exception_fp_ieee_overflow 0
		.amdhsa_exception_fp_ieee_underflow 0
		.amdhsa_exception_fp_ieee_inexact 0
		.amdhsa_exception_int_div_zero 0
	.end_amdhsa_kernel
	.section	.text._ZN9rocsparseL18bsrxmvn_4x4_kernelILj128ELj16EiiiaaiEEvT3_20rocsparse_direction_NS_24const_host_device_scalarIT1_EES1_PKS1_PKT2_SA_S7_PKT4_PKT5_S5_PT6_21rocsparse_index_base_b,"axG",@progbits,_ZN9rocsparseL18bsrxmvn_4x4_kernelILj128ELj16EiiiaaiEEvT3_20rocsparse_direction_NS_24const_host_device_scalarIT1_EES1_PKS1_PKT2_SA_S7_PKT4_PKT5_S5_PT6_21rocsparse_index_base_b,comdat
.Lfunc_end62:
	.size	_ZN9rocsparseL18bsrxmvn_4x4_kernelILj128ELj16EiiiaaiEEvT3_20rocsparse_direction_NS_24const_host_device_scalarIT1_EES1_PKS1_PKT2_SA_S7_PKT4_PKT5_S5_PT6_21rocsparse_index_base_b, .Lfunc_end62-_ZN9rocsparseL18bsrxmvn_4x4_kernelILj128ELj16EiiiaaiEEvT3_20rocsparse_direction_NS_24const_host_device_scalarIT1_EES1_PKS1_PKT2_SA_S7_PKT4_PKT5_S5_PT6_21rocsparse_index_base_b
                                        ; -- End function
	.set _ZN9rocsparseL18bsrxmvn_4x4_kernelILj128ELj16EiiiaaiEEvT3_20rocsparse_direction_NS_24const_host_device_scalarIT1_EES1_PKS1_PKT2_SA_S7_PKT4_PKT5_S5_PT6_21rocsparse_index_base_b.num_vgpr, 48
	.set _ZN9rocsparseL18bsrxmvn_4x4_kernelILj128ELj16EiiiaaiEEvT3_20rocsparse_direction_NS_24const_host_device_scalarIT1_EES1_PKS1_PKT2_SA_S7_PKT4_PKT5_S5_PT6_21rocsparse_index_base_b.num_agpr, 0
	.set _ZN9rocsparseL18bsrxmvn_4x4_kernelILj128ELj16EiiiaaiEEvT3_20rocsparse_direction_NS_24const_host_device_scalarIT1_EES1_PKS1_PKT2_SA_S7_PKT4_PKT5_S5_PT6_21rocsparse_index_base_b.numbered_sgpr, 19
	.set _ZN9rocsparseL18bsrxmvn_4x4_kernelILj128ELj16EiiiaaiEEvT3_20rocsparse_direction_NS_24const_host_device_scalarIT1_EES1_PKS1_PKT2_SA_S7_PKT4_PKT5_S5_PT6_21rocsparse_index_base_b.num_named_barrier, 0
	.set _ZN9rocsparseL18bsrxmvn_4x4_kernelILj128ELj16EiiiaaiEEvT3_20rocsparse_direction_NS_24const_host_device_scalarIT1_EES1_PKS1_PKT2_SA_S7_PKT4_PKT5_S5_PT6_21rocsparse_index_base_b.private_seg_size, 0
	.set _ZN9rocsparseL18bsrxmvn_4x4_kernelILj128ELj16EiiiaaiEEvT3_20rocsparse_direction_NS_24const_host_device_scalarIT1_EES1_PKS1_PKT2_SA_S7_PKT4_PKT5_S5_PT6_21rocsparse_index_base_b.uses_vcc, 1
	.set _ZN9rocsparseL18bsrxmvn_4x4_kernelILj128ELj16EiiiaaiEEvT3_20rocsparse_direction_NS_24const_host_device_scalarIT1_EES1_PKS1_PKT2_SA_S7_PKT4_PKT5_S5_PT6_21rocsparse_index_base_b.uses_flat_scratch, 0
	.set _ZN9rocsparseL18bsrxmvn_4x4_kernelILj128ELj16EiiiaaiEEvT3_20rocsparse_direction_NS_24const_host_device_scalarIT1_EES1_PKS1_PKT2_SA_S7_PKT4_PKT5_S5_PT6_21rocsparse_index_base_b.has_dyn_sized_stack, 0
	.set _ZN9rocsparseL18bsrxmvn_4x4_kernelILj128ELj16EiiiaaiEEvT3_20rocsparse_direction_NS_24const_host_device_scalarIT1_EES1_PKS1_PKT2_SA_S7_PKT4_PKT5_S5_PT6_21rocsparse_index_base_b.has_recursion, 0
	.set _ZN9rocsparseL18bsrxmvn_4x4_kernelILj128ELj16EiiiaaiEEvT3_20rocsparse_direction_NS_24const_host_device_scalarIT1_EES1_PKS1_PKT2_SA_S7_PKT4_PKT5_S5_PT6_21rocsparse_index_base_b.has_indirect_call, 0
	.section	.AMDGPU.csdata,"",@progbits
; Kernel info:
; codeLenInByte = 3068
; TotalNumSgprs: 21
; NumVgprs: 48
; ScratchSize: 0
; MemoryBound: 0
; FloatMode: 240
; IeeeMode: 1
; LDSByteSize: 0 bytes/workgroup (compile time only)
; SGPRBlocks: 0
; VGPRBlocks: 5
; NumSGPRsForWavesPerEU: 21
; NumVGPRsForWavesPerEU: 48
; Occupancy: 16
; WaveLimiterHint : 1
; COMPUTE_PGM_RSRC2:SCRATCH_EN: 0
; COMPUTE_PGM_RSRC2:USER_SGPR: 6
; COMPUTE_PGM_RSRC2:TRAP_HANDLER: 0
; COMPUTE_PGM_RSRC2:TGID_X_EN: 1
; COMPUTE_PGM_RSRC2:TGID_Y_EN: 0
; COMPUTE_PGM_RSRC2:TGID_Z_EN: 0
; COMPUTE_PGM_RSRC2:TIDIG_COMP_CNT: 0
	.section	.text._ZN9rocsparseL18bsrxmvn_4x4_kernelILj128ELj32EiiiaaiEEvT3_20rocsparse_direction_NS_24const_host_device_scalarIT1_EES1_PKS1_PKT2_SA_S7_PKT4_PKT5_S5_PT6_21rocsparse_index_base_b,"axG",@progbits,_ZN9rocsparseL18bsrxmvn_4x4_kernelILj128ELj32EiiiaaiEEvT3_20rocsparse_direction_NS_24const_host_device_scalarIT1_EES1_PKS1_PKT2_SA_S7_PKT4_PKT5_S5_PT6_21rocsparse_index_base_b,comdat
	.globl	_ZN9rocsparseL18bsrxmvn_4x4_kernelILj128ELj32EiiiaaiEEvT3_20rocsparse_direction_NS_24const_host_device_scalarIT1_EES1_PKS1_PKT2_SA_S7_PKT4_PKT5_S5_PT6_21rocsparse_index_base_b ; -- Begin function _ZN9rocsparseL18bsrxmvn_4x4_kernelILj128ELj32EiiiaaiEEvT3_20rocsparse_direction_NS_24const_host_device_scalarIT1_EES1_PKS1_PKT2_SA_S7_PKT4_PKT5_S5_PT6_21rocsparse_index_base_b
	.p2align	8
	.type	_ZN9rocsparseL18bsrxmvn_4x4_kernelILj128ELj32EiiiaaiEEvT3_20rocsparse_direction_NS_24const_host_device_scalarIT1_EES1_PKS1_PKT2_SA_S7_PKT4_PKT5_S5_PT6_21rocsparse_index_base_b,@function
_ZN9rocsparseL18bsrxmvn_4x4_kernelILj128ELj32EiiiaaiEEvT3_20rocsparse_direction_NS_24const_host_device_scalarIT1_EES1_PKS1_PKT2_SA_S7_PKT4_PKT5_S5_PT6_21rocsparse_index_base_b: ; @_ZN9rocsparseL18bsrxmvn_4x4_kernelILj128ELj32EiiiaaiEEvT3_20rocsparse_direction_NS_24const_host_device_scalarIT1_EES1_PKS1_PKT2_SA_S7_PKT4_PKT5_S5_PT6_21rocsparse_index_base_b
; %bb.0:
	s_clause 0x1
	s_load_dwordx2 s[16:17], s[4:5], 0x58
	s_load_dwordx2 s[2:3], s[4:5], 0x8
	s_mov_b32 s8, -1
	s_waitcnt lgkmcnt(0)
	s_bitcmp1_b32 s17, 0
                                        ; implicit-def: $sgpr17
	s_cselect_b32 s0, -1, 0
	s_xor_b32 s7, s0, -1
	s_and_b32 vcc_lo, exec_lo, s7
	s_cbranch_vccnz .LBB63_4
; %bb.1:
	s_load_dwordx2 s[0:1], s[4:5], 0x48
	s_andn2_b32 vcc_lo, exec_lo, s8
	s_cbranch_vccz .LBB63_5
.LBB63_2:
	s_and_b32 vcc_lo, exec_lo, s7
	s_cbranch_vccz .LBB63_6
.LBB63_3:
	s_waitcnt lgkmcnt(0)
	s_load_dword s18, s[0:1], 0x0
	s_cbranch_execz .LBB63_7
	s_branch .LBB63_8
.LBB63_4:
	s_load_dword s17, s[2:3], 0x0
	s_load_dwordx2 s[0:1], s[4:5], 0x48
	s_cbranch_execnz .LBB63_2
.LBB63_5:
	s_waitcnt lgkmcnt(0)
	s_mov_b32 s17, s2
	s_and_b32 vcc_lo, exec_lo, s7
	s_cbranch_vccnz .LBB63_3
.LBB63_6:
	s_waitcnt lgkmcnt(0)
                                        ; implicit-def: $sgpr18
.LBB63_7:
	s_waitcnt lgkmcnt(0)
	s_mov_b32 s18, s0
.LBB63_8:
	s_cmp_lg_u32 s17, 0
	s_mov_b32 s7, 0
	s_cselect_b32 s0, -1, 0
	s_waitcnt lgkmcnt(0)
	s_cmp_lg_u32 s18, 1
	s_cselect_b32 s1, -1, 0
	s_or_b32 s0, s0, s1
	s_andn2_b32 vcc_lo, exec_lo, s0
	s_cbranch_vccnz .LBB63_14
; %bb.9:
	s_clause 0x1
	s_load_dwordx2 s[2:3], s[4:5], 0x18
	s_load_dwordx2 s[0:1], s[4:5], 0x0
	v_lshrrev_b32_e32 v1, 5, v0
	v_lshl_or_b32 v3, s6, 2, v1
	s_waitcnt lgkmcnt(0)
	s_cmp_lg_u64 s[2:3], 0
	s_cbranch_scc0 .LBB63_15
; %bb.10:
	s_load_dword s6, s[4:5], 0x10
                                        ; implicit-def: $vgpr1
	s_waitcnt lgkmcnt(0)
	v_cmp_gt_i32_e32 vcc_lo, s6, v3
	s_mov_b32 s6, 0
	s_and_saveexec_b32 s8, vcc_lo
	s_xor_b32 s8, exec_lo, s8
	s_cbranch_execz .LBB63_12
; %bb.11:
	v_ashrrev_i32_e32 v4, 31, v3
	s_mov_b32 s7, exec_lo
	v_lshlrev_b64 v[1:2], 2, v[3:4]
	v_add_co_u32 v1, vcc_lo, s2, v1
	v_add_co_ci_u32_e64 v2, null, s3, v2, vcc_lo
	global_load_dword v1, v[1:2], off
	s_waitcnt vmcnt(0)
	v_subrev_nc_u32_e32 v1, s16, v1
.LBB63_12:
	s_or_b32 exec_lo, exec_lo, s8
	s_and_b32 vcc_lo, exec_lo, s6
	s_cbranch_vccz .LBB63_16
.LBB63_13:
	v_cmp_gt_i32_e32 vcc_lo, s0, v3
	s_andn2_b32 s0, s7, exec_lo
	s_and_b32 s2, vcc_lo, exec_lo
	s_or_b32 s7, s0, s2
	s_and_saveexec_b32 s0, s7
	s_cbranch_execnz .LBB63_17
.LBB63_14:
	s_endpgm
.LBB63_15:
                                        ; implicit-def: $vgpr1
	s_cbranch_execnz .LBB63_13
.LBB63_16:
	v_mov_b32_e32 v3, v1
	s_and_saveexec_b32 s0, s7
	s_cbranch_execz .LBB63_14
.LBB63_17:
	s_load_dwordx8 s[8:15], s[4:5], 0x20
	v_ashrrev_i32_e32 v4, 31, v3
	v_and_b32_e32 v8, 31, v0
	s_load_dwordx2 s[6:7], s[4:5], 0x40
	v_lshlrev_b64 v[1:2], 2, v[3:4]
	s_waitcnt lgkmcnt(0)
	v_add_co_u32 v4, vcc_lo, s8, v1
	v_add_co_ci_u32_e64 v5, null, s9, v2, vcc_lo
	v_add_co_u32 v1, vcc_lo, s10, v1
	v_add_co_ci_u32_e64 v2, null, s11, v2, vcc_lo
	global_load_dword v14, v[4:5], off
	v_add_co_u32 v4, vcc_lo, v4, 4
	v_add_co_ci_u32_e64 v5, null, 0, v5, vcc_lo
	s_cmp_eq_u64 s[10:11], 0
	s_cselect_b32 vcc_lo, -1, 0
	s_cmp_eq_u32 s1, 1
	v_cndmask_b32_e32 v2, v2, v5, vcc_lo
	v_cndmask_b32_e32 v1, v1, v4, vcc_lo
	global_load_dword v4, v[1:2], off
	s_waitcnt vmcnt(1)
	v_subrev_nc_u32_e32 v0, s16, v14
	v_add_nc_u32_e32 v0, v0, v8
	v_ashrrev_i32_e32 v1, 31, v0
	s_waitcnt vmcnt(0)
	v_subrev_nc_u32_e32 v13, s16, v4
	v_lshlrev_b64 v[1:2], 4, v[0:1]
	v_cmp_lt_i32_e64 s0, v0, v13
	v_add_co_u32 v4, vcc_lo, s14, v1
	v_add_co_ci_u32_e64 v5, null, s15, v2, vcc_lo
	s_cbranch_scc1 .LBB63_29
; %bb.18:
	v_mov_b32_e32 v11, 0
	v_mov_b32_e32 v12, 0
	;; [unrolled: 1-line block ×4, first 2 shown]
	s_and_saveexec_b32 s8, s0
	s_cbranch_execz .LBB63_28
; %bb.19:
	v_add_nc_u32_e32 v1, v14, v8
	v_not_b32_e32 v2, v14
	v_mov_b32_e32 v9, 0
	v_mov_b32_e32 v7, v5
	;; [unrolled: 1-line block ×3, first 2 shown]
	v_subrev_nc_u32_e32 v1, s16, v1
	s_mov_b32 s2, 0
	v_mov_b32_e32 v10, v9
	v_mov_b32_e32 v12, v9
	;; [unrolled: 1-line block ×3, first 2 shown]
	v_add_nc_u32_e32 v1, 32, v1
	s_mov_b32 s1, exec_lo
	v_max_i32_e32 v1, v1, v13
	v_add3_u32 v1, s16, v1, v2
	v_sub_nc_u32_e32 v15, v1, v8
	v_mov_b32_e32 v1, v0
	v_and_b32_e32 v2, 0x60, v15
	v_cmpx_ne_u32_e32 0x60, v2
	s_cbranch_execz .LBB63_23
; %bb.20:
	v_lshrrev_b32_e32 v1, 5, v15
	v_mov_b32_e32 v7, v5
	v_mov_b32_e32 v10, 0
	;; [unrolled: 1-line block ×4, first 2 shown]
	v_add_nc_u32_e32 v1, 1, v1
	v_mov_b32_e32 v6, v4
	v_and_b32_e32 v1, 3, v1
	v_sub_nc_u32_e32 v16, 0, v1
	v_mov_b32_e32 v1, v0
	s_inst_prefetch 0x1
	.p2align	6
.LBB63_21:                              ; =>This Inner Loop Header: Depth=1
	v_ashrrev_i32_e32 v2, 31, v1
	v_add_co_u32 v16, s3, v16, 1
	s_or_b32 s2, s3, s2
	v_lshlrev_b64 v[17:18], 2, v[1:2]
	v_add_nc_u32_e32 v1, 32, v1
	v_add_co_u32 v17, vcc_lo, s12, v17
	v_add_co_ci_u32_e64 v18, null, s13, v18, vcc_lo
	global_load_dword v2, v[17:18], off
	s_waitcnt vmcnt(0)
	v_subrev_nc_u32_e32 v2, s16, v2
	v_lshlrev_b32_e32 v2, 2, v2
	v_ashrrev_i32_e32 v17, 31, v2
	v_add_co_u32 v21, vcc_lo, s6, v2
	v_add_co_ci_u32_e64 v22, null, s7, v17, vcc_lo
	global_load_dwordx4 v[17:20], v[6:7], off
	global_load_dword v2, v[21:22], off
	v_add_co_u32 v6, vcc_lo, 0x200, v6
	v_add_co_ci_u32_e64 v7, null, 0, v7, vcc_lo
	s_waitcnt vmcnt(0)
	v_dot4c_i32_i8 v11, v2, v20
	v_dot4c_i32_i8 v12, v2, v19
	;; [unrolled: 1-line block ×4, first 2 shown]
	s_andn2_b32 exec_lo, exec_lo, s2
	s_cbranch_execnz .LBB63_21
; %bb.22:
	s_inst_prefetch 0x2
	s_or_b32 exec_lo, exec_lo, s2
.LBB63_23:
	s_or_b32 exec_lo, exec_lo, s1
	s_mov_b32 s9, exec_lo
	v_cmpx_lt_u32_e32 0x5f, v15
	s_cbranch_execz .LBB63_27
; %bb.24:
	s_mov_b32 s10, 0
.LBB63_25:                              ; =>This Inner Loop Header: Depth=1
	v_ashrrev_i32_e32 v2, 31, v1
	v_lshlrev_b64 v[15:16], 2, v[1:2]
	v_add_nc_u32_e32 v1, 0x80, v1
	v_add_co_u32 v15, vcc_lo, s12, v15
	v_add_co_ci_u32_e64 v16, null, s13, v16, vcc_lo
	s_clause 0x3
	global_load_dword v2, v[15:16], off
	global_load_dword v27, v[15:16], off offset:128
	global_load_dword v28, v[15:16], off offset:256
	;; [unrolled: 1-line block ×3, first 2 shown]
	s_clause 0x2
	global_load_dwordx4 v[15:18], v[6:7], off
	global_load_dwordx4 v[19:22], v[6:7], off offset:512
	global_load_dwordx4 v[23:26], v[6:7], off offset:1024
	s_waitcnt vmcnt(6)
	v_subrev_nc_u32_e32 v2, s16, v2
	s_waitcnt vmcnt(5)
	v_subrev_nc_u32_e32 v27, s16, v27
	;; [unrolled: 2-line block ×4, first 2 shown]
	v_lshlrev_b32_e32 v2, 2, v2
	v_lshlrev_b32_e32 v27, 2, v27
	;; [unrolled: 1-line block ×4, first 2 shown]
	v_ashrrev_i32_e32 v33, 31, v2
	v_add_co_u32 v32, s3, s6, v2
	v_ashrrev_i32_e32 v34, 31, v27
	v_add_co_u32 v27, vcc_lo, s6, v27
	v_add_co_ci_u32_e64 v33, null, s7, v33, s3
	v_ashrrev_i32_e32 v35, 31, v28
	v_add_co_u32 v29, s1, s6, v28
	v_add_co_ci_u32_e64 v28, null, s7, v34, vcc_lo
	global_load_dword v2, v[32:33], off
	v_ashrrev_i32_e32 v36, 31, v30
	v_add_co_u32 v31, s2, s6, v30
	global_load_dword v33, v[27:28], off
	v_add_co_ci_u32_e64 v30, null, s7, v35, s1
	v_add_co_ci_u32_e64 v32, null, s7, v36, s2
	global_load_dword v34, v[29:30], off
	global_load_dwordx4 v[27:30], v[6:7], off offset:1536
	global_load_dword v31, v[31:32], off
	v_add_co_u32 v6, vcc_lo, 0x800, v6
	v_add_co_ci_u32_e64 v7, null, 0, v7, vcc_lo
	v_cmp_ge_i32_e32 vcc_lo, v1, v13
	s_or_b32 s10, vcc_lo, s10
	s_waitcnt vmcnt(4)
	v_dot4c_i32_i8 v9, v2, v15
	v_dot4c_i32_i8 v11, v2, v18
	v_dot4c_i32_i8 v12, v2, v17
	v_dot4c_i32_i8 v10, v2, v16
	s_waitcnt vmcnt(3)
	v_dot4c_i32_i8 v9, v33, v19
	v_dot4c_i32_i8 v11, v33, v22
	v_dot4c_i32_i8 v12, v33, v21
	v_dot4c_i32_i8 v10, v33, v20
	;; [unrolled: 5-line block ×4, first 2 shown]
	s_andn2_b32 exec_lo, exec_lo, s10
	s_cbranch_execnz .LBB63_25
; %bb.26:
	s_or_b32 exec_lo, exec_lo, s10
.LBB63_27:
	s_or_b32 exec_lo, exec_lo, s9
.LBB63_28:
	s_or_b32 exec_lo, exec_lo, s8
	s_cbranch_execz .LBB63_30
	s_branch .LBB63_41
.LBB63_29:
                                        ; implicit-def: $vgpr11
                                        ; implicit-def: $vgpr9
                                        ; implicit-def: $vgpr10
                                        ; implicit-def: $vgpr12
.LBB63_30:
	v_mov_b32_e32 v11, 0
	v_mov_b32_e32 v12, 0
	;; [unrolled: 1-line block ×4, first 2 shown]
	s_and_saveexec_b32 s3, s0
	s_cbranch_execz .LBB63_40
; %bb.31:
	v_add_nc_u32_e32 v1, v14, v8
	v_not_b32_e32 v2, v14
	v_mov_b32_e32 v9, 0
	s_mov_b32 s1, 0
	s_mov_b32 s0, exec_lo
	v_subrev_nc_u32_e32 v1, s16, v1
	v_mov_b32_e32 v10, v9
	v_mov_b32_e32 v12, v9
	v_mov_b32_e32 v11, v9
	v_add_nc_u32_e32 v1, 32, v1
	v_max_i32_e32 v1, v1, v13
	v_add3_u32 v1, s16, v1, v2
	v_sub_nc_u32_e32 v2, v1, v8
	v_and_b32_e32 v1, 0x60, v2
	v_cmpx_ne_u32_e32 0x60, v1
	s_cbranch_execz .LBB63_35
; %bb.32:
	v_lshrrev_b32_e32 v1, 5, v2
	v_mov_b32_e32 v10, 0
	v_mov_b32_e32 v12, 0
	;; [unrolled: 1-line block ×3, first 2 shown]
	v_add_nc_u32_e32 v1, 1, v1
	v_and_b32_e32 v1, 3, v1
	v_sub_nc_u32_e32 v6, 0, v1
.LBB63_33:                              ; =>This Inner Loop Header: Depth=1
	v_ashrrev_i32_e32 v1, 31, v0
	v_add_co_u32 v6, s2, v6, 1
	s_or_b32 s1, s2, s1
	v_lshlrev_b64 v[14:15], 2, v[0:1]
	v_add_nc_u32_e32 v0, 32, v0
	v_add_co_u32 v14, vcc_lo, s12, v14
	v_add_co_ci_u32_e64 v15, null, s13, v15, vcc_lo
	global_load_dword v1, v[14:15], off
	global_load_dwordx4 v[14:17], v[4:5], off
	s_waitcnt vmcnt(1)
	v_subrev_nc_u32_e32 v1, s16, v1
	s_waitcnt vmcnt(0)
	v_perm_b32 v20, v17, v16, 0x6020c0c
	v_perm_b32 v21, v15, v14, 0xc0c0501
	;; [unrolled: 1-line block ×3, first 2 shown]
	v_lshlrev_b32_e32 v1, 2, v1
	v_ashrrev_i32_e32 v7, 31, v1
	v_add_co_u32 v18, vcc_lo, s6, v1
	v_add_co_ci_u32_e64 v19, null, s7, v7, vcc_lo
	v_perm_b32 v7, v15, v14, 0xc0c0703
	v_add_co_u32 v4, vcc_lo, 0x200, v4
	global_load_dword v1, v[18:19], off
	v_perm_b32 v18, v17, v16, 0x7030c0c
	v_perm_b32 v19, v15, v14, 0xc0c0602
	;; [unrolled: 1-line block ×4, first 2 shown]
	v_or_b32_e32 v17, v22, v21
	v_or_b32_e32 v7, v18, v7
	;; [unrolled: 1-line block ×3, first 2 shown]
	v_add_co_ci_u32_e64 v5, null, 0, v5, vcc_lo
	v_or_b32_e32 v14, v15, v14
	s_waitcnt vmcnt(0)
	v_dot4c_i32_i8 v11, v1, v7
	v_dot4c_i32_i8 v12, v1, v16
	;; [unrolled: 1-line block ×4, first 2 shown]
	s_andn2_b32 exec_lo, exec_lo, s1
	s_cbranch_execnz .LBB63_33
; %bb.34:
	s_or_b32 exec_lo, exec_lo, s1
.LBB63_35:
	s_or_b32 exec_lo, exec_lo, s0
	s_mov_b32 s8, exec_lo
	v_cmpx_lt_u32_e32 0x5f, v2
	s_cbranch_execz .LBB63_39
; %bb.36:
	s_mov_b32 s9, 0
.LBB63_37:                              ; =>This Inner Loop Header: Depth=1
	v_ashrrev_i32_e32 v1, 31, v0
	v_lshlrev_b64 v[1:2], 2, v[0:1]
	v_add_nc_u32_e32 v0, 0x80, v0
	v_add_co_u32 v1, vcc_lo, s12, v1
	v_add_co_ci_u32_e64 v2, null, s13, v2, vcc_lo
	s_clause 0x3
	global_load_dword v6, v[1:2], off
	global_load_dword v7, v[1:2], off offset:128
	global_load_dword v30, v[1:2], off offset:256
	;; [unrolled: 1-line block ×3, first 2 shown]
	s_clause 0x3
	global_load_dwordx4 v[14:17], v[4:5], off
	global_load_dwordx4 v[18:21], v[4:5], off offset:512
	global_load_dwordx4 v[22:25], v[4:5], off offset:1024
	;; [unrolled: 1-line block ×3, first 2 shown]
	s_waitcnt vmcnt(7)
	v_subrev_nc_u32_e32 v2, s16, v6
	s_waitcnt vmcnt(6)
	v_subrev_nc_u32_e32 v6, s16, v7
	;; [unrolled: 2-line block ×4, first 2 shown]
	v_lshlrev_b32_e32 v2, 2, v2
	v_lshlrev_b32_e32 v6, 2, v6
	;; [unrolled: 1-line block ×4, first 2 shown]
	s_waitcnt vmcnt(2)
	v_perm_b32 v36, v19, v18, 0xc0c0602
	v_ashrrev_i32_e32 v32, 31, v2
	v_add_co_u32 v31, s2, s6, v2
	v_ashrrev_i32_e32 v33, 31, v6
	v_add_co_u32 v1, vcc_lo, s6, v6
	v_add_co_ci_u32_e64 v32, null, s7, v32, s2
	v_add_co_ci_u32_e64 v2, null, s7, v33, vcc_lo
	v_ashrrev_i32_e32 v34, 31, v7
	global_load_dword v32, v[31:32], off
	v_ashrrev_i32_e32 v35, 31, v30
	v_add_co_u32 v6, s0, s6, v7
	v_add_co_u32 v30, s1, s6, v30
	global_load_dword v1, v[1:2], off
	v_add_co_ci_u32_e64 v7, null, s7, v34, s0
	v_add_co_ci_u32_e64 v31, null, s7, v35, s1
	s_clause 0x1
	global_load_dword v2, v[6:7], off
	global_load_dword v6, v[30:31], off
	v_perm_b32 v7, v15, v14, 0xc0c0400
	v_perm_b32 v30, v17, v16, 0x4000c0c
	v_perm_b32 v31, v15, v14, 0xc0c0501
	v_perm_b32 v33, v17, v16, 0x5010c0c
	v_perm_b32 v34, v15, v14, 0xc0c0602
	v_perm_b32 v35, v17, v16, 0x6020c0c
	v_perm_b32 v14, v15, v14, 0xc0c0703
	v_perm_b32 v15, v17, v16, 0x7030c0c
	v_perm_b32 v16, v19, v18, 0xc0c0703
	v_perm_b32 v17, v21, v20, 0x7030c0c
	v_perm_b32 v37, v21, v20, 0x6020c0c
	v_perm_b32 v38, v19, v18, 0xc0c0501
	v_perm_b32 v39, v21, v20, 0x5010c0c
	v_perm_b32 v18, v19, v18, 0xc0c0400
	v_perm_b32 v19, v21, v20, 0x4000c0c
	s_waitcnt vmcnt(5)
	v_perm_b32 v20, v23, v22, 0xc0c0400
	v_perm_b32 v21, v25, v24, 0x4000c0c
	;; [unrolled: 1-line block ×8, first 2 shown]
	s_waitcnt vmcnt(4)
	v_perm_b32 v24, v27, v26, 0xc0c0703
	v_perm_b32 v25, v29, v28, 0x7030c0c
	;; [unrolled: 1-line block ×8, first 2 shown]
	v_or_b32_e32 v7, v30, v7
	v_or_b32_e32 v28, v33, v31
	;; [unrolled: 1-line block ×14, first 2 shown]
	v_add_co_u32 v4, vcc_lo, 0x800, v4
	v_add_co_ci_u32_e64 v5, null, 0, v5, vcc_lo
	v_cmp_ge_i32_e32 vcc_lo, v0, v13
	s_or_b32 s9, vcc_lo, s9
	s_waitcnt vmcnt(3)
	v_dot4c_i32_i8 v11, v32, v14
	v_dot4c_i32_i8 v12, v32, v29
	;; [unrolled: 1-line block ×4, first 2 shown]
	v_or_b32_e32 v7, v47, v46
	s_waitcnt vmcnt(2)
	v_dot4c_i32_i8 v11, v1, v15
	v_dot4c_i32_i8 v12, v1, v16
	;; [unrolled: 1-line block ×4, first 2 shown]
	v_or_b32_e32 v1, v27, v26
	s_waitcnt vmcnt(1)
	v_dot4c_i32_i8 v11, v2, v22
	v_dot4c_i32_i8 v12, v2, v21
	;; [unrolled: 1-line block ×4, first 2 shown]
	s_waitcnt vmcnt(0)
	v_dot4c_i32_i8 v11, v6, v23
	v_dot4c_i32_i8 v12, v6, v24
	;; [unrolled: 1-line block ×4, first 2 shown]
	s_andn2_b32 exec_lo, exec_lo, s9
	s_cbranch_execnz .LBB63_37
; %bb.38:
	s_or_b32 exec_lo, exec_lo, s9
.LBB63_39:
	s_or_b32 exec_lo, exec_lo, s8
.LBB63_40:
	s_or_b32 exec_lo, exec_lo, s3
.LBB63_41:
	v_mbcnt_lo_u32_b32 v0, -1, 0
	s_mov_b32 s2, -1
	v_xor_b32_e32 v1, 16, v0
	v_xor_b32_e32 v6, 8, v0
	v_cmp_gt_i32_e32 vcc_lo, 32, v1
	v_cndmask_b32_e32 v1, v0, v1, vcc_lo
	v_cmp_gt_i32_e32 vcc_lo, 32, v6
	v_lshlrev_b32_e32 v1, 2, v1
	v_cndmask_b32_e32 v6, v0, v6, vcc_lo
	ds_bpermute_b32 v2, v1, v9
	ds_bpermute_b32 v4, v1, v10
	;; [unrolled: 1-line block ×4, first 2 shown]
	v_lshlrev_b32_e32 v6, 2, v6
	s_waitcnt lgkmcnt(3)
	v_add_nc_u32_e32 v2, v2, v9
	s_waitcnt lgkmcnt(2)
	v_add_nc_u32_e32 v4, v4, v10
	;; [unrolled: 2-line block ×4, first 2 shown]
	v_xor_b32_e32 v11, 4, v0
	ds_bpermute_b32 v7, v6, v2
	ds_bpermute_b32 v9, v6, v4
	;; [unrolled: 1-line block ×4, first 2 shown]
	v_cmp_gt_i32_e32 vcc_lo, 32, v11
	v_cndmask_b32_e32 v11, v0, v11, vcc_lo
	v_lshlrev_b32_e32 v11, 2, v11
	s_waitcnt lgkmcnt(3)
	v_add_nc_u32_e32 v2, v7, v2
	s_waitcnt lgkmcnt(2)
	v_add_nc_u32_e32 v4, v9, v4
	;; [unrolled: 2-line block ×4, first 2 shown]
	ds_bpermute_b32 v6, v11, v2
	ds_bpermute_b32 v7, v11, v4
	;; [unrolled: 1-line block ×4, first 2 shown]
	v_xor_b32_e32 v11, 2, v0
	v_cmp_gt_i32_e32 vcc_lo, 32, v11
	v_cndmask_b32_e32 v11, v0, v11, vcc_lo
	v_lshlrev_b32_e32 v11, 2, v11
	s_waitcnt lgkmcnt(3)
	v_add_nc_u32_e32 v2, v6, v2
	s_waitcnt lgkmcnt(2)
	v_add_nc_u32_e32 v4, v7, v4
	;; [unrolled: 2-line block ×4, first 2 shown]
	ds_bpermute_b32 v1, v11, v2
	ds_bpermute_b32 v7, v11, v4
	;; [unrolled: 1-line block ×4, first 2 shown]
	v_xor_b32_e32 v11, 1, v0
	v_cmp_gt_i32_e32 vcc_lo, 32, v11
	v_cndmask_b32_e32 v0, v0, v11, vcc_lo
	v_cmp_eq_u32_e32 vcc_lo, 31, v8
	v_lshlrev_b32_e32 v11, 2, v0
	s_waitcnt lgkmcnt(3)
	v_add_nc_u32_e32 v0, v1, v2
	s_waitcnt lgkmcnt(2)
	v_add_nc_u32_e32 v1, v7, v4
	;; [unrolled: 2-line block ×4, first 2 shown]
	ds_bpermute_b32 v5, v11, v0
	ds_bpermute_b32 v6, v11, v1
	;; [unrolled: 1-line block ×4, first 2 shown]
	s_and_b32 exec_lo, exec_lo, vcc_lo
	s_cbranch_execz .LBB63_14
; %bb.42:
	s_load_dwordx2 s[0:1], s[4:5], 0x50
	s_waitcnt lgkmcnt(0)
	v_add_nc_u32_e32 v0, v5, v0
	v_add_nc_u32_e32 v1, v6, v1
	;; [unrolled: 1-line block ×4, first 2 shown]
	v_lshlrev_b32_e32 v5, 2, v3
	v_mul_lo_u32 v0, v0, s17
	v_mul_lo_u32 v1, v1, s17
	;; [unrolled: 1-line block ×4, first 2 shown]
	s_cmp_eq_u32 s18, 0
	s_cbranch_scc1 .LBB63_44
; %bb.43:
	v_ashrrev_i32_e32 v6, 31, v5
	s_mov_b32 s2, 0
	v_lshlrev_b64 v[6:7], 2, v[5:6]
	v_add_co_u32 v13, vcc_lo, s0, v6
	v_add_co_ci_u32_e64 v14, null, s1, v7, vcc_lo
	global_load_dwordx4 v[6:9], v[13:14], off
	s_waitcnt vmcnt(0)
	v_mad_u64_u32 v[15:16], null, v9, s18, v[4:5]
	v_mad_u64_u32 v[9:10], null, v6, s18, v[0:1]
	;; [unrolled: 1-line block ×4, first 2 shown]
	v_mov_b32_e32 v12, v15
	global_store_dwordx4 v[13:14], v[9:12], off
.LBB63_44:
	s_andn2_b32 vcc_lo, exec_lo, s2
	s_cbranch_vccnz .LBB63_14
; %bb.45:
	v_ashrrev_i32_e32 v6, 31, v5
	v_mov_b32_e32 v3, v4
	v_lshlrev_b64 v[5:6], 2, v[5:6]
	v_add_co_u32 v5, vcc_lo, s0, v5
	v_add_co_ci_u32_e64 v6, null, s1, v6, vcc_lo
	global_store_dwordx4 v[5:6], v[0:3], off
	s_endpgm
	.section	.rodata,"a",@progbits
	.p2align	6, 0x0
	.amdhsa_kernel _ZN9rocsparseL18bsrxmvn_4x4_kernelILj128ELj32EiiiaaiEEvT3_20rocsparse_direction_NS_24const_host_device_scalarIT1_EES1_PKS1_PKT2_SA_S7_PKT4_PKT5_S5_PT6_21rocsparse_index_base_b
		.amdhsa_group_segment_fixed_size 0
		.amdhsa_private_segment_fixed_size 0
		.amdhsa_kernarg_size 96
		.amdhsa_user_sgpr_count 6
		.amdhsa_user_sgpr_private_segment_buffer 1
		.amdhsa_user_sgpr_dispatch_ptr 0
		.amdhsa_user_sgpr_queue_ptr 0
		.amdhsa_user_sgpr_kernarg_segment_ptr 1
		.amdhsa_user_sgpr_dispatch_id 0
		.amdhsa_user_sgpr_flat_scratch_init 0
		.amdhsa_user_sgpr_private_segment_size 0
		.amdhsa_wavefront_size32 1
		.amdhsa_uses_dynamic_stack 0
		.amdhsa_system_sgpr_private_segment_wavefront_offset 0
		.amdhsa_system_sgpr_workgroup_id_x 1
		.amdhsa_system_sgpr_workgroup_id_y 0
		.amdhsa_system_sgpr_workgroup_id_z 0
		.amdhsa_system_sgpr_workgroup_info 0
		.amdhsa_system_vgpr_workitem_id 0
		.amdhsa_next_free_vgpr 48
		.amdhsa_next_free_sgpr 19
		.amdhsa_reserve_vcc 1
		.amdhsa_reserve_flat_scratch 0
		.amdhsa_float_round_mode_32 0
		.amdhsa_float_round_mode_16_64 0
		.amdhsa_float_denorm_mode_32 3
		.amdhsa_float_denorm_mode_16_64 3
		.amdhsa_dx10_clamp 1
		.amdhsa_ieee_mode 1
		.amdhsa_fp16_overflow 0
		.amdhsa_workgroup_processor_mode 1
		.amdhsa_memory_ordered 1
		.amdhsa_forward_progress 1
		.amdhsa_shared_vgpr_count 0
		.amdhsa_exception_fp_ieee_invalid_op 0
		.amdhsa_exception_fp_denorm_src 0
		.amdhsa_exception_fp_ieee_div_zero 0
		.amdhsa_exception_fp_ieee_overflow 0
		.amdhsa_exception_fp_ieee_underflow 0
		.amdhsa_exception_fp_ieee_inexact 0
		.amdhsa_exception_int_div_zero 0
	.end_amdhsa_kernel
	.section	.text._ZN9rocsparseL18bsrxmvn_4x4_kernelILj128ELj32EiiiaaiEEvT3_20rocsparse_direction_NS_24const_host_device_scalarIT1_EES1_PKS1_PKT2_SA_S7_PKT4_PKT5_S5_PT6_21rocsparse_index_base_b,"axG",@progbits,_ZN9rocsparseL18bsrxmvn_4x4_kernelILj128ELj32EiiiaaiEEvT3_20rocsparse_direction_NS_24const_host_device_scalarIT1_EES1_PKS1_PKT2_SA_S7_PKT4_PKT5_S5_PT6_21rocsparse_index_base_b,comdat
.Lfunc_end63:
	.size	_ZN9rocsparseL18bsrxmvn_4x4_kernelILj128ELj32EiiiaaiEEvT3_20rocsparse_direction_NS_24const_host_device_scalarIT1_EES1_PKS1_PKT2_SA_S7_PKT4_PKT5_S5_PT6_21rocsparse_index_base_b, .Lfunc_end63-_ZN9rocsparseL18bsrxmvn_4x4_kernelILj128ELj32EiiiaaiEEvT3_20rocsparse_direction_NS_24const_host_device_scalarIT1_EES1_PKS1_PKT2_SA_S7_PKT4_PKT5_S5_PT6_21rocsparse_index_base_b
                                        ; -- End function
	.set _ZN9rocsparseL18bsrxmvn_4x4_kernelILj128ELj32EiiiaaiEEvT3_20rocsparse_direction_NS_24const_host_device_scalarIT1_EES1_PKS1_PKT2_SA_S7_PKT4_PKT5_S5_PT6_21rocsparse_index_base_b.num_vgpr, 48
	.set _ZN9rocsparseL18bsrxmvn_4x4_kernelILj128ELj32EiiiaaiEEvT3_20rocsparse_direction_NS_24const_host_device_scalarIT1_EES1_PKS1_PKT2_SA_S7_PKT4_PKT5_S5_PT6_21rocsparse_index_base_b.num_agpr, 0
	.set _ZN9rocsparseL18bsrxmvn_4x4_kernelILj128ELj32EiiiaaiEEvT3_20rocsparse_direction_NS_24const_host_device_scalarIT1_EES1_PKS1_PKT2_SA_S7_PKT4_PKT5_S5_PT6_21rocsparse_index_base_b.numbered_sgpr, 19
	.set _ZN9rocsparseL18bsrxmvn_4x4_kernelILj128ELj32EiiiaaiEEvT3_20rocsparse_direction_NS_24const_host_device_scalarIT1_EES1_PKS1_PKT2_SA_S7_PKT4_PKT5_S5_PT6_21rocsparse_index_base_b.num_named_barrier, 0
	.set _ZN9rocsparseL18bsrxmvn_4x4_kernelILj128ELj32EiiiaaiEEvT3_20rocsparse_direction_NS_24const_host_device_scalarIT1_EES1_PKS1_PKT2_SA_S7_PKT4_PKT5_S5_PT6_21rocsparse_index_base_b.private_seg_size, 0
	.set _ZN9rocsparseL18bsrxmvn_4x4_kernelILj128ELj32EiiiaaiEEvT3_20rocsparse_direction_NS_24const_host_device_scalarIT1_EES1_PKS1_PKT2_SA_S7_PKT4_PKT5_S5_PT6_21rocsparse_index_base_b.uses_vcc, 1
	.set _ZN9rocsparseL18bsrxmvn_4x4_kernelILj128ELj32EiiiaaiEEvT3_20rocsparse_direction_NS_24const_host_device_scalarIT1_EES1_PKS1_PKT2_SA_S7_PKT4_PKT5_S5_PT6_21rocsparse_index_base_b.uses_flat_scratch, 0
	.set _ZN9rocsparseL18bsrxmvn_4x4_kernelILj128ELj32EiiiaaiEEvT3_20rocsparse_direction_NS_24const_host_device_scalarIT1_EES1_PKS1_PKT2_SA_S7_PKT4_PKT5_S5_PT6_21rocsparse_index_base_b.has_dyn_sized_stack, 0
	.set _ZN9rocsparseL18bsrxmvn_4x4_kernelILj128ELj32EiiiaaiEEvT3_20rocsparse_direction_NS_24const_host_device_scalarIT1_EES1_PKS1_PKT2_SA_S7_PKT4_PKT5_S5_PT6_21rocsparse_index_base_b.has_recursion, 0
	.set _ZN9rocsparseL18bsrxmvn_4x4_kernelILj128ELj32EiiiaaiEEvT3_20rocsparse_direction_NS_24const_host_device_scalarIT1_EES1_PKS1_PKT2_SA_S7_PKT4_PKT5_S5_PT6_21rocsparse_index_base_b.has_indirect_call, 0
	.section	.AMDGPU.csdata,"",@progbits
; Kernel info:
; codeLenInByte = 3172
; TotalNumSgprs: 21
; NumVgprs: 48
; ScratchSize: 0
; MemoryBound: 0
; FloatMode: 240
; IeeeMode: 1
; LDSByteSize: 0 bytes/workgroup (compile time only)
; SGPRBlocks: 0
; VGPRBlocks: 5
; NumSGPRsForWavesPerEU: 21
; NumVGPRsForWavesPerEU: 48
; Occupancy: 16
; WaveLimiterHint : 1
; COMPUTE_PGM_RSRC2:SCRATCH_EN: 0
; COMPUTE_PGM_RSRC2:USER_SGPR: 6
; COMPUTE_PGM_RSRC2:TRAP_HANDLER: 0
; COMPUTE_PGM_RSRC2:TGID_X_EN: 1
; COMPUTE_PGM_RSRC2:TGID_Y_EN: 0
; COMPUTE_PGM_RSRC2:TGID_Z_EN: 0
; COMPUTE_PGM_RSRC2:TIDIG_COMP_CNT: 0
	.section	.text._ZN9rocsparseL18bsrxmvn_4x4_kernelILj128ELj64EiiiaaiEEvT3_20rocsparse_direction_NS_24const_host_device_scalarIT1_EES1_PKS1_PKT2_SA_S7_PKT4_PKT5_S5_PT6_21rocsparse_index_base_b,"axG",@progbits,_ZN9rocsparseL18bsrxmvn_4x4_kernelILj128ELj64EiiiaaiEEvT3_20rocsparse_direction_NS_24const_host_device_scalarIT1_EES1_PKS1_PKT2_SA_S7_PKT4_PKT5_S5_PT6_21rocsparse_index_base_b,comdat
	.globl	_ZN9rocsparseL18bsrxmvn_4x4_kernelILj128ELj64EiiiaaiEEvT3_20rocsparse_direction_NS_24const_host_device_scalarIT1_EES1_PKS1_PKT2_SA_S7_PKT4_PKT5_S5_PT6_21rocsparse_index_base_b ; -- Begin function _ZN9rocsparseL18bsrxmvn_4x4_kernelILj128ELj64EiiiaaiEEvT3_20rocsparse_direction_NS_24const_host_device_scalarIT1_EES1_PKS1_PKT2_SA_S7_PKT4_PKT5_S5_PT6_21rocsparse_index_base_b
	.p2align	8
	.type	_ZN9rocsparseL18bsrxmvn_4x4_kernelILj128ELj64EiiiaaiEEvT3_20rocsparse_direction_NS_24const_host_device_scalarIT1_EES1_PKS1_PKT2_SA_S7_PKT4_PKT5_S5_PT6_21rocsparse_index_base_b,@function
_ZN9rocsparseL18bsrxmvn_4x4_kernelILj128ELj64EiiiaaiEEvT3_20rocsparse_direction_NS_24const_host_device_scalarIT1_EES1_PKS1_PKT2_SA_S7_PKT4_PKT5_S5_PT6_21rocsparse_index_base_b: ; @_ZN9rocsparseL18bsrxmvn_4x4_kernelILj128ELj64EiiiaaiEEvT3_20rocsparse_direction_NS_24const_host_device_scalarIT1_EES1_PKS1_PKT2_SA_S7_PKT4_PKT5_S5_PT6_21rocsparse_index_base_b
; %bb.0:
	s_clause 0x1
	s_load_dwordx2 s[16:17], s[4:5], 0x58
	s_load_dwordx2 s[2:3], s[4:5], 0x8
	s_mov_b32 s8, -1
	s_waitcnt lgkmcnt(0)
	s_bitcmp1_b32 s17, 0
                                        ; implicit-def: $sgpr17
	s_cselect_b32 s0, -1, 0
	s_xor_b32 s7, s0, -1
	s_and_b32 vcc_lo, exec_lo, s7
	s_cbranch_vccnz .LBB64_4
; %bb.1:
	s_load_dwordx2 s[0:1], s[4:5], 0x48
	s_andn2_b32 vcc_lo, exec_lo, s8
	s_cbranch_vccz .LBB64_5
.LBB64_2:
	s_and_b32 vcc_lo, exec_lo, s7
	s_cbranch_vccz .LBB64_6
.LBB64_3:
	s_waitcnt lgkmcnt(0)
	s_load_dword s18, s[0:1], 0x0
	s_cbranch_execz .LBB64_7
	s_branch .LBB64_8
.LBB64_4:
	s_load_dword s17, s[2:3], 0x0
	s_load_dwordx2 s[0:1], s[4:5], 0x48
	s_cbranch_execnz .LBB64_2
.LBB64_5:
	s_waitcnt lgkmcnt(0)
	s_mov_b32 s17, s2
	s_and_b32 vcc_lo, exec_lo, s7
	s_cbranch_vccnz .LBB64_3
.LBB64_6:
	s_waitcnt lgkmcnt(0)
                                        ; implicit-def: $sgpr18
.LBB64_7:
	s_waitcnt lgkmcnt(0)
	s_mov_b32 s18, s0
.LBB64_8:
	s_cmp_lg_u32 s17, 0
	s_mov_b32 s7, 0
	s_cselect_b32 s0, -1, 0
	s_waitcnt lgkmcnt(0)
	s_cmp_lg_u32 s18, 1
	s_cselect_b32 s1, -1, 0
	s_or_b32 s0, s0, s1
	s_andn2_b32 vcc_lo, exec_lo, s0
	s_cbranch_vccnz .LBB64_14
; %bb.9:
	s_clause 0x1
	s_load_dwordx2 s[2:3], s[4:5], 0x18
	s_load_dwordx2 s[0:1], s[4:5], 0x0
	v_lshrrev_b32_e32 v1, 6, v0
	v_lshl_or_b32 v3, s6, 1, v1
	s_waitcnt lgkmcnt(0)
	s_cmp_lg_u64 s[2:3], 0
	s_cbranch_scc0 .LBB64_15
; %bb.10:
	s_load_dword s6, s[4:5], 0x10
                                        ; implicit-def: $vgpr1
	s_waitcnt lgkmcnt(0)
	v_cmp_gt_i32_e32 vcc_lo, s6, v3
	s_mov_b32 s6, 0
	s_and_saveexec_b32 s8, vcc_lo
	s_xor_b32 s8, exec_lo, s8
	s_cbranch_execz .LBB64_12
; %bb.11:
	v_ashrrev_i32_e32 v4, 31, v3
	s_mov_b32 s7, exec_lo
	v_lshlrev_b64 v[1:2], 2, v[3:4]
	v_add_co_u32 v1, vcc_lo, s2, v1
	v_add_co_ci_u32_e64 v2, null, s3, v2, vcc_lo
	global_load_dword v1, v[1:2], off
	s_waitcnt vmcnt(0)
	v_subrev_nc_u32_e32 v1, s16, v1
.LBB64_12:
	s_or_b32 exec_lo, exec_lo, s8
	s_and_b32 vcc_lo, exec_lo, s6
	s_cbranch_vccz .LBB64_16
.LBB64_13:
	v_cmp_gt_i32_e32 vcc_lo, s0, v3
	s_andn2_b32 s0, s7, exec_lo
	s_and_b32 s2, vcc_lo, exec_lo
	s_or_b32 s7, s0, s2
	s_and_saveexec_b32 s0, s7
	s_cbranch_execnz .LBB64_17
.LBB64_14:
	s_endpgm
.LBB64_15:
                                        ; implicit-def: $vgpr1
	s_cbranch_execnz .LBB64_13
.LBB64_16:
	v_mov_b32_e32 v3, v1
	s_and_saveexec_b32 s0, s7
	s_cbranch_execz .LBB64_14
.LBB64_17:
	s_load_dwordx8 s[8:15], s[4:5], 0x20
	v_ashrrev_i32_e32 v4, 31, v3
	v_and_b32_e32 v8, 63, v0
	s_load_dwordx2 s[6:7], s[4:5], 0x40
	v_lshlrev_b64 v[1:2], 2, v[3:4]
	s_waitcnt lgkmcnt(0)
	v_add_co_u32 v4, vcc_lo, s8, v1
	v_add_co_ci_u32_e64 v5, null, s9, v2, vcc_lo
	v_add_co_u32 v1, vcc_lo, s10, v1
	v_add_co_ci_u32_e64 v2, null, s11, v2, vcc_lo
	global_load_dword v14, v[4:5], off
	v_add_co_u32 v4, vcc_lo, v4, 4
	v_add_co_ci_u32_e64 v5, null, 0, v5, vcc_lo
	s_cmp_eq_u64 s[10:11], 0
	s_cselect_b32 vcc_lo, -1, 0
	s_cmp_eq_u32 s1, 1
	v_cndmask_b32_e32 v2, v2, v5, vcc_lo
	v_cndmask_b32_e32 v1, v1, v4, vcc_lo
	global_load_dword v4, v[1:2], off
	s_waitcnt vmcnt(1)
	v_subrev_nc_u32_e32 v0, s16, v14
	v_add_nc_u32_e32 v0, v0, v8
	v_ashrrev_i32_e32 v1, 31, v0
	s_waitcnt vmcnt(0)
	v_subrev_nc_u32_e32 v13, s16, v4
	v_lshlrev_b64 v[1:2], 4, v[0:1]
	v_cmp_lt_i32_e64 s0, v0, v13
	v_add_co_u32 v4, vcc_lo, s14, v1
	v_add_co_ci_u32_e64 v5, null, s15, v2, vcc_lo
	s_cbranch_scc1 .LBB64_29
; %bb.18:
	v_mov_b32_e32 v11, 0
	v_mov_b32_e32 v12, 0
	;; [unrolled: 1-line block ×4, first 2 shown]
	s_and_saveexec_b32 s8, s0
	s_cbranch_execz .LBB64_28
; %bb.19:
	v_add_nc_u32_e32 v1, v14, v8
	v_not_b32_e32 v2, v14
	v_mov_b32_e32 v9, 0
	v_mov_b32_e32 v7, v5
	;; [unrolled: 1-line block ×3, first 2 shown]
	v_subrev_nc_u32_e32 v1, s16, v1
	s_mov_b32 s2, 0
	v_mov_b32_e32 v10, v9
	v_mov_b32_e32 v12, v9
	;; [unrolled: 1-line block ×3, first 2 shown]
	v_add_nc_u32_e32 v1, 64, v1
	s_mov_b32 s1, exec_lo
	v_max_i32_e32 v1, v1, v13
	v_add3_u32 v1, s16, v1, v2
	v_sub_nc_u32_e32 v15, v1, v8
	v_mov_b32_e32 v1, v0
	v_and_b32_e32 v2, 0xc0, v15
	v_cmpx_ne_u32_e32 0xc0, v2
	s_cbranch_execz .LBB64_23
; %bb.20:
	v_lshrrev_b32_e32 v1, 6, v15
	v_mov_b32_e32 v7, v5
	v_mov_b32_e32 v10, 0
	;; [unrolled: 1-line block ×4, first 2 shown]
	v_add_nc_u32_e32 v1, 1, v1
	v_mov_b32_e32 v6, v4
	v_and_b32_e32 v1, 3, v1
	v_sub_nc_u32_e32 v16, 0, v1
	v_mov_b32_e32 v1, v0
	s_inst_prefetch 0x1
	.p2align	6
.LBB64_21:                              ; =>This Inner Loop Header: Depth=1
	v_ashrrev_i32_e32 v2, 31, v1
	v_add_co_u32 v16, s3, v16, 1
	s_or_b32 s2, s3, s2
	v_lshlrev_b64 v[17:18], 2, v[1:2]
	v_add_nc_u32_e32 v1, 64, v1
	v_add_co_u32 v17, vcc_lo, s12, v17
	v_add_co_ci_u32_e64 v18, null, s13, v18, vcc_lo
	global_load_dword v2, v[17:18], off
	s_waitcnt vmcnt(0)
	v_subrev_nc_u32_e32 v2, s16, v2
	v_lshlrev_b32_e32 v2, 2, v2
	v_ashrrev_i32_e32 v17, 31, v2
	v_add_co_u32 v21, vcc_lo, s6, v2
	v_add_co_ci_u32_e64 v22, null, s7, v17, vcc_lo
	global_load_dwordx4 v[17:20], v[6:7], off
	global_load_dword v2, v[21:22], off
	v_add_co_u32 v6, vcc_lo, 0x400, v6
	v_add_co_ci_u32_e64 v7, null, 0, v7, vcc_lo
	s_waitcnt vmcnt(0)
	v_dot4c_i32_i8 v11, v2, v20
	v_dot4c_i32_i8 v12, v2, v19
	;; [unrolled: 1-line block ×4, first 2 shown]
	s_andn2_b32 exec_lo, exec_lo, s2
	s_cbranch_execnz .LBB64_21
; %bb.22:
	s_inst_prefetch 0x2
	s_or_b32 exec_lo, exec_lo, s2
.LBB64_23:
	s_or_b32 exec_lo, exec_lo, s1
	s_mov_b32 s9, exec_lo
	v_cmpx_lt_u32_e32 0xbf, v15
	s_cbranch_execz .LBB64_27
; %bb.24:
	s_mov_b32 s10, 0
.LBB64_25:                              ; =>This Inner Loop Header: Depth=1
	v_ashrrev_i32_e32 v2, 31, v1
	v_lshlrev_b64 v[15:16], 2, v[1:2]
	v_add_nc_u32_e32 v1, 0x100, v1
	v_add_co_u32 v15, vcc_lo, s12, v15
	v_add_co_ci_u32_e64 v16, null, s13, v16, vcc_lo
	v_add_co_u32 v27, vcc_lo, 0x800, v6
	v_add_co_ci_u32_e64 v28, null, 0, v7, vcc_lo
	s_clause 0x3
	global_load_dword v2, v[15:16], off
	global_load_dword v29, v[15:16], off offset:256
	global_load_dword v30, v[15:16], off offset:512
	;; [unrolled: 1-line block ×3, first 2 shown]
	s_clause 0x2
	global_load_dwordx4 v[15:18], v[6:7], off
	global_load_dwordx4 v[19:22], v[6:7], off offset:1024
	global_load_dwordx4 v[23:26], v[27:28], off
	s_waitcnt vmcnt(6)
	v_subrev_nc_u32_e32 v2, s16, v2
	s_waitcnt vmcnt(5)
	v_subrev_nc_u32_e32 v29, s16, v29
	;; [unrolled: 2-line block ×4, first 2 shown]
	v_lshlrev_b32_e32 v2, 2, v2
	v_lshlrev_b32_e32 v29, 2, v29
	;; [unrolled: 1-line block ×4, first 2 shown]
	v_ashrrev_i32_e32 v35, 31, v2
	v_add_co_u32 v34, s3, s6, v2
	v_ashrrev_i32_e32 v36, 31, v29
	v_add_co_u32 v29, vcc_lo, s6, v29
	v_add_co_ci_u32_e64 v35, null, s7, v35, s3
	v_ashrrev_i32_e32 v37, 31, v30
	v_add_co_u32 v31, s1, s6, v30
	v_add_co_ci_u32_e64 v30, null, s7, v36, vcc_lo
	global_load_dword v2, v[34:35], off
	v_ashrrev_i32_e32 v38, 31, v32
	v_add_co_u32 v33, s2, s6, v32
	global_load_dword v35, v[29:30], off
	v_add_co_ci_u32_e64 v32, null, s7, v37, s1
	v_add_co_ci_u32_e64 v34, null, s7, v38, s2
	global_load_dword v31, v[31:32], off
	global_load_dwordx4 v[27:30], v[27:28], off offset:1024
	global_load_dword v32, v[33:34], off
	v_add_co_u32 v6, vcc_lo, 0x1000, v6
	v_add_co_ci_u32_e64 v7, null, 0, v7, vcc_lo
	v_cmp_ge_i32_e32 vcc_lo, v1, v13
	s_or_b32 s10, vcc_lo, s10
	s_waitcnt vmcnt(4)
	v_dot4c_i32_i8 v9, v2, v15
	v_dot4c_i32_i8 v11, v2, v18
	v_dot4c_i32_i8 v12, v2, v17
	v_dot4c_i32_i8 v10, v2, v16
	s_waitcnt vmcnt(3)
	v_dot4c_i32_i8 v9, v35, v19
	v_dot4c_i32_i8 v11, v35, v22
	v_dot4c_i32_i8 v12, v35, v21
	v_dot4c_i32_i8 v10, v35, v20
	;; [unrolled: 5-line block ×4, first 2 shown]
	s_andn2_b32 exec_lo, exec_lo, s10
	s_cbranch_execnz .LBB64_25
; %bb.26:
	s_or_b32 exec_lo, exec_lo, s10
.LBB64_27:
	s_or_b32 exec_lo, exec_lo, s9
.LBB64_28:
	s_or_b32 exec_lo, exec_lo, s8
	s_cbranch_execz .LBB64_30
	s_branch .LBB64_41
.LBB64_29:
                                        ; implicit-def: $vgpr11
                                        ; implicit-def: $vgpr9
                                        ; implicit-def: $vgpr10
                                        ; implicit-def: $vgpr12
.LBB64_30:
	v_mov_b32_e32 v11, 0
	v_mov_b32_e32 v12, 0
	;; [unrolled: 1-line block ×4, first 2 shown]
	s_and_saveexec_b32 s3, s0
	s_cbranch_execz .LBB64_40
; %bb.31:
	v_add_nc_u32_e32 v1, v14, v8
	v_not_b32_e32 v2, v14
	v_mov_b32_e32 v9, 0
	s_mov_b32 s1, 0
	s_mov_b32 s0, exec_lo
	v_subrev_nc_u32_e32 v1, s16, v1
	v_mov_b32_e32 v10, v9
	v_mov_b32_e32 v12, v9
	;; [unrolled: 1-line block ×3, first 2 shown]
	v_add_nc_u32_e32 v1, 64, v1
	v_max_i32_e32 v1, v1, v13
	v_add3_u32 v1, s16, v1, v2
	v_sub_nc_u32_e32 v2, v1, v8
	v_and_b32_e32 v1, 0xc0, v2
	v_cmpx_ne_u32_e32 0xc0, v1
	s_cbranch_execz .LBB64_35
; %bb.32:
	v_lshrrev_b32_e32 v1, 6, v2
	v_mov_b32_e32 v10, 0
	v_mov_b32_e32 v12, 0
	;; [unrolled: 1-line block ×3, first 2 shown]
	v_add_nc_u32_e32 v1, 1, v1
	v_and_b32_e32 v1, 3, v1
	v_sub_nc_u32_e32 v6, 0, v1
.LBB64_33:                              ; =>This Inner Loop Header: Depth=1
	v_ashrrev_i32_e32 v1, 31, v0
	v_add_co_u32 v6, s2, v6, 1
	s_or_b32 s1, s2, s1
	v_lshlrev_b64 v[14:15], 2, v[0:1]
	v_add_nc_u32_e32 v0, 64, v0
	v_add_co_u32 v14, vcc_lo, s12, v14
	v_add_co_ci_u32_e64 v15, null, s13, v15, vcc_lo
	global_load_dword v1, v[14:15], off
	global_load_dwordx4 v[14:17], v[4:5], off
	s_waitcnt vmcnt(1)
	v_subrev_nc_u32_e32 v1, s16, v1
	s_waitcnt vmcnt(0)
	v_perm_b32 v20, v17, v16, 0x6020c0c
	v_perm_b32 v21, v15, v14, 0xc0c0501
	v_perm_b32 v22, v17, v16, 0x5010c0c
	v_lshlrev_b32_e32 v1, 2, v1
	v_ashrrev_i32_e32 v7, 31, v1
	v_add_co_u32 v18, vcc_lo, s6, v1
	v_add_co_ci_u32_e64 v19, null, s7, v7, vcc_lo
	v_perm_b32 v7, v15, v14, 0xc0c0703
	v_add_co_u32 v4, vcc_lo, 0x400, v4
	global_load_dword v1, v[18:19], off
	v_perm_b32 v18, v17, v16, 0x7030c0c
	v_perm_b32 v19, v15, v14, 0xc0c0602
	;; [unrolled: 1-line block ×4, first 2 shown]
	v_or_b32_e32 v17, v22, v21
	v_or_b32_e32 v7, v18, v7
	;; [unrolled: 1-line block ×3, first 2 shown]
	v_add_co_ci_u32_e64 v5, null, 0, v5, vcc_lo
	v_or_b32_e32 v14, v15, v14
	s_waitcnt vmcnt(0)
	v_dot4c_i32_i8 v11, v1, v7
	v_dot4c_i32_i8 v12, v1, v16
	;; [unrolled: 1-line block ×4, first 2 shown]
	s_andn2_b32 exec_lo, exec_lo, s1
	s_cbranch_execnz .LBB64_33
; %bb.34:
	s_or_b32 exec_lo, exec_lo, s1
.LBB64_35:
	s_or_b32 exec_lo, exec_lo, s0
	s_mov_b32 s8, exec_lo
	v_cmpx_lt_u32_e32 0xbf, v2
	s_cbranch_execz .LBB64_39
; %bb.36:
	s_mov_b32 s9, 0
.LBB64_37:                              ; =>This Inner Loop Header: Depth=1
	v_ashrrev_i32_e32 v1, 31, v0
	v_lshlrev_b64 v[1:2], 2, v[0:1]
	v_add_nc_u32_e32 v0, 0x100, v0
	v_add_co_u32 v1, vcc_lo, s12, v1
	v_add_co_ci_u32_e64 v2, null, s13, v2, vcc_lo
	s_clause 0x3
	global_load_dword v6, v[1:2], off
	global_load_dword v7, v[1:2], off offset:256
	global_load_dword v30, v[1:2], off offset:512
	;; [unrolled: 1-line block ×3, first 2 shown]
	s_clause 0x1
	global_load_dwordx4 v[14:17], v[4:5], off
	global_load_dwordx4 v[18:21], v[4:5], off offset:1024
	v_add_co_u32 v1, vcc_lo, 0x800, v4
	v_add_co_ci_u32_e64 v2, null, 0, v5, vcc_lo
	s_clause 0x1
	global_load_dwordx4 v[22:25], v[1:2], off
	global_load_dwordx4 v[26:29], v[1:2], off offset:1024
	s_waitcnt vmcnt(7)
	v_subrev_nc_u32_e32 v1, s16, v6
	s_waitcnt vmcnt(6)
	v_subrev_nc_u32_e32 v2, s16, v7
	;; [unrolled: 2-line block ×4, first 2 shown]
	v_lshlrev_b32_e32 v31, 2, v1
	v_lshlrev_b32_e32 v1, 2, v2
	;; [unrolled: 1-line block ×4, first 2 shown]
	s_waitcnt vmcnt(2)
	v_perm_b32 v36, v19, v18, 0xc0c0602
	v_ashrrev_i32_e32 v32, 31, v31
	v_add_co_u32 v31, s2, s6, v31
	v_ashrrev_i32_e32 v33, 31, v1
	v_add_co_u32 v1, vcc_lo, s6, v1
	v_add_co_ci_u32_e64 v32, null, s7, v32, s2
	v_ashrrev_i32_e32 v34, 31, v2
	v_add_co_u32 v6, s0, s6, v2
	v_add_co_ci_u32_e64 v2, null, s7, v33, vcc_lo
	global_load_dword v32, v[31:32], off
	v_ashrrev_i32_e32 v35, 31, v7
	v_add_co_u32 v30, s1, s6, v7
	global_load_dword v1, v[1:2], off
	v_add_co_ci_u32_e64 v7, null, s7, v34, s0
	v_add_co_ci_u32_e64 v31, null, s7, v35, s1
	s_clause 0x1
	global_load_dword v2, v[6:7], off
	global_load_dword v6, v[30:31], off
	v_perm_b32 v7, v15, v14, 0xc0c0400
	v_perm_b32 v30, v17, v16, 0x4000c0c
	v_perm_b32 v31, v15, v14, 0xc0c0501
	v_perm_b32 v33, v17, v16, 0x5010c0c
	v_perm_b32 v34, v15, v14, 0xc0c0602
	v_perm_b32 v35, v17, v16, 0x6020c0c
	v_perm_b32 v14, v15, v14, 0xc0c0703
	v_perm_b32 v15, v17, v16, 0x7030c0c
	v_perm_b32 v16, v19, v18, 0xc0c0703
	v_perm_b32 v17, v21, v20, 0x7030c0c
	v_perm_b32 v37, v21, v20, 0x6020c0c
	v_perm_b32 v38, v19, v18, 0xc0c0501
	v_perm_b32 v39, v21, v20, 0x5010c0c
	v_perm_b32 v18, v19, v18, 0xc0c0400
	v_perm_b32 v19, v21, v20, 0x4000c0c
	v_or_b32_e32 v7, v30, v7
	v_or_b32_e32 v20, v33, v31
	;; [unrolled: 1-line block ×8, first 2 shown]
	s_waitcnt vmcnt(5)
	v_perm_b32 v19, v23, v22, 0xc0c0400
	v_perm_b32 v30, v25, v24, 0x4000c0c
	;; [unrolled: 1-line block ×8, first 2 shown]
	s_waitcnt vmcnt(4)
	v_perm_b32 v24, v27, v26, 0xc0c0703
	v_perm_b32 v25, v29, v28, 0x7030c0c
	;; [unrolled: 1-line block ×8, first 2 shown]
	v_or_b32_e32 v19, v30, v19
	v_or_b32_e32 v28, v33, v31
	;; [unrolled: 1-line block ×6, first 2 shown]
	v_add_co_u32 v4, vcc_lo, 0x1000, v4
	v_add_co_ci_u32_e64 v5, null, 0, v5, vcc_lo
	v_cmp_ge_i32_e32 vcc_lo, v0, v13
	s_or_b32 s9, vcc_lo, s9
	s_waitcnt vmcnt(3)
	v_dot4c_i32_i8 v11, v32, v14
	v_dot4c_i32_i8 v12, v32, v21
	;; [unrolled: 1-line block ×4, first 2 shown]
	v_or_b32_e32 v7, v39, v38
	s_waitcnt vmcnt(2)
	v_dot4c_i32_i8 v11, v1, v15
	v_dot4c_i32_i8 v12, v1, v16
	;; [unrolled: 1-line block ×4, first 2 shown]
	v_or_b32_e32 v1, v27, v26
	s_waitcnt vmcnt(1)
	v_dot4c_i32_i8 v11, v2, v22
	v_dot4c_i32_i8 v12, v2, v29
	;; [unrolled: 1-line block ×4, first 2 shown]
	s_waitcnt vmcnt(0)
	v_dot4c_i32_i8 v11, v6, v23
	v_dot4c_i32_i8 v12, v6, v24
	v_dot4c_i32_i8 v10, v6, v7
	v_dot4c_i32_i8 v9, v6, v1
	s_andn2_b32 exec_lo, exec_lo, s9
	s_cbranch_execnz .LBB64_37
; %bb.38:
	s_or_b32 exec_lo, exec_lo, s9
.LBB64_39:
	s_or_b32 exec_lo, exec_lo, s8
.LBB64_40:
	s_or_b32 exec_lo, exec_lo, s3
.LBB64_41:
	v_mbcnt_lo_u32_b32 v0, -1, 0
	s_mov_b32 s2, -1
	v_or_b32_e32 v1, 32, v0
	v_xor_b32_e32 v6, 16, v0
	v_cmp_gt_i32_e32 vcc_lo, 32, v1
	v_cndmask_b32_e32 v1, v0, v1, vcc_lo
	v_cmp_gt_i32_e32 vcc_lo, 32, v6
	v_lshlrev_b32_e32 v1, 2, v1
	v_cndmask_b32_e32 v6, v0, v6, vcc_lo
	ds_bpermute_b32 v2, v1, v9
	ds_bpermute_b32 v4, v1, v10
	;; [unrolled: 1-line block ×4, first 2 shown]
	v_lshlrev_b32_e32 v6, 2, v6
	s_waitcnt lgkmcnt(3)
	v_add_nc_u32_e32 v2, v2, v9
	s_waitcnt lgkmcnt(2)
	v_add_nc_u32_e32 v4, v4, v10
	;; [unrolled: 2-line block ×4, first 2 shown]
	v_xor_b32_e32 v11, 8, v0
	ds_bpermute_b32 v7, v6, v2
	ds_bpermute_b32 v9, v6, v4
	;; [unrolled: 1-line block ×4, first 2 shown]
	v_cmp_gt_i32_e32 vcc_lo, 32, v11
	v_cndmask_b32_e32 v11, v0, v11, vcc_lo
	v_lshlrev_b32_e32 v11, 2, v11
	s_waitcnt lgkmcnt(3)
	v_add_nc_u32_e32 v2, v7, v2
	s_waitcnt lgkmcnt(2)
	v_add_nc_u32_e32 v4, v9, v4
	s_waitcnt lgkmcnt(1)
	v_add_nc_u32_e32 v5, v10, v5
	s_waitcnt lgkmcnt(0)
	v_add_nc_u32_e32 v1, v6, v1
	ds_bpermute_b32 v6, v11, v2
	ds_bpermute_b32 v7, v11, v4
	ds_bpermute_b32 v9, v11, v5
	ds_bpermute_b32 v10, v11, v1
	v_xor_b32_e32 v11, 4, v0
	v_cmp_gt_i32_e32 vcc_lo, 32, v11
	v_cndmask_b32_e32 v11, v0, v11, vcc_lo
	v_lshlrev_b32_e32 v11, 2, v11
	s_waitcnt lgkmcnt(3)
	v_add_nc_u32_e32 v2, v6, v2
	s_waitcnt lgkmcnt(2)
	v_add_nc_u32_e32 v4, v7, v4
	s_waitcnt lgkmcnt(1)
	v_add_nc_u32_e32 v5, v9, v5
	s_waitcnt lgkmcnt(0)
	v_add_nc_u32_e32 v1, v10, v1
	ds_bpermute_b32 v6, v11, v2
	ds_bpermute_b32 v7, v11, v4
	ds_bpermute_b32 v9, v11, v5
	ds_bpermute_b32 v10, v11, v1
	v_xor_b32_e32 v11, 2, v0
	v_cmp_gt_i32_e32 vcc_lo, 32, v11
	v_cndmask_b32_e32 v11, v0, v11, vcc_lo
	v_lshlrev_b32_e32 v11, 2, v11
	s_waitcnt lgkmcnt(3)
	v_add_nc_u32_e32 v2, v6, v2
	s_waitcnt lgkmcnt(2)
	v_add_nc_u32_e32 v4, v7, v4
	s_waitcnt lgkmcnt(1)
	v_add_nc_u32_e32 v5, v9, v5
	s_waitcnt lgkmcnt(0)
	v_add_nc_u32_e32 v6, v10, v1
	ds_bpermute_b32 v1, v11, v2
	ds_bpermute_b32 v7, v11, v4
	ds_bpermute_b32 v9, v11, v5
	ds_bpermute_b32 v10, v11, v6
	v_xor_b32_e32 v11, 1, v0
	v_cmp_gt_i32_e32 vcc_lo, 32, v11
	v_cndmask_b32_e32 v0, v0, v11, vcc_lo
	v_cmp_eq_u32_e32 vcc_lo, 63, v8
	v_lshlrev_b32_e32 v11, 2, v0
	s_waitcnt lgkmcnt(3)
	v_add_nc_u32_e32 v0, v1, v2
	s_waitcnt lgkmcnt(2)
	v_add_nc_u32_e32 v1, v7, v4
	s_waitcnt lgkmcnt(1)
	v_add_nc_u32_e32 v2, v9, v5
	s_waitcnt lgkmcnt(0)
	v_add_nc_u32_e32 v4, v10, v6
	ds_bpermute_b32 v5, v11, v0
	ds_bpermute_b32 v6, v11, v1
	;; [unrolled: 1-line block ×4, first 2 shown]
	s_and_b32 exec_lo, exec_lo, vcc_lo
	s_cbranch_execz .LBB64_14
; %bb.42:
	s_load_dwordx2 s[0:1], s[4:5], 0x50
	s_waitcnt lgkmcnt(0)
	v_add_nc_u32_e32 v0, v5, v0
	v_add_nc_u32_e32 v1, v6, v1
	;; [unrolled: 1-line block ×4, first 2 shown]
	v_lshlrev_b32_e32 v5, 2, v3
	v_mul_lo_u32 v0, v0, s17
	v_mul_lo_u32 v1, v1, s17
	;; [unrolled: 1-line block ×4, first 2 shown]
	s_cmp_eq_u32 s18, 0
	s_cbranch_scc1 .LBB64_44
; %bb.43:
	v_ashrrev_i32_e32 v6, 31, v5
	s_mov_b32 s2, 0
	v_lshlrev_b64 v[6:7], 2, v[5:6]
	v_add_co_u32 v13, vcc_lo, s0, v6
	v_add_co_ci_u32_e64 v14, null, s1, v7, vcc_lo
	global_load_dwordx4 v[6:9], v[13:14], off
	s_waitcnt vmcnt(0)
	v_mad_u64_u32 v[15:16], null, v9, s18, v[4:5]
	v_mad_u64_u32 v[9:10], null, v6, s18, v[0:1]
	;; [unrolled: 1-line block ×4, first 2 shown]
	v_mov_b32_e32 v12, v15
	global_store_dwordx4 v[13:14], v[9:12], off
.LBB64_44:
	s_andn2_b32 vcc_lo, exec_lo, s2
	s_cbranch_vccnz .LBB64_14
; %bb.45:
	v_ashrrev_i32_e32 v6, 31, v5
	v_mov_b32_e32 v3, v4
	v_lshlrev_b64 v[5:6], 2, v[5:6]
	v_add_co_u32 v5, vcc_lo, s0, v5
	v_add_co_ci_u32_e64 v6, null, s1, v6, vcc_lo
	global_store_dwordx4 v[5:6], v[0:3], off
	s_endpgm
	.section	.rodata,"a",@progbits
	.p2align	6, 0x0
	.amdhsa_kernel _ZN9rocsparseL18bsrxmvn_4x4_kernelILj128ELj64EiiiaaiEEvT3_20rocsparse_direction_NS_24const_host_device_scalarIT1_EES1_PKS1_PKT2_SA_S7_PKT4_PKT5_S5_PT6_21rocsparse_index_base_b
		.amdhsa_group_segment_fixed_size 0
		.amdhsa_private_segment_fixed_size 0
		.amdhsa_kernarg_size 96
		.amdhsa_user_sgpr_count 6
		.amdhsa_user_sgpr_private_segment_buffer 1
		.amdhsa_user_sgpr_dispatch_ptr 0
		.amdhsa_user_sgpr_queue_ptr 0
		.amdhsa_user_sgpr_kernarg_segment_ptr 1
		.amdhsa_user_sgpr_dispatch_id 0
		.amdhsa_user_sgpr_flat_scratch_init 0
		.amdhsa_user_sgpr_private_segment_size 0
		.amdhsa_wavefront_size32 1
		.amdhsa_uses_dynamic_stack 0
		.amdhsa_system_sgpr_private_segment_wavefront_offset 0
		.amdhsa_system_sgpr_workgroup_id_x 1
		.amdhsa_system_sgpr_workgroup_id_y 0
		.amdhsa_system_sgpr_workgroup_id_z 0
		.amdhsa_system_sgpr_workgroup_info 0
		.amdhsa_system_vgpr_workitem_id 0
		.amdhsa_next_free_vgpr 40
		.amdhsa_next_free_sgpr 19
		.amdhsa_reserve_vcc 1
		.amdhsa_reserve_flat_scratch 0
		.amdhsa_float_round_mode_32 0
		.amdhsa_float_round_mode_16_64 0
		.amdhsa_float_denorm_mode_32 3
		.amdhsa_float_denorm_mode_16_64 3
		.amdhsa_dx10_clamp 1
		.amdhsa_ieee_mode 1
		.amdhsa_fp16_overflow 0
		.amdhsa_workgroup_processor_mode 1
		.amdhsa_memory_ordered 1
		.amdhsa_forward_progress 1
		.amdhsa_shared_vgpr_count 0
		.amdhsa_exception_fp_ieee_invalid_op 0
		.amdhsa_exception_fp_denorm_src 0
		.amdhsa_exception_fp_ieee_div_zero 0
		.amdhsa_exception_fp_ieee_overflow 0
		.amdhsa_exception_fp_ieee_underflow 0
		.amdhsa_exception_fp_ieee_inexact 0
		.amdhsa_exception_int_div_zero 0
	.end_amdhsa_kernel
	.section	.text._ZN9rocsparseL18bsrxmvn_4x4_kernelILj128ELj64EiiiaaiEEvT3_20rocsparse_direction_NS_24const_host_device_scalarIT1_EES1_PKS1_PKT2_SA_S7_PKT4_PKT5_S5_PT6_21rocsparse_index_base_b,"axG",@progbits,_ZN9rocsparseL18bsrxmvn_4x4_kernelILj128ELj64EiiiaaiEEvT3_20rocsparse_direction_NS_24const_host_device_scalarIT1_EES1_PKS1_PKT2_SA_S7_PKT4_PKT5_S5_PT6_21rocsparse_index_base_b,comdat
.Lfunc_end64:
	.size	_ZN9rocsparseL18bsrxmvn_4x4_kernelILj128ELj64EiiiaaiEEvT3_20rocsparse_direction_NS_24const_host_device_scalarIT1_EES1_PKS1_PKT2_SA_S7_PKT4_PKT5_S5_PT6_21rocsparse_index_base_b, .Lfunc_end64-_ZN9rocsparseL18bsrxmvn_4x4_kernelILj128ELj64EiiiaaiEEvT3_20rocsparse_direction_NS_24const_host_device_scalarIT1_EES1_PKS1_PKT2_SA_S7_PKT4_PKT5_S5_PT6_21rocsparse_index_base_b
                                        ; -- End function
	.set _ZN9rocsparseL18bsrxmvn_4x4_kernelILj128ELj64EiiiaaiEEvT3_20rocsparse_direction_NS_24const_host_device_scalarIT1_EES1_PKS1_PKT2_SA_S7_PKT4_PKT5_S5_PT6_21rocsparse_index_base_b.num_vgpr, 40
	.set _ZN9rocsparseL18bsrxmvn_4x4_kernelILj128ELj64EiiiaaiEEvT3_20rocsparse_direction_NS_24const_host_device_scalarIT1_EES1_PKS1_PKT2_SA_S7_PKT4_PKT5_S5_PT6_21rocsparse_index_base_b.num_agpr, 0
	.set _ZN9rocsparseL18bsrxmvn_4x4_kernelILj128ELj64EiiiaaiEEvT3_20rocsparse_direction_NS_24const_host_device_scalarIT1_EES1_PKS1_PKT2_SA_S7_PKT4_PKT5_S5_PT6_21rocsparse_index_base_b.numbered_sgpr, 19
	.set _ZN9rocsparseL18bsrxmvn_4x4_kernelILj128ELj64EiiiaaiEEvT3_20rocsparse_direction_NS_24const_host_device_scalarIT1_EES1_PKS1_PKT2_SA_S7_PKT4_PKT5_S5_PT6_21rocsparse_index_base_b.num_named_barrier, 0
	.set _ZN9rocsparseL18bsrxmvn_4x4_kernelILj128ELj64EiiiaaiEEvT3_20rocsparse_direction_NS_24const_host_device_scalarIT1_EES1_PKS1_PKT2_SA_S7_PKT4_PKT5_S5_PT6_21rocsparse_index_base_b.private_seg_size, 0
	.set _ZN9rocsparseL18bsrxmvn_4x4_kernelILj128ELj64EiiiaaiEEvT3_20rocsparse_direction_NS_24const_host_device_scalarIT1_EES1_PKS1_PKT2_SA_S7_PKT4_PKT5_S5_PT6_21rocsparse_index_base_b.uses_vcc, 1
	.set _ZN9rocsparseL18bsrxmvn_4x4_kernelILj128ELj64EiiiaaiEEvT3_20rocsparse_direction_NS_24const_host_device_scalarIT1_EES1_PKS1_PKT2_SA_S7_PKT4_PKT5_S5_PT6_21rocsparse_index_base_b.uses_flat_scratch, 0
	.set _ZN9rocsparseL18bsrxmvn_4x4_kernelILj128ELj64EiiiaaiEEvT3_20rocsparse_direction_NS_24const_host_device_scalarIT1_EES1_PKS1_PKT2_SA_S7_PKT4_PKT5_S5_PT6_21rocsparse_index_base_b.has_dyn_sized_stack, 0
	.set _ZN9rocsparseL18bsrxmvn_4x4_kernelILj128ELj64EiiiaaiEEvT3_20rocsparse_direction_NS_24const_host_device_scalarIT1_EES1_PKS1_PKT2_SA_S7_PKT4_PKT5_S5_PT6_21rocsparse_index_base_b.has_recursion, 0
	.set _ZN9rocsparseL18bsrxmvn_4x4_kernelILj128ELj64EiiiaaiEEvT3_20rocsparse_direction_NS_24const_host_device_scalarIT1_EES1_PKS1_PKT2_SA_S7_PKT4_PKT5_S5_PT6_21rocsparse_index_base_b.has_indirect_call, 0
	.section	.AMDGPU.csdata,"",@progbits
; Kernel info:
; codeLenInByte = 3296
; TotalNumSgprs: 21
; NumVgprs: 40
; ScratchSize: 0
; MemoryBound: 0
; FloatMode: 240
; IeeeMode: 1
; LDSByteSize: 0 bytes/workgroup (compile time only)
; SGPRBlocks: 0
; VGPRBlocks: 4
; NumSGPRsForWavesPerEU: 21
; NumVGPRsForWavesPerEU: 40
; Occupancy: 16
; WaveLimiterHint : 1
; COMPUTE_PGM_RSRC2:SCRATCH_EN: 0
; COMPUTE_PGM_RSRC2:USER_SGPR: 6
; COMPUTE_PGM_RSRC2:TRAP_HANDLER: 0
; COMPUTE_PGM_RSRC2:TGID_X_EN: 1
; COMPUTE_PGM_RSRC2:TGID_Y_EN: 0
; COMPUTE_PGM_RSRC2:TGID_Z_EN: 0
; COMPUTE_PGM_RSRC2:TIDIG_COMP_CNT: 0
	.section	.text._ZN9rocsparseL18bsrxmvn_4x4_kernelILj128ELj4EiliaaiEEvT3_20rocsparse_direction_NS_24const_host_device_scalarIT1_EES1_PKS1_PKT2_SA_S7_PKT4_PKT5_S5_PT6_21rocsparse_index_base_b,"axG",@progbits,_ZN9rocsparseL18bsrxmvn_4x4_kernelILj128ELj4EiliaaiEEvT3_20rocsparse_direction_NS_24const_host_device_scalarIT1_EES1_PKS1_PKT2_SA_S7_PKT4_PKT5_S5_PT6_21rocsparse_index_base_b,comdat
	.globl	_ZN9rocsparseL18bsrxmvn_4x4_kernelILj128ELj4EiliaaiEEvT3_20rocsparse_direction_NS_24const_host_device_scalarIT1_EES1_PKS1_PKT2_SA_S7_PKT4_PKT5_S5_PT6_21rocsparse_index_base_b ; -- Begin function _ZN9rocsparseL18bsrxmvn_4x4_kernelILj128ELj4EiliaaiEEvT3_20rocsparse_direction_NS_24const_host_device_scalarIT1_EES1_PKS1_PKT2_SA_S7_PKT4_PKT5_S5_PT6_21rocsparse_index_base_b
	.p2align	8
	.type	_ZN9rocsparseL18bsrxmvn_4x4_kernelILj128ELj4EiliaaiEEvT3_20rocsparse_direction_NS_24const_host_device_scalarIT1_EES1_PKS1_PKT2_SA_S7_PKT4_PKT5_S5_PT6_21rocsparse_index_base_b,@function
_ZN9rocsparseL18bsrxmvn_4x4_kernelILj128ELj4EiliaaiEEvT3_20rocsparse_direction_NS_24const_host_device_scalarIT1_EES1_PKS1_PKT2_SA_S7_PKT4_PKT5_S5_PT6_21rocsparse_index_base_b: ; @_ZN9rocsparseL18bsrxmvn_4x4_kernelILj128ELj4EiliaaiEEvT3_20rocsparse_direction_NS_24const_host_device_scalarIT1_EES1_PKS1_PKT2_SA_S7_PKT4_PKT5_S5_PT6_21rocsparse_index_base_b
; %bb.0:
	s_clause 0x1
	s_load_dwordx2 s[16:17], s[4:5], 0x58
	s_load_dwordx2 s[2:3], s[4:5], 0x8
	s_mov_b32 s8, -1
	s_waitcnt lgkmcnt(0)
	s_bitcmp1_b32 s17, 0
                                        ; implicit-def: $sgpr17
	s_cselect_b32 s0, -1, 0
	s_xor_b32 s7, s0, -1
	s_and_b32 vcc_lo, exec_lo, s7
	s_cbranch_vccnz .LBB65_4
; %bb.1:
	s_load_dwordx2 s[0:1], s[4:5], 0x48
	s_andn2_b32 vcc_lo, exec_lo, s8
	s_cbranch_vccz .LBB65_5
.LBB65_2:
	s_and_b32 vcc_lo, exec_lo, s7
	s_cbranch_vccz .LBB65_6
.LBB65_3:
	s_waitcnt lgkmcnt(0)
	s_load_dword s18, s[0:1], 0x0
	s_cbranch_execz .LBB65_7
	s_branch .LBB65_8
.LBB65_4:
	s_load_dword s17, s[2:3], 0x0
	s_load_dwordx2 s[0:1], s[4:5], 0x48
	s_cbranch_execnz .LBB65_2
.LBB65_5:
	s_waitcnt lgkmcnt(0)
	s_mov_b32 s17, s2
	s_and_b32 vcc_lo, exec_lo, s7
	s_cbranch_vccnz .LBB65_3
.LBB65_6:
	s_waitcnt lgkmcnt(0)
                                        ; implicit-def: $sgpr18
.LBB65_7:
	s_waitcnt lgkmcnt(0)
	s_mov_b32 s18, s0
.LBB65_8:
	s_cmp_lg_u32 s17, 0
	s_mov_b32 s7, 0
	s_cselect_b32 s0, -1, 0
	s_waitcnt lgkmcnt(0)
	s_cmp_lg_u32 s18, 1
	s_cselect_b32 s1, -1, 0
	s_or_b32 s0, s0, s1
	s_andn2_b32 vcc_lo, exec_lo, s0
	s_cbranch_vccnz .LBB65_14
; %bb.9:
	s_clause 0x1
	s_load_dwordx2 s[2:3], s[4:5], 0x18
	s_load_dwordx2 s[0:1], s[4:5], 0x0
	v_lshrrev_b32_e32 v1, 2, v0
	v_lshl_or_b32 v8, s6, 5, v1
	s_waitcnt lgkmcnt(0)
	s_cmp_lg_u64 s[2:3], 0
	s_cbranch_scc0 .LBB65_15
; %bb.10:
	s_load_dword s6, s[4:5], 0x10
                                        ; implicit-def: $vgpr1
	s_waitcnt lgkmcnt(0)
	v_cmp_gt_i32_e32 vcc_lo, s6, v8
	s_mov_b32 s6, 0
	s_and_saveexec_b32 s8, vcc_lo
	s_xor_b32 s8, exec_lo, s8
	s_cbranch_execz .LBB65_12
; %bb.11:
	v_ashrrev_i32_e32 v9, 31, v8
	s_mov_b32 s7, exec_lo
	v_lshlrev_b64 v[1:2], 2, v[8:9]
	v_add_co_u32 v1, vcc_lo, s2, v1
	v_add_co_ci_u32_e64 v2, null, s3, v2, vcc_lo
	global_load_dword v1, v[1:2], off
	s_waitcnt vmcnt(0)
	v_subrev_nc_u32_e32 v1, s16, v1
.LBB65_12:
	s_or_b32 exec_lo, exec_lo, s8
	s_and_b32 vcc_lo, exec_lo, s6
	s_cbranch_vccz .LBB65_16
.LBB65_13:
	v_cmp_gt_i32_e32 vcc_lo, s0, v8
	s_andn2_b32 s0, s7, exec_lo
	s_and_b32 s2, vcc_lo, exec_lo
	s_or_b32 s7, s0, s2
	s_and_saveexec_b32 s0, s7
	s_cbranch_execnz .LBB65_17
.LBB65_14:
	s_endpgm
.LBB65_15:
                                        ; implicit-def: $vgpr1
	s_cbranch_execnz .LBB65_13
.LBB65_16:
	v_mov_b32_e32 v8, v1
	s_and_saveexec_b32 s0, s7
	s_cbranch_execz .LBB65_14
.LBB65_17:
	s_load_dwordx8 s[8:15], s[4:5], 0x20
	v_ashrrev_i32_e32 v9, 31, v8
	v_and_b32_e32 v23, 3, v0
	s_load_dwordx2 s[6:7], s[4:5], 0x40
	v_lshlrev_b64 v[1:2], 3, v[8:9]
	s_waitcnt lgkmcnt(0)
	v_add_co_u32 v3, vcc_lo, s8, v1
	v_add_co_ci_u32_e64 v4, null, s9, v2, vcc_lo
	v_add_co_u32 v1, vcc_lo, s10, v1
	v_add_co_ci_u32_e64 v2, null, s11, v2, vcc_lo
	v_add_co_u32 v5, vcc_lo, v3, 8
	global_load_dwordx2 v[13:14], v[3:4], off
	v_add_co_ci_u32_e64 v6, null, 0, v4, vcc_lo
	s_cmp_eq_u64 s[10:11], 0
	v_mov_b32_e32 v4, 0
	s_cselect_b32 vcc_lo, -1, 0
	s_cmp_eq_u32 s1, 1
	v_cndmask_b32_e32 v2, v2, v6, vcc_lo
	v_cndmask_b32_e32 v1, v1, v5, vcc_lo
	global_load_dwordx2 v[1:2], v[1:2], off
	s_waitcnt vmcnt(1)
	v_sub_co_u32 v0, vcc_lo, v13, s16
	v_subrev_co_ci_u32_e64 v3, null, 0, v14, vcc_lo
	v_add_co_u32 v11, vcc_lo, v0, v23
	v_add_co_ci_u32_e64 v12, null, 0, v3, vcc_lo
	s_waitcnt vmcnt(0)
	v_sub_co_u32 v15, vcc_lo, v1, s16
	v_lshlrev_b64 v[0:1], 4, v[11:12]
	v_subrev_co_ci_u32_e64 v16, null, 0, v2, vcc_lo
	v_add_co_u32 v9, vcc_lo, s14, v0
	v_cmp_lt_i64_e64 s0, v[11:12], v[15:16]
	v_add_co_ci_u32_e64 v10, null, s15, v1, vcc_lo
	s_cbranch_scc1 .LBB65_29
; %bb.18:
	v_mov_b32_e32 v2, 0
	v_mov_b32_e32 v1, 0
	v_mov_b32_e32 v0, 0
	s_and_saveexec_b32 s3, s0
	s_cbranch_execz .LBB65_28
; %bb.19:
	v_or_b32_e32 v0, 4, v23
	v_not_b32_e32 v3, v13
	v_not_b32_e32 v2, v14
	v_mov_b32_e32 v18, v12
	v_mov_b32_e32 v17, v11
	v_sub_co_u32 v0, s1, v0, s16
	v_sub_co_ci_u32_e64 v1, null, 0, 0, s1
	v_sub_co_u32 v4, s1, s16, v23
	v_add_co_u32 v0, vcc_lo, v0, v13
	v_add_co_ci_u32_e64 v1, null, v1, v14, vcc_lo
	v_sub_co_ci_u32_e64 v5, null, 0, 0, s1
	s_mov_b32 s9, 0
	v_cmp_gt_i64_e32 vcc_lo, v[0:1], v[15:16]
	v_cndmask_b32_e32 v1, v16, v1, vcc_lo
	v_cndmask_b32_e32 v0, v15, v0, vcc_lo
	v_add_co_u32 v3, vcc_lo, v4, v3
	v_add_co_ci_u32_e64 v2, null, v5, v2, vcc_lo
	v_mov_b32_e32 v4, 0
	v_add_co_u32 v19, vcc_lo, v3, v0
	v_add_co_ci_u32_e64 v20, null, v2, v1, vcc_lo
	v_mov_b32_e32 v5, v4
	v_mov_b32_e32 v6, v4
	;; [unrolled: 1-line block ×3, first 2 shown]
	v_lshrrev_b64 v[21:22], 2, v[19:20]
	v_mov_b32_e32 v0, v4
	v_mov_b32_e32 v1, v5
	;; [unrolled: 1-line block ×4, first 2 shown]
	v_cmp_lt_u64_e32 vcc_lo, 11, v[19:20]
	v_add_co_u32 v7, s1, v21, 1
	v_mov_b32_e32 v5, v9
	v_add_co_ci_u32_e64 v20, null, 0, v22, s1
	v_mov_b32_e32 v6, v10
	s_and_saveexec_b32 s8, vcc_lo
	s_cbranch_execz .LBB65_23
; %bb.20:
	v_lshlrev_b64 v[0:1], 2, v[11:12]
	v_mov_b32_e32 v5, v9
	v_mov_b32_e32 v18, v12
	v_and_b32_e32 v19, -4, v7
	v_mov_b32_e32 v2, 0
	v_mov_b32_e32 v6, v10
	v_add_co_u32 v0, vcc_lo, s12, v0
	v_add_co_ci_u32_e64 v3, null, s13, v1, vcc_lo
	v_mov_b32_e32 v1, 0
	v_add_co_u32 v21, vcc_lo, v0, 32
	v_add_co_ci_u32_e64 v22, null, 0, v3, vcc_lo
	v_mov_b32_e32 v0, 0
	v_mov_b32_e32 v17, v11
.LBB65_21:                              ; =>This Inner Loop Header: Depth=1
	s_clause 0x3
	global_load_dword v3, v[21:22], off offset:-32
	global_load_dword v36, v[21:22], off offset:-16
	global_load_dword v37, v[21:22], off
	global_load_dword v38, v[21:22], off offset:16
	s_clause 0x2
	global_load_dwordx4 v[24:27], v[5:6], off
	global_load_dwordx4 v[28:31], v[5:6], off offset:64
	global_load_dwordx4 v[32:35], v[5:6], off offset:128
	s_waitcnt vmcnt(6)
	v_subrev_nc_u32_e32 v3, s16, v3
	s_waitcnt vmcnt(5)
	v_subrev_nc_u32_e32 v36, s16, v36
	;; [unrolled: 2-line block ×4, first 2 shown]
	s_waitcnt vmcnt(2)
	v_bfe_i32 v45, v27, 0, 8
	v_lshlrev_b32_e32 v3, 2, v3
	v_lshlrev_b32_e32 v36, 2, v36
	;; [unrolled: 1-line block ×3, first 2 shown]
	s_waitcnt vmcnt(1)
	v_lshrrev_b16 v46, 8, v31
	s_waitcnt vmcnt(0)
	v_bfe_i32 v47, v35, 8, 8
	v_ashrrev_i32_e32 v39, 31, v3
	v_ashrrev_i32_e32 v43, 31, v36
	;; [unrolled: 1-line block ×3, first 2 shown]
	v_add_co_u32 v40, s2, s6, v3
	v_add_co_u32 v36, vcc_lo, s6, v36
	v_add_co_u32 v38, s1, s6, v37
	v_add_co_ci_u32_e64 v41, null, s7, v39, s2
	v_add_co_ci_u32_e64 v37, null, s7, v43, vcc_lo
	v_add_co_ci_u32_e64 v39, null, s7, v44, s1
	s_clause 0x2
	global_load_dword v3, v[40:41], off
	global_load_dword v43, v[36:37], off
	global_load_dword v44, v[38:39], off
	v_lshlrev_b32_e32 v36, 2, v42
	v_ashrrev_i32_e32 v42, 24, v27
	v_ashrrev_i32_e32 v37, 31, v36
	v_add_co_u32 v40, vcc_lo, s6, v36
	v_add_co_ci_u32_e64 v41, null, s7, v37, vcc_lo
	global_load_dwordx4 v[36:39], v[5:6], off offset:192
	global_load_dword v40, v[40:41], off
	v_lshrrev_b16 v41, 8, v27
	v_bfe_i32 v27, v27, 16, 8
	v_add_co_u32 v5, vcc_lo, 0x100, v5
	v_add_co_ci_u32_e64 v6, null, 0, v6, vcc_lo
	v_add_co_u32 v17, vcc_lo, v17, 16
	v_add_co_ci_u32_e64 v18, null, 0, v18, vcc_lo
	v_add_co_u32 v19, vcc_lo, v19, -4
	v_add_co_ci_u32_e64 v20, null, -1, v20, vcc_lo
	v_add_co_u32 v21, vcc_lo, v21, 64
	v_add_co_ci_u32_e64 v22, null, 0, v22, vcc_lo
	v_cmp_eq_u64_e32 vcc_lo, 0, v[19:20]
	s_or_b32 s9, vcc_lo, s9
	s_waitcnt vmcnt(4)
	v_lshrrev_b16 v48, 8, v3
	v_ashrrev_i32_e32 v49, 24, v3
	v_bfe_i32 v50, v3, 0, 8
	v_bfe_i32 v51, v3, 16, 8
	v_dot4c_i32_i8 v0, v3, v24
	v_dot4c_i32_i8 v1, v3, v25
	;; [unrolled: 1-line block ×3, first 2 shown]
	s_waitcnt vmcnt(3)
	v_lshrrev_b16 v3, 8, v43
	v_mul_i32_i24_sdwa v25, sext(v31), sext(v43) dst_sel:DWORD dst_unused:UNUSED_PAD src0_sel:BYTE_3 src1_sel:BYTE_3
	v_mul_i32_i24_sdwa v24, sext(v31), sext(v43) dst_sel:DWORD dst_unused:UNUSED_PAD src0_sel:BYTE_0 src1_sel:BYTE_0
	v_mul_i32_i24_sdwa v26, sext(v31), sext(v43) dst_sel:DWORD dst_unused:UNUSED_PAD src0_sel:BYTE_2 src1_sel:BYTE_2
	v_mul_i32_i24_sdwa v41, sext(v41), sext(v48) dst_sel:DWORD dst_unused:UNUSED_PAD src0_sel:BYTE_0 src1_sel:BYTE_0
	v_mul_i32_i24_sdwa v3, sext(v46), sext(v3) dst_sel:DWORD dst_unused:UNUSED_PAD src0_sel:BYTE_0 src1_sel:BYTE_0
	v_mad_i32_i24 v25, v42, v49, v25
	s_waitcnt vmcnt(2)
	v_bfe_i32 v31, v44, 8, 8
	v_mul_i32_i24_sdwa v42, sext(v35), sext(v44) dst_sel:DWORD dst_unused:UNUSED_PAD src0_sel:BYTE_2 src1_sel:BYTE_2
	v_mad_i32_i24 v26, v27, v51, v26
	v_mad_i32_i24 v24, v45, v50, v24
	v_add3_u32 v3, v41, v3, v25
	v_mul_i32_i24_sdwa v25, sext(v44), sext(v35) dst_sel:DWORD dst_unused:UNUSED_PAD src0_sel:BYTE_0 src1_sel:BYTE_0
	v_mad_i32_i24 v31, v31, v47, v42
	v_mul_i32_i24_sdwa v27, sext(v35), sext(v44) dst_sel:DWORD dst_unused:UNUSED_PAD src0_sel:BYTE_3 src1_sel:BYTE_3
	v_dot4c_i32_i8 v0, v43, v28
	v_add3_u32 v3, v24, v26, v3
	v_dot4c_i32_i8 v2, v43, v30
	v_dot4c_i32_i8 v1, v43, v29
	v_dot4c_i32_i8 v0, v44, v32
	v_add3_u32 v3, v3, v25, v31
	v_dot4c_i32_i8 v2, v34, v44
	v_dot4c_i32_i8 v1, v33, v44
	s_waitcnt vmcnt(0)
	v_dot4c_i32_i8 v0, v40, v36
	v_add3_u32 v4, v3, v4, v27
	v_dot4c_i32_i8 v2, v40, v38
	v_dot4c_i32_i8 v1, v40, v37
	;; [unrolled: 1-line block ×3, first 2 shown]
	s_andn2_b32 exec_lo, exec_lo, s9
	s_cbranch_execnz .LBB65_21
; %bb.22:
	s_or_b32 exec_lo, exec_lo, s9
	v_mov_b32_e32 v3, v4
.LBB65_23:
	s_or_b32 exec_lo, exec_lo, s8
	v_and_b32_e32 v19, 3, v7
	v_mov_b32_e32 v20, 0
	s_mov_b32 s1, exec_lo
	v_cmpx_ne_u64_e32 0, v[19:20]
	s_cbranch_execz .LBB65_27
; %bb.24:
	v_lshlrev_b64 v[17:18], 2, v[17:18]
	v_lshlrev_b32_e32 v19, 2, v19
	s_mov_b32 s2, 0
	v_add_co_u32 v17, vcc_lo, s12, v17
	v_add_co_ci_u32_e64 v18, null, s13, v18, vcc_lo
	s_inst_prefetch 0x1
	.p2align	6
.LBB65_25:                              ; =>This Inner Loop Header: Depth=1
	global_load_dword v4, v[17:18], off
	s_waitcnt vmcnt(0)
	v_subrev_nc_u32_e32 v4, s16, v4
	v_lshlrev_b32_e32 v4, 2, v4
	v_ashrrev_i32_e32 v7, 31, v4
	v_add_co_u32 v21, vcc_lo, s6, v4
	v_add_co_ci_u32_e64 v22, null, s7, v7, vcc_lo
	global_load_dwordx4 v[24:27], v[5:6], off
	global_load_dword v4, v[21:22], off
	v_add_co_u32 v5, vcc_lo, v5, 64
	v_add_co_ci_u32_e64 v6, null, 0, v6, vcc_lo
	v_add_co_u32 v19, vcc_lo, v19, -4
	v_add_co_ci_u32_e64 v20, null, -1, v20, vcc_lo
	v_add_co_u32 v17, vcc_lo, v17, 16
	v_add_co_ci_u32_e64 v18, null, 0, v18, vcc_lo
	v_cmp_eq_u64_e32 vcc_lo, 0, v[19:20]
	s_or_b32 s2, vcc_lo, s2
	s_waitcnt vmcnt(0)
	v_dot4c_i32_i8 v3, v4, v27
	v_dot4c_i32_i8 v2, v4, v26
	;; [unrolled: 1-line block ×4, first 2 shown]
	s_andn2_b32 exec_lo, exec_lo, s2
	s_cbranch_execnz .LBB65_25
; %bb.26:
	s_inst_prefetch 0x2
	s_or_b32 exec_lo, exec_lo, s2
	v_mov_b32_e32 v4, v3
.LBB65_27:
	s_or_b32 exec_lo, exec_lo, s1
.LBB65_28:
	s_or_b32 exec_lo, exec_lo, s3
	s_cbranch_execz .LBB65_30
	s_branch .LBB65_41
.LBB65_29:
                                        ; implicit-def: $vgpr4
                                        ; implicit-def: $vgpr2
.LBB65_30:
	v_mov_b32_e32 v4, 0
	v_mov_b32_e32 v2, 0
	;; [unrolled: 1-line block ×4, first 2 shown]
	s_and_saveexec_b32 s2, s0
	s_cbranch_execz .LBB65_40
; %bb.31:
	v_or_b32_e32 v0, 4, v23
	v_not_b32_e32 v3, v13
	v_not_b32_e32 v2, v14
	s_mov_b32 s8, 0
	v_sub_co_u32 v0, s0, v0, s16
	v_sub_co_ci_u32_e64 v1, null, 0, 0, s0
	v_sub_co_u32 v4, s0, s16, v23
	v_add_co_u32 v0, vcc_lo, v0, v13
	v_add_co_ci_u32_e64 v1, null, v1, v14, vcc_lo
	v_sub_co_ci_u32_e64 v5, null, 0, 0, s0
	v_cmp_gt_i64_e32 vcc_lo, v[0:1], v[15:16]
	v_cndmask_b32_e32 v1, v16, v1, vcc_lo
	v_cndmask_b32_e32 v0, v15, v0, vcc_lo
	v_add_co_u32 v3, vcc_lo, v4, v3
	v_add_co_ci_u32_e64 v2, null, v5, v2, vcc_lo
	v_mov_b32_e32 v4, 0
	v_add_co_u32 v0, vcc_lo, v3, v0
	v_add_co_ci_u32_e64 v1, null, v2, v1, vcc_lo
	v_mov_b32_e32 v5, v4
	v_mov_b32_e32 v6, v4
	;; [unrolled: 1-line block ×3, first 2 shown]
	v_lshrrev_b64 v[2:3], 2, v[0:1]
	v_cmp_lt_u64_e32 vcc_lo, 11, v[0:1]
	v_add_co_u32 v15, s0, v2, 1
	v_add_co_ci_u32_e64 v14, null, 0, v3, s0
	v_mov_b32_e32 v0, v4
	v_mov_b32_e32 v1, v5
	;; [unrolled: 1-line block ×4, first 2 shown]
	s_and_saveexec_b32 s3, vcc_lo
	s_cbranch_execz .LBB65_35
; %bb.32:
	v_lshlrev_b64 v[0:1], 2, v[11:12]
	v_and_b32_e32 v13, -4, v15
	v_mov_b32_e32 v2, 0
	v_add_co_u32 v0, vcc_lo, s12, v0
	v_add_co_ci_u32_e64 v3, null, s13, v1, vcc_lo
	v_mov_b32_e32 v1, 0
	v_add_co_u32 v5, vcc_lo, v0, 32
	v_add_co_ci_u32_e64 v6, null, 0, v3, vcc_lo
	v_mov_b32_e32 v0, 0
.LBB65_33:                              ; =>This Inner Loop Header: Depth=1
	s_clause 0x3
	global_load_dword v3, v[5:6], off offset:-32
	global_load_dword v7, v[5:6], off offset:-16
	global_load_dword v20, v[5:6], off
	global_load_dword v21, v[5:6], off offset:16
	s_clause 0x2
	global_load_dwordx4 v[16:19], v[9:10], off
	global_load_dwordx4 v[24:27], v[9:10], off offset:64
	global_load_dwordx4 v[28:31], v[9:10], off offset:128
	s_waitcnt vmcnt(6)
	v_subrev_nc_u32_e32 v3, s16, v3
	s_waitcnt vmcnt(5)
	v_subrev_nc_u32_e32 v7, s16, v7
	s_waitcnt vmcnt(4)
	v_subrev_nc_u32_e32 v20, s16, v20
	s_waitcnt vmcnt(3)
	v_subrev_nc_u32_e32 v21, s16, v21
	s_waitcnt vmcnt(2)
	v_perm_b32 v37, v18, v17, 0xc05010c
	v_lshlrev_b32_e32 v3, 2, v3
	v_lshlrev_b32_e32 v7, 2, v7
	v_lshlrev_b32_e32 v22, 2, v20
	v_lshlrev_b32_e32 v36, 2, v21
	v_perm_b32 v39, v18, v17, 0xc06020c
	v_ashrrev_i32_e32 v21, 31, v3
	v_ashrrev_i32_e32 v33, 31, v7
	v_add_co_u32 v20, vcc_lo, s6, v7
	v_ashrrev_i32_e32 v7, 31, v22
	v_add_co_u32 v34, s1, s6, v3
	v_add_co_u32 v32, s0, s6, v22
	v_add_co_ci_u32_e64 v35, null, s7, v21, s1
	v_add_co_ci_u32_e64 v21, null, s7, v33, vcc_lo
	v_add_co_ci_u32_e64 v33, null, s7, v7, s0
	s_clause 0x2
	global_load_dword v3, v[34:35], off
	global_load_dword v7, v[20:21], off
	;; [unrolled: 1-line block ×3, first 2 shown]
	global_load_dwordx4 v[32:35], v[9:10], off offset:192
	v_ashrrev_i32_e32 v21, 31, v36
	v_add_co_u32 v20, vcc_lo, s6, v36
	s_waitcnt vmcnt(5)
	v_perm_b32 v41, v26, v25, 0x4000c0c
	v_perm_b32 v42, v24, v19, 0xc0c0501
	v_add_co_ci_u32_e64 v21, null, s7, v21, vcc_lo
	v_perm_b32 v43, v26, v25, 0x5010c0c
	v_perm_b32 v44, v24, v19, 0xc0c0602
	;; [unrolled: 1-line block ×3, first 2 shown]
	global_load_dword v20, v[20:21], off
	v_perm_b32 v21, v18, v17, 0xc04000c
	v_perm_b32 v17, v18, v17, 0xc07030c
	;; [unrolled: 1-line block ×5, first 2 shown]
	s_waitcnt vmcnt(5)
	v_lshrrev_b32_e32 v25, 16, v31
	v_perm_b32 v26, v28, v27, 0xc0c0400
	v_perm_b32 v47, v28, v27, 0xc0c0501
	;; [unrolled: 1-line block ×9, first 2 shown]
	v_or_b32_e32 v27, v28, v27
	v_ashrrev_i16 v28, 8, v25
	v_bfe_i32 v25, v25, 0, 8
	v_perm_b32 v46, v30, v29, 0x4000c0c
	v_perm_b32 v48, v30, v29, 0x5010c0c
	;; [unrolled: 1-line block ×3, first 2 shown]
	v_ashrrev_i16 v29, 8, v31
	v_bfe_i32 v30, v31, 0, 8
	v_or_b32_e32 v21, v21, v36
	v_or_b32_e32 v16, v17, v16
	v_perm_b32 v25, v28, v25, 0x5040100
	v_or_b32_e32 v17, v41, v18
	v_or_b32_e32 v18, v43, v42
	;; [unrolled: 1-line block ×6, first 2 shown]
	v_perm_b32 v29, v29, v30, 0x5040100
	v_add_co_u32 v9, vcc_lo, 0x100, v9
	v_add_co_ci_u32_e64 v10, null, 0, v10, vcc_lo
	v_add_co_u32 v11, vcc_lo, v11, 16
	v_add_co_ci_u32_e64 v12, null, 0, v12, vcc_lo
	v_add_co_u32 v13, vcc_lo, v13, -4
	v_add_co_ci_u32_e64 v14, null, -1, v14, vcc_lo
	v_add_co_u32 v5, vcc_lo, v5, 64
	v_add_co_ci_u32_e64 v6, null, 0, v6, vcc_lo
	v_cmp_eq_u64_e32 vcc_lo, 0, v[13:14]
	s_or_b32 s8, vcc_lo, s8
	s_waitcnt vmcnt(4)
	v_perm_b32 v28, v3, v3, 0xc020100
	s_waitcnt vmcnt(3)
	v_perm_b32 v3, v7, v3, 0x6050403
	;; [unrolled: 2-line block ×4, first 2 shown]
	v_perm_b32 v51, v35, v34, 0x7030c0c
	v_perm_b32 v52, v33, v32, 0xc0c0602
	;; [unrolled: 1-line block ×7, first 2 shown]
	v_or_b32_e32 v34, v37, v38
	v_or_b32_e32 v35, v39, v40
	v_lshrrev_b32_e32 v39, 24, v22
	v_dot4c_i32_i8 v0, v28, v21
	v_dot4c_i32_i8 v4, v16, v28
	;; [unrolled: 1-line block ×4, first 2 shown]
	v_or_b32_e32 v37, v50, v49
	v_bfe_i32 v16, v39, 0, 8
	v_dot4c_i32_i8 v0, v3, v17
	v_dot4c_i32_i8 v4, v19, v3
	;; [unrolled: 1-line block ×4, first 2 shown]
	v_pk_mul_lo_u16 v3, v16, v25 op_sel_hi:[0,1]
	v_pk_mul_lo_u16 v16, v16, v29 op_sel_hi:[0,1]
	v_dot4c_i32_i8 v4, v27, v7
	v_dot4c_i32_i8 v2, v37, v7
	v_dot4c_i32_i8 v1, v26, v7
	v_dot4c_i32_i8 v0, v7, v24
	v_or_b32_e32 v30, v51, v31
	v_or_b32_e32 v31, v53, v52
	v_or_b32_e32 v38, v55, v54
	v_or_b32_e32 v7, v33, v32
	v_add_nc_u32_sdwa v4, v4, sext(v3) dst_sel:DWORD dst_unused:UNUSED_PAD src0_sel:DWORD src1_sel:WORD_1
	v_add_nc_u32_sdwa v2, v2, sext(v3) dst_sel:DWORD dst_unused:UNUSED_PAD src0_sel:DWORD src1_sel:WORD_0
	v_add_nc_u32_sdwa v1, v1, sext(v16) dst_sel:DWORD dst_unused:UNUSED_PAD src0_sel:DWORD src1_sel:WORD_1
	v_add_nc_u32_sdwa v0, v0, sext(v16) dst_sel:DWORD dst_unused:UNUSED_PAD src0_sel:DWORD src1_sel:WORD_0
	s_waitcnt vmcnt(0)
	v_dot4c_i32_i8 v4, v20, v30
	v_dot4c_i32_i8 v2, v20, v31
	v_dot4c_i32_i8 v1, v20, v38
	v_dot4c_i32_i8 v0, v20, v7
	s_andn2_b32 exec_lo, exec_lo, s8
	s_cbranch_execnz .LBB65_33
; %bb.34:
	s_or_b32 exec_lo, exec_lo, s8
	v_mov_b32_e32 v3, v4
.LBB65_35:
	s_or_b32 exec_lo, exec_lo, s3
	v_and_b32_e32 v5, 3, v15
	v_mov_b32_e32 v6, 0
	s_mov_b32 s0, exec_lo
	v_cmpx_ne_u64_e32 0, v[5:6]
	s_cbranch_execz .LBB65_39
; %bb.36:
	v_lshlrev_b64 v[11:12], 2, v[11:12]
	v_lshlrev_b32_e32 v5, 2, v5
	s_mov_b32 s1, 0
	v_add_co_u32 v11, vcc_lo, s12, v11
	v_add_co_ci_u32_e64 v12, null, s13, v12, vcc_lo
.LBB65_37:                              ; =>This Inner Loop Header: Depth=1
	global_load_dword v4, v[11:12], off
	global_load_dwordx4 v[13:16], v[9:10], off
	s_waitcnt vmcnt(1)
	v_subrev_nc_u32_e32 v4, s16, v4
	s_waitcnt vmcnt(0)
	v_perm_b32 v19, v16, v15, 0x6020c0c
	v_perm_b32 v20, v14, v13, 0xc0c0501
	;; [unrolled: 1-line block ×3, first 2 shown]
	v_lshlrev_b32_e32 v4, 2, v4
	v_ashrrev_i32_e32 v7, 31, v4
	v_add_co_u32 v17, vcc_lo, s6, v4
	v_add_co_ci_u32_e64 v18, null, s7, v7, vcc_lo
	v_add_co_u32 v9, vcc_lo, v9, 64
	v_add_co_ci_u32_e64 v10, null, 0, v10, vcc_lo
	global_load_dword v4, v[17:18], off
	v_add_co_u32 v11, vcc_lo, v11, 16
	v_add_co_ci_u32_e64 v12, null, 0, v12, vcc_lo
	v_add_co_u32 v5, vcc_lo, v5, -4
	v_perm_b32 v7, v14, v13, 0xc0c0703
	v_perm_b32 v17, v16, v15, 0x7030c0c
	;; [unrolled: 1-line block ×5, first 2 shown]
	v_add_co_ci_u32_e64 v6, null, -1, v6, vcc_lo
	v_or_b32_e32 v7, v17, v7
	v_or_b32_e32 v15, v19, v18
	;; [unrolled: 1-line block ×4, first 2 shown]
	v_cmp_eq_u64_e32 vcc_lo, 0, v[5:6]
	s_or_b32 s1, vcc_lo, s1
	s_waitcnt vmcnt(0)
	v_dot4c_i32_i8 v3, v4, v7
	v_dot4c_i32_i8 v2, v4, v15
	;; [unrolled: 1-line block ×4, first 2 shown]
	s_andn2_b32 exec_lo, exec_lo, s1
	s_cbranch_execnz .LBB65_37
; %bb.38:
	s_or_b32 exec_lo, exec_lo, s1
	v_mov_b32_e32 v4, v3
.LBB65_39:
	s_or_b32 exec_lo, exec_lo, s0
.LBB65_40:
	s_or_b32 exec_lo, exec_lo, s2
.LBB65_41:
	v_mbcnt_lo_u32_b32 v3, -1, 0
	s_mov_b32 s2, -1
	v_xor_b32_e32 v5, 2, v3
	v_xor_b32_e32 v10, 1, v3
	v_cmp_gt_i32_e32 vcc_lo, 32, v5
	v_cndmask_b32_e32 v5, v3, v5, vcc_lo
	v_cmp_gt_i32_e32 vcc_lo, 32, v10
	v_lshlrev_b32_e32 v5, 2, v5
	v_cndmask_b32_e32 v3, v3, v10, vcc_lo
	v_cmp_eq_u32_e32 vcc_lo, 3, v23
	ds_bpermute_b32 v6, v5, v0
	ds_bpermute_b32 v7, v5, v1
	;; [unrolled: 1-line block ×4, first 2 shown]
	v_lshlrev_b32_e32 v10, 2, v3
	s_waitcnt lgkmcnt(3)
	v_add_nc_u32_e32 v0, v6, v0
	s_waitcnt lgkmcnt(2)
	v_add_nc_u32_e32 v1, v7, v1
	;; [unrolled: 2-line block ×4, first 2 shown]
	ds_bpermute_b32 v4, v10, v0
	ds_bpermute_b32 v5, v10, v1
	;; [unrolled: 1-line block ×4, first 2 shown]
	s_and_b32 exec_lo, exec_lo, vcc_lo
	s_cbranch_execz .LBB65_14
; %bb.42:
	s_load_dwordx2 s[0:1], s[4:5], 0x50
	s_waitcnt lgkmcnt(0)
	v_add_nc_u32_e32 v0, v4, v0
	v_add_nc_u32_e32 v1, v5, v1
	;; [unrolled: 1-line block ×4, first 2 shown]
	v_lshlrev_b32_e32 v4, 2, v8
	v_mul_lo_u32 v0, v0, s17
	v_mul_lo_u32 v1, v1, s17
	;; [unrolled: 1-line block ×4, first 2 shown]
	s_cmp_eq_u32 s18, 0
	s_cbranch_scc1 .LBB65_44
; %bb.43:
	v_ashrrev_i32_e32 v5, 31, v4
	s_mov_b32 s2, 0
	v_lshlrev_b64 v[5:6], 2, v[4:5]
	v_add_co_u32 v12, vcc_lo, s0, v5
	v_add_co_ci_u32_e64 v13, null, s1, v6, vcc_lo
	global_load_dwordx4 v[5:8], v[12:13], off
	s_waitcnt vmcnt(0)
	v_mad_u64_u32 v[14:15], null, v8, s18, v[3:4]
	v_mad_u64_u32 v[8:9], null, v5, s18, v[0:1]
	;; [unrolled: 1-line block ×4, first 2 shown]
	v_mov_b32_e32 v11, v14
	global_store_dwordx4 v[12:13], v[8:11], off
.LBB65_44:
	s_andn2_b32 vcc_lo, exec_lo, s2
	s_cbranch_vccnz .LBB65_14
; %bb.45:
	v_ashrrev_i32_e32 v5, 31, v4
	v_lshlrev_b64 v[4:5], 2, v[4:5]
	v_add_co_u32 v4, vcc_lo, s0, v4
	v_add_co_ci_u32_e64 v5, null, s1, v5, vcc_lo
	global_store_dwordx4 v[4:5], v[0:3], off
	s_endpgm
	.section	.rodata,"a",@progbits
	.p2align	6, 0x0
	.amdhsa_kernel _ZN9rocsparseL18bsrxmvn_4x4_kernelILj128ELj4EiliaaiEEvT3_20rocsparse_direction_NS_24const_host_device_scalarIT1_EES1_PKS1_PKT2_SA_S7_PKT4_PKT5_S5_PT6_21rocsparse_index_base_b
		.amdhsa_group_segment_fixed_size 0
		.amdhsa_private_segment_fixed_size 0
		.amdhsa_kernarg_size 96
		.amdhsa_user_sgpr_count 6
		.amdhsa_user_sgpr_private_segment_buffer 1
		.amdhsa_user_sgpr_dispatch_ptr 0
		.amdhsa_user_sgpr_queue_ptr 0
		.amdhsa_user_sgpr_kernarg_segment_ptr 1
		.amdhsa_user_sgpr_dispatch_id 0
		.amdhsa_user_sgpr_flat_scratch_init 0
		.amdhsa_user_sgpr_private_segment_size 0
		.amdhsa_wavefront_size32 1
		.amdhsa_uses_dynamic_stack 0
		.amdhsa_system_sgpr_private_segment_wavefront_offset 0
		.amdhsa_system_sgpr_workgroup_id_x 1
		.amdhsa_system_sgpr_workgroup_id_y 0
		.amdhsa_system_sgpr_workgroup_id_z 0
		.amdhsa_system_sgpr_workgroup_info 0
		.amdhsa_system_vgpr_workitem_id 0
		.amdhsa_next_free_vgpr 56
		.amdhsa_next_free_sgpr 19
		.amdhsa_reserve_vcc 1
		.amdhsa_reserve_flat_scratch 0
		.amdhsa_float_round_mode_32 0
		.amdhsa_float_round_mode_16_64 0
		.amdhsa_float_denorm_mode_32 3
		.amdhsa_float_denorm_mode_16_64 3
		.amdhsa_dx10_clamp 1
		.amdhsa_ieee_mode 1
		.amdhsa_fp16_overflow 0
		.amdhsa_workgroup_processor_mode 1
		.amdhsa_memory_ordered 1
		.amdhsa_forward_progress 1
		.amdhsa_shared_vgpr_count 0
		.amdhsa_exception_fp_ieee_invalid_op 0
		.amdhsa_exception_fp_denorm_src 0
		.amdhsa_exception_fp_ieee_div_zero 0
		.amdhsa_exception_fp_ieee_overflow 0
		.amdhsa_exception_fp_ieee_underflow 0
		.amdhsa_exception_fp_ieee_inexact 0
		.amdhsa_exception_int_div_zero 0
	.end_amdhsa_kernel
	.section	.text._ZN9rocsparseL18bsrxmvn_4x4_kernelILj128ELj4EiliaaiEEvT3_20rocsparse_direction_NS_24const_host_device_scalarIT1_EES1_PKS1_PKT2_SA_S7_PKT4_PKT5_S5_PT6_21rocsparse_index_base_b,"axG",@progbits,_ZN9rocsparseL18bsrxmvn_4x4_kernelILj128ELj4EiliaaiEEvT3_20rocsparse_direction_NS_24const_host_device_scalarIT1_EES1_PKS1_PKT2_SA_S7_PKT4_PKT5_S5_PT6_21rocsparse_index_base_b,comdat
.Lfunc_end65:
	.size	_ZN9rocsparseL18bsrxmvn_4x4_kernelILj128ELj4EiliaaiEEvT3_20rocsparse_direction_NS_24const_host_device_scalarIT1_EES1_PKS1_PKT2_SA_S7_PKT4_PKT5_S5_PT6_21rocsparse_index_base_b, .Lfunc_end65-_ZN9rocsparseL18bsrxmvn_4x4_kernelILj128ELj4EiliaaiEEvT3_20rocsparse_direction_NS_24const_host_device_scalarIT1_EES1_PKS1_PKT2_SA_S7_PKT4_PKT5_S5_PT6_21rocsparse_index_base_b
                                        ; -- End function
	.set _ZN9rocsparseL18bsrxmvn_4x4_kernelILj128ELj4EiliaaiEEvT3_20rocsparse_direction_NS_24const_host_device_scalarIT1_EES1_PKS1_PKT2_SA_S7_PKT4_PKT5_S5_PT6_21rocsparse_index_base_b.num_vgpr, 56
	.set _ZN9rocsparseL18bsrxmvn_4x4_kernelILj128ELj4EiliaaiEEvT3_20rocsparse_direction_NS_24const_host_device_scalarIT1_EES1_PKS1_PKT2_SA_S7_PKT4_PKT5_S5_PT6_21rocsparse_index_base_b.num_agpr, 0
	.set _ZN9rocsparseL18bsrxmvn_4x4_kernelILj128ELj4EiliaaiEEvT3_20rocsparse_direction_NS_24const_host_device_scalarIT1_EES1_PKS1_PKT2_SA_S7_PKT4_PKT5_S5_PT6_21rocsparse_index_base_b.numbered_sgpr, 19
	.set _ZN9rocsparseL18bsrxmvn_4x4_kernelILj128ELj4EiliaaiEEvT3_20rocsparse_direction_NS_24const_host_device_scalarIT1_EES1_PKS1_PKT2_SA_S7_PKT4_PKT5_S5_PT6_21rocsparse_index_base_b.num_named_barrier, 0
	.set _ZN9rocsparseL18bsrxmvn_4x4_kernelILj128ELj4EiliaaiEEvT3_20rocsparse_direction_NS_24const_host_device_scalarIT1_EES1_PKS1_PKT2_SA_S7_PKT4_PKT5_S5_PT6_21rocsparse_index_base_b.private_seg_size, 0
	.set _ZN9rocsparseL18bsrxmvn_4x4_kernelILj128ELj4EiliaaiEEvT3_20rocsparse_direction_NS_24const_host_device_scalarIT1_EES1_PKS1_PKT2_SA_S7_PKT4_PKT5_S5_PT6_21rocsparse_index_base_b.uses_vcc, 1
	.set _ZN9rocsparseL18bsrxmvn_4x4_kernelILj128ELj4EiliaaiEEvT3_20rocsparse_direction_NS_24const_host_device_scalarIT1_EES1_PKS1_PKT2_SA_S7_PKT4_PKT5_S5_PT6_21rocsparse_index_base_b.uses_flat_scratch, 0
	.set _ZN9rocsparseL18bsrxmvn_4x4_kernelILj128ELj4EiliaaiEEvT3_20rocsparse_direction_NS_24const_host_device_scalarIT1_EES1_PKS1_PKT2_SA_S7_PKT4_PKT5_S5_PT6_21rocsparse_index_base_b.has_dyn_sized_stack, 0
	.set _ZN9rocsparseL18bsrxmvn_4x4_kernelILj128ELj4EiliaaiEEvT3_20rocsparse_direction_NS_24const_host_device_scalarIT1_EES1_PKS1_PKT2_SA_S7_PKT4_PKT5_S5_PT6_21rocsparse_index_base_b.has_recursion, 0
	.set _ZN9rocsparseL18bsrxmvn_4x4_kernelILj128ELj4EiliaaiEEvT3_20rocsparse_direction_NS_24const_host_device_scalarIT1_EES1_PKS1_PKT2_SA_S7_PKT4_PKT5_S5_PT6_21rocsparse_index_base_b.has_indirect_call, 0
	.section	.AMDGPU.csdata,"",@progbits
; Kernel info:
; codeLenInByte = 3740
; TotalNumSgprs: 21
; NumVgprs: 56
; ScratchSize: 0
; MemoryBound: 0
; FloatMode: 240
; IeeeMode: 1
; LDSByteSize: 0 bytes/workgroup (compile time only)
; SGPRBlocks: 0
; VGPRBlocks: 6
; NumSGPRsForWavesPerEU: 21
; NumVGPRsForWavesPerEU: 56
; Occupancy: 16
; WaveLimiterHint : 1
; COMPUTE_PGM_RSRC2:SCRATCH_EN: 0
; COMPUTE_PGM_RSRC2:USER_SGPR: 6
; COMPUTE_PGM_RSRC2:TRAP_HANDLER: 0
; COMPUTE_PGM_RSRC2:TGID_X_EN: 1
; COMPUTE_PGM_RSRC2:TGID_Y_EN: 0
; COMPUTE_PGM_RSRC2:TGID_Z_EN: 0
; COMPUTE_PGM_RSRC2:TIDIG_COMP_CNT: 0
	.section	.text._ZN9rocsparseL18bsrxmvn_4x4_kernelILj128ELj8EiliaaiEEvT3_20rocsparse_direction_NS_24const_host_device_scalarIT1_EES1_PKS1_PKT2_SA_S7_PKT4_PKT5_S5_PT6_21rocsparse_index_base_b,"axG",@progbits,_ZN9rocsparseL18bsrxmvn_4x4_kernelILj128ELj8EiliaaiEEvT3_20rocsparse_direction_NS_24const_host_device_scalarIT1_EES1_PKS1_PKT2_SA_S7_PKT4_PKT5_S5_PT6_21rocsparse_index_base_b,comdat
	.globl	_ZN9rocsparseL18bsrxmvn_4x4_kernelILj128ELj8EiliaaiEEvT3_20rocsparse_direction_NS_24const_host_device_scalarIT1_EES1_PKS1_PKT2_SA_S7_PKT4_PKT5_S5_PT6_21rocsparse_index_base_b ; -- Begin function _ZN9rocsparseL18bsrxmvn_4x4_kernelILj128ELj8EiliaaiEEvT3_20rocsparse_direction_NS_24const_host_device_scalarIT1_EES1_PKS1_PKT2_SA_S7_PKT4_PKT5_S5_PT6_21rocsparse_index_base_b
	.p2align	8
	.type	_ZN9rocsparseL18bsrxmvn_4x4_kernelILj128ELj8EiliaaiEEvT3_20rocsparse_direction_NS_24const_host_device_scalarIT1_EES1_PKS1_PKT2_SA_S7_PKT4_PKT5_S5_PT6_21rocsparse_index_base_b,@function
_ZN9rocsparseL18bsrxmvn_4x4_kernelILj128ELj8EiliaaiEEvT3_20rocsparse_direction_NS_24const_host_device_scalarIT1_EES1_PKS1_PKT2_SA_S7_PKT4_PKT5_S5_PT6_21rocsparse_index_base_b: ; @_ZN9rocsparseL18bsrxmvn_4x4_kernelILj128ELj8EiliaaiEEvT3_20rocsparse_direction_NS_24const_host_device_scalarIT1_EES1_PKS1_PKT2_SA_S7_PKT4_PKT5_S5_PT6_21rocsparse_index_base_b
; %bb.0:
	s_clause 0x1
	s_load_dwordx2 s[16:17], s[4:5], 0x58
	s_load_dwordx2 s[2:3], s[4:5], 0x8
	s_mov_b32 s8, -1
	s_waitcnt lgkmcnt(0)
	s_bitcmp1_b32 s17, 0
                                        ; implicit-def: $sgpr17
	s_cselect_b32 s0, -1, 0
	s_xor_b32 s7, s0, -1
	s_and_b32 vcc_lo, exec_lo, s7
	s_cbranch_vccnz .LBB66_4
; %bb.1:
	s_load_dwordx2 s[0:1], s[4:5], 0x48
	s_andn2_b32 vcc_lo, exec_lo, s8
	s_cbranch_vccz .LBB66_5
.LBB66_2:
	s_and_b32 vcc_lo, exec_lo, s7
	s_cbranch_vccz .LBB66_6
.LBB66_3:
	s_waitcnt lgkmcnt(0)
	s_load_dword s18, s[0:1], 0x0
	s_cbranch_execz .LBB66_7
	s_branch .LBB66_8
.LBB66_4:
	s_load_dword s17, s[2:3], 0x0
	s_load_dwordx2 s[0:1], s[4:5], 0x48
	s_cbranch_execnz .LBB66_2
.LBB66_5:
	s_waitcnt lgkmcnt(0)
	s_mov_b32 s17, s2
	s_and_b32 vcc_lo, exec_lo, s7
	s_cbranch_vccnz .LBB66_3
.LBB66_6:
	s_waitcnt lgkmcnt(0)
                                        ; implicit-def: $sgpr18
.LBB66_7:
	s_waitcnt lgkmcnt(0)
	s_mov_b32 s18, s0
.LBB66_8:
	s_cmp_lg_u32 s17, 0
	s_mov_b32 s7, 0
	s_cselect_b32 s0, -1, 0
	s_waitcnt lgkmcnt(0)
	s_cmp_lg_u32 s18, 1
	s_cselect_b32 s1, -1, 0
	s_or_b32 s0, s0, s1
	s_andn2_b32 vcc_lo, exec_lo, s0
	s_cbranch_vccnz .LBB66_14
; %bb.9:
	s_clause 0x1
	s_load_dwordx2 s[2:3], s[4:5], 0x18
	s_load_dwordx2 s[0:1], s[4:5], 0x0
	v_lshrrev_b32_e32 v1, 3, v0
	v_lshl_or_b32 v8, s6, 4, v1
	s_waitcnt lgkmcnt(0)
	s_cmp_lg_u64 s[2:3], 0
	s_cbranch_scc0 .LBB66_15
; %bb.10:
	s_load_dword s6, s[4:5], 0x10
                                        ; implicit-def: $vgpr1
	s_waitcnt lgkmcnt(0)
	v_cmp_gt_i32_e32 vcc_lo, s6, v8
	s_mov_b32 s6, 0
	s_and_saveexec_b32 s8, vcc_lo
	s_xor_b32 s8, exec_lo, s8
	s_cbranch_execz .LBB66_12
; %bb.11:
	v_ashrrev_i32_e32 v9, 31, v8
	s_mov_b32 s7, exec_lo
	v_lshlrev_b64 v[1:2], 2, v[8:9]
	v_add_co_u32 v1, vcc_lo, s2, v1
	v_add_co_ci_u32_e64 v2, null, s3, v2, vcc_lo
	global_load_dword v1, v[1:2], off
	s_waitcnt vmcnt(0)
	v_subrev_nc_u32_e32 v1, s16, v1
.LBB66_12:
	s_or_b32 exec_lo, exec_lo, s8
	s_and_b32 vcc_lo, exec_lo, s6
	s_cbranch_vccz .LBB66_16
.LBB66_13:
	v_cmp_gt_i32_e32 vcc_lo, s0, v8
	s_andn2_b32 s0, s7, exec_lo
	s_and_b32 s2, vcc_lo, exec_lo
	s_or_b32 s7, s0, s2
	s_and_saveexec_b32 s0, s7
	s_cbranch_execnz .LBB66_17
.LBB66_14:
	s_endpgm
.LBB66_15:
                                        ; implicit-def: $vgpr1
	s_cbranch_execnz .LBB66_13
.LBB66_16:
	v_mov_b32_e32 v8, v1
	s_and_saveexec_b32 s0, s7
	s_cbranch_execz .LBB66_14
.LBB66_17:
	s_load_dwordx8 s[8:15], s[4:5], 0x20
	v_ashrrev_i32_e32 v9, 31, v8
	v_and_b32_e32 v23, 7, v0
	s_load_dwordx2 s[6:7], s[4:5], 0x40
	v_lshlrev_b64 v[1:2], 3, v[8:9]
	s_waitcnt lgkmcnt(0)
	v_add_co_u32 v3, vcc_lo, s8, v1
	v_add_co_ci_u32_e64 v4, null, s9, v2, vcc_lo
	v_add_co_u32 v1, vcc_lo, s10, v1
	v_add_co_ci_u32_e64 v2, null, s11, v2, vcc_lo
	v_add_co_u32 v5, vcc_lo, v3, 8
	global_load_dwordx2 v[13:14], v[3:4], off
	v_add_co_ci_u32_e64 v6, null, 0, v4, vcc_lo
	s_cmp_eq_u64 s[10:11], 0
	v_mov_b32_e32 v4, 0
	s_cselect_b32 vcc_lo, -1, 0
	s_cmp_eq_u32 s1, 1
	v_cndmask_b32_e32 v2, v2, v6, vcc_lo
	v_cndmask_b32_e32 v1, v1, v5, vcc_lo
	global_load_dwordx2 v[1:2], v[1:2], off
	s_waitcnt vmcnt(1)
	v_sub_co_u32 v0, vcc_lo, v13, s16
	v_subrev_co_ci_u32_e64 v3, null, 0, v14, vcc_lo
	v_add_co_u32 v11, vcc_lo, v0, v23
	v_add_co_ci_u32_e64 v12, null, 0, v3, vcc_lo
	s_waitcnt vmcnt(0)
	v_sub_co_u32 v15, vcc_lo, v1, s16
	v_lshlrev_b64 v[0:1], 4, v[11:12]
	v_subrev_co_ci_u32_e64 v16, null, 0, v2, vcc_lo
	v_add_co_u32 v9, vcc_lo, s14, v0
	v_cmp_lt_i64_e64 s0, v[11:12], v[15:16]
	v_add_co_ci_u32_e64 v10, null, s15, v1, vcc_lo
	s_cbranch_scc1 .LBB66_29
; %bb.18:
	v_mov_b32_e32 v2, 0
	v_mov_b32_e32 v1, 0
	;; [unrolled: 1-line block ×3, first 2 shown]
	s_and_saveexec_b32 s3, s0
	s_cbranch_execz .LBB66_28
; %bb.19:
	v_or_b32_e32 v0, 8, v23
	v_not_b32_e32 v3, v13
	v_not_b32_e32 v2, v14
	v_mov_b32_e32 v18, v12
	v_mov_b32_e32 v17, v11
	v_sub_co_u32 v0, s1, v0, s16
	v_sub_co_ci_u32_e64 v1, null, 0, 0, s1
	v_sub_co_u32 v4, s1, s16, v23
	v_add_co_u32 v0, vcc_lo, v0, v13
	v_add_co_ci_u32_e64 v1, null, v1, v14, vcc_lo
	v_sub_co_ci_u32_e64 v5, null, 0, 0, s1
	s_mov_b32 s9, 0
	v_cmp_gt_i64_e32 vcc_lo, v[0:1], v[15:16]
	v_cndmask_b32_e32 v1, v16, v1, vcc_lo
	v_cndmask_b32_e32 v0, v15, v0, vcc_lo
	v_add_co_u32 v3, vcc_lo, v4, v3
	v_add_co_ci_u32_e64 v2, null, v5, v2, vcc_lo
	v_mov_b32_e32 v4, 0
	v_add_co_u32 v19, vcc_lo, v3, v0
	v_add_co_ci_u32_e64 v20, null, v2, v1, vcc_lo
	v_mov_b32_e32 v5, v4
	v_mov_b32_e32 v6, v4
	;; [unrolled: 1-line block ×3, first 2 shown]
	v_lshrrev_b64 v[21:22], 3, v[19:20]
	v_mov_b32_e32 v0, v4
	v_mov_b32_e32 v1, v5
	;; [unrolled: 1-line block ×4, first 2 shown]
	v_cmp_lt_u64_e32 vcc_lo, 23, v[19:20]
	v_add_co_u32 v7, s1, v21, 1
	v_mov_b32_e32 v5, v9
	v_add_co_ci_u32_e64 v20, null, 0, v22, s1
	v_mov_b32_e32 v6, v10
	s_and_saveexec_b32 s8, vcc_lo
	s_cbranch_execz .LBB66_23
; %bb.20:
	v_lshlrev_b64 v[0:1], 2, v[11:12]
	v_mov_b32_e32 v5, v9
	v_mov_b32_e32 v18, v12
	v_and_b32_e32 v19, -4, v7
	v_mov_b32_e32 v2, 0
	v_mov_b32_e32 v6, v10
	v_add_co_u32 v0, vcc_lo, s12, v0
	v_add_co_ci_u32_e64 v3, null, s13, v1, vcc_lo
	v_mov_b32_e32 v1, 0
	v_add_co_u32 v21, vcc_lo, v0, 64
	v_add_co_ci_u32_e64 v22, null, 0, v3, vcc_lo
	v_mov_b32_e32 v0, 0
	v_mov_b32_e32 v17, v11
.LBB66_21:                              ; =>This Inner Loop Header: Depth=1
	s_clause 0x3
	global_load_dword v3, v[21:22], off offset:-64
	global_load_dword v36, v[21:22], off offset:-32
	global_load_dword v37, v[21:22], off
	global_load_dword v38, v[21:22], off offset:32
	s_clause 0x2
	global_load_dwordx4 v[24:27], v[5:6], off
	global_load_dwordx4 v[28:31], v[5:6], off offset:128
	global_load_dwordx4 v[32:35], v[5:6], off offset:256
	s_waitcnt vmcnt(6)
	v_subrev_nc_u32_e32 v3, s16, v3
	s_waitcnt vmcnt(5)
	v_subrev_nc_u32_e32 v36, s16, v36
	;; [unrolled: 2-line block ×4, first 2 shown]
	s_waitcnt vmcnt(2)
	v_bfe_i32 v45, v27, 0, 8
	v_lshlrev_b32_e32 v3, 2, v3
	v_lshlrev_b32_e32 v36, 2, v36
	;; [unrolled: 1-line block ×3, first 2 shown]
	s_waitcnt vmcnt(1)
	v_lshrrev_b16 v46, 8, v31
	s_waitcnt vmcnt(0)
	v_bfe_i32 v47, v35, 8, 8
	v_ashrrev_i32_e32 v39, 31, v3
	v_ashrrev_i32_e32 v43, 31, v36
	;; [unrolled: 1-line block ×3, first 2 shown]
	v_add_co_u32 v40, s2, s6, v3
	v_add_co_u32 v36, vcc_lo, s6, v36
	v_add_co_u32 v38, s1, s6, v37
	v_add_co_ci_u32_e64 v41, null, s7, v39, s2
	v_add_co_ci_u32_e64 v37, null, s7, v43, vcc_lo
	v_add_co_ci_u32_e64 v39, null, s7, v44, s1
	s_clause 0x2
	global_load_dword v3, v[40:41], off
	global_load_dword v43, v[36:37], off
	;; [unrolled: 1-line block ×3, first 2 shown]
	v_lshlrev_b32_e32 v36, 2, v42
	v_ashrrev_i32_e32 v42, 24, v27
	v_ashrrev_i32_e32 v37, 31, v36
	v_add_co_u32 v40, vcc_lo, s6, v36
	v_add_co_ci_u32_e64 v41, null, s7, v37, vcc_lo
	global_load_dwordx4 v[36:39], v[5:6], off offset:384
	global_load_dword v40, v[40:41], off
	v_lshrrev_b16 v41, 8, v27
	v_bfe_i32 v27, v27, 16, 8
	v_add_co_u32 v5, vcc_lo, 0x200, v5
	v_add_co_ci_u32_e64 v6, null, 0, v6, vcc_lo
	v_add_co_u32 v17, vcc_lo, v17, 32
	v_add_co_ci_u32_e64 v18, null, 0, v18, vcc_lo
	v_add_co_u32 v19, vcc_lo, v19, -4
	v_add_co_ci_u32_e64 v20, null, -1, v20, vcc_lo
	v_add_co_u32 v21, vcc_lo, 0x80, v21
	v_add_co_ci_u32_e64 v22, null, 0, v22, vcc_lo
	v_cmp_eq_u64_e32 vcc_lo, 0, v[19:20]
	s_or_b32 s9, vcc_lo, s9
	s_waitcnt vmcnt(4)
	v_lshrrev_b16 v48, 8, v3
	v_ashrrev_i32_e32 v49, 24, v3
	v_bfe_i32 v50, v3, 0, 8
	v_bfe_i32 v51, v3, 16, 8
	v_dot4c_i32_i8 v0, v3, v24
	v_dot4c_i32_i8 v1, v3, v25
	;; [unrolled: 1-line block ×3, first 2 shown]
	s_waitcnt vmcnt(3)
	v_lshrrev_b16 v3, 8, v43
	v_mul_i32_i24_sdwa v25, sext(v31), sext(v43) dst_sel:DWORD dst_unused:UNUSED_PAD src0_sel:BYTE_3 src1_sel:BYTE_3
	v_mul_i32_i24_sdwa v24, sext(v31), sext(v43) dst_sel:DWORD dst_unused:UNUSED_PAD src0_sel:BYTE_0 src1_sel:BYTE_0
	v_mul_i32_i24_sdwa v26, sext(v31), sext(v43) dst_sel:DWORD dst_unused:UNUSED_PAD src0_sel:BYTE_2 src1_sel:BYTE_2
	v_mul_i32_i24_sdwa v41, sext(v41), sext(v48) dst_sel:DWORD dst_unused:UNUSED_PAD src0_sel:BYTE_0 src1_sel:BYTE_0
	v_mul_i32_i24_sdwa v3, sext(v46), sext(v3) dst_sel:DWORD dst_unused:UNUSED_PAD src0_sel:BYTE_0 src1_sel:BYTE_0
	v_mad_i32_i24 v25, v42, v49, v25
	s_waitcnt vmcnt(2)
	v_bfe_i32 v31, v44, 8, 8
	v_mul_i32_i24_sdwa v42, sext(v35), sext(v44) dst_sel:DWORD dst_unused:UNUSED_PAD src0_sel:BYTE_2 src1_sel:BYTE_2
	v_mad_i32_i24 v26, v27, v51, v26
	v_mad_i32_i24 v24, v45, v50, v24
	v_add3_u32 v3, v41, v3, v25
	v_mul_i32_i24_sdwa v25, sext(v44), sext(v35) dst_sel:DWORD dst_unused:UNUSED_PAD src0_sel:BYTE_0 src1_sel:BYTE_0
	v_mad_i32_i24 v31, v31, v47, v42
	v_mul_i32_i24_sdwa v27, sext(v35), sext(v44) dst_sel:DWORD dst_unused:UNUSED_PAD src0_sel:BYTE_3 src1_sel:BYTE_3
	v_dot4c_i32_i8 v0, v43, v28
	v_add3_u32 v3, v24, v26, v3
	v_dot4c_i32_i8 v2, v43, v30
	v_dot4c_i32_i8 v1, v43, v29
	;; [unrolled: 1-line block ×3, first 2 shown]
	v_add3_u32 v3, v3, v25, v31
	v_dot4c_i32_i8 v2, v34, v44
	v_dot4c_i32_i8 v1, v33, v44
	s_waitcnt vmcnt(0)
	v_dot4c_i32_i8 v0, v40, v36
	v_add3_u32 v4, v3, v4, v27
	v_dot4c_i32_i8 v2, v40, v38
	v_dot4c_i32_i8 v1, v40, v37
	;; [unrolled: 1-line block ×3, first 2 shown]
	s_andn2_b32 exec_lo, exec_lo, s9
	s_cbranch_execnz .LBB66_21
; %bb.22:
	s_or_b32 exec_lo, exec_lo, s9
	v_mov_b32_e32 v3, v4
.LBB66_23:
	s_or_b32 exec_lo, exec_lo, s8
	v_and_b32_e32 v19, 3, v7
	v_mov_b32_e32 v20, 0
	s_mov_b32 s1, exec_lo
	v_cmpx_ne_u64_e32 0, v[19:20]
	s_cbranch_execz .LBB66_27
; %bb.24:
	v_lshlrev_b64 v[17:18], 2, v[17:18]
	v_lshlrev_b32_e32 v19, 2, v19
	s_mov_b32 s2, 0
	v_add_co_u32 v17, vcc_lo, s12, v17
	v_add_co_ci_u32_e64 v18, null, s13, v18, vcc_lo
	s_inst_prefetch 0x1
	.p2align	6
.LBB66_25:                              ; =>This Inner Loop Header: Depth=1
	global_load_dword v4, v[17:18], off
	s_waitcnt vmcnt(0)
	v_subrev_nc_u32_e32 v4, s16, v4
	v_lshlrev_b32_e32 v4, 2, v4
	v_ashrrev_i32_e32 v7, 31, v4
	v_add_co_u32 v21, vcc_lo, s6, v4
	v_add_co_ci_u32_e64 v22, null, s7, v7, vcc_lo
	global_load_dwordx4 v[24:27], v[5:6], off
	global_load_dword v4, v[21:22], off
	v_add_co_u32 v5, vcc_lo, 0x80, v5
	v_add_co_ci_u32_e64 v6, null, 0, v6, vcc_lo
	v_add_co_u32 v19, vcc_lo, v19, -4
	v_add_co_ci_u32_e64 v20, null, -1, v20, vcc_lo
	v_add_co_u32 v17, vcc_lo, v17, 32
	v_add_co_ci_u32_e64 v18, null, 0, v18, vcc_lo
	v_cmp_eq_u64_e32 vcc_lo, 0, v[19:20]
	s_or_b32 s2, vcc_lo, s2
	s_waitcnt vmcnt(0)
	v_dot4c_i32_i8 v3, v4, v27
	v_dot4c_i32_i8 v2, v4, v26
	;; [unrolled: 1-line block ×4, first 2 shown]
	s_andn2_b32 exec_lo, exec_lo, s2
	s_cbranch_execnz .LBB66_25
; %bb.26:
	s_inst_prefetch 0x2
	s_or_b32 exec_lo, exec_lo, s2
	v_mov_b32_e32 v4, v3
.LBB66_27:
	s_or_b32 exec_lo, exec_lo, s1
.LBB66_28:
	s_or_b32 exec_lo, exec_lo, s3
	s_cbranch_execz .LBB66_30
	s_branch .LBB66_41
.LBB66_29:
                                        ; implicit-def: $vgpr4
                                        ; implicit-def: $vgpr2
.LBB66_30:
	v_mov_b32_e32 v4, 0
	v_mov_b32_e32 v2, 0
	;; [unrolled: 1-line block ×4, first 2 shown]
	s_and_saveexec_b32 s2, s0
	s_cbranch_execz .LBB66_40
; %bb.31:
	v_or_b32_e32 v0, 8, v23
	v_not_b32_e32 v3, v13
	v_not_b32_e32 v2, v14
	s_mov_b32 s8, 0
	v_sub_co_u32 v0, s0, v0, s16
	v_sub_co_ci_u32_e64 v1, null, 0, 0, s0
	v_sub_co_u32 v4, s0, s16, v23
	v_add_co_u32 v0, vcc_lo, v0, v13
	v_add_co_ci_u32_e64 v1, null, v1, v14, vcc_lo
	v_sub_co_ci_u32_e64 v5, null, 0, 0, s0
	v_cmp_gt_i64_e32 vcc_lo, v[0:1], v[15:16]
	v_cndmask_b32_e32 v1, v16, v1, vcc_lo
	v_cndmask_b32_e32 v0, v15, v0, vcc_lo
	v_add_co_u32 v3, vcc_lo, v4, v3
	v_add_co_ci_u32_e64 v2, null, v5, v2, vcc_lo
	v_mov_b32_e32 v4, 0
	v_add_co_u32 v0, vcc_lo, v3, v0
	v_add_co_ci_u32_e64 v1, null, v2, v1, vcc_lo
	v_mov_b32_e32 v5, v4
	v_mov_b32_e32 v6, v4
	;; [unrolled: 1-line block ×3, first 2 shown]
	v_lshrrev_b64 v[2:3], 3, v[0:1]
	v_cmp_lt_u64_e32 vcc_lo, 23, v[0:1]
	v_add_co_u32 v15, s0, v2, 1
	v_add_co_ci_u32_e64 v14, null, 0, v3, s0
	v_mov_b32_e32 v0, v4
	v_mov_b32_e32 v1, v5
	v_mov_b32_e32 v2, v6
	v_mov_b32_e32 v3, v7
	s_and_saveexec_b32 s3, vcc_lo
	s_cbranch_execz .LBB66_35
; %bb.32:
	v_lshlrev_b64 v[0:1], 2, v[11:12]
	v_and_b32_e32 v13, -4, v15
	v_mov_b32_e32 v2, 0
	v_add_co_u32 v0, vcc_lo, s12, v0
	v_add_co_ci_u32_e64 v3, null, s13, v1, vcc_lo
	v_mov_b32_e32 v1, 0
	v_add_co_u32 v5, vcc_lo, v0, 64
	v_add_co_ci_u32_e64 v6, null, 0, v3, vcc_lo
	v_mov_b32_e32 v0, 0
.LBB66_33:                              ; =>This Inner Loop Header: Depth=1
	s_clause 0x3
	global_load_dword v3, v[5:6], off offset:-64
	global_load_dword v7, v[5:6], off offset:-32
	global_load_dword v20, v[5:6], off
	global_load_dword v21, v[5:6], off offset:32
	s_clause 0x2
	global_load_dwordx4 v[16:19], v[9:10], off
	global_load_dwordx4 v[24:27], v[9:10], off offset:128
	global_load_dwordx4 v[28:31], v[9:10], off offset:256
	s_waitcnt vmcnt(6)
	v_subrev_nc_u32_e32 v3, s16, v3
	s_waitcnt vmcnt(5)
	v_subrev_nc_u32_e32 v7, s16, v7
	s_waitcnt vmcnt(4)
	v_subrev_nc_u32_e32 v20, s16, v20
	s_waitcnt vmcnt(3)
	v_subrev_nc_u32_e32 v21, s16, v21
	s_waitcnt vmcnt(2)
	v_perm_b32 v37, v18, v17, 0xc05010c
	v_lshlrev_b32_e32 v3, 2, v3
	v_lshlrev_b32_e32 v7, 2, v7
	;; [unrolled: 1-line block ×4, first 2 shown]
	v_perm_b32 v39, v18, v17, 0xc06020c
	v_ashrrev_i32_e32 v21, 31, v3
	v_ashrrev_i32_e32 v33, 31, v7
	v_add_co_u32 v20, vcc_lo, s6, v7
	v_ashrrev_i32_e32 v7, 31, v22
	v_add_co_u32 v34, s1, s6, v3
	v_add_co_u32 v32, s0, s6, v22
	v_add_co_ci_u32_e64 v35, null, s7, v21, s1
	v_add_co_ci_u32_e64 v21, null, s7, v33, vcc_lo
	v_add_co_ci_u32_e64 v33, null, s7, v7, s0
	s_clause 0x2
	global_load_dword v3, v[34:35], off
	global_load_dword v7, v[20:21], off
	;; [unrolled: 1-line block ×3, first 2 shown]
	global_load_dwordx4 v[32:35], v[9:10], off offset:384
	v_ashrrev_i32_e32 v21, 31, v36
	v_add_co_u32 v20, vcc_lo, s6, v36
	s_waitcnt vmcnt(5)
	v_perm_b32 v41, v26, v25, 0x4000c0c
	v_perm_b32 v42, v24, v19, 0xc0c0501
	v_add_co_ci_u32_e64 v21, null, s7, v21, vcc_lo
	v_perm_b32 v43, v26, v25, 0x5010c0c
	v_perm_b32 v44, v24, v19, 0xc0c0602
	;; [unrolled: 1-line block ×3, first 2 shown]
	global_load_dword v20, v[20:21], off
	v_perm_b32 v21, v18, v17, 0xc04000c
	v_perm_b32 v17, v18, v17, 0xc07030c
	;; [unrolled: 1-line block ×5, first 2 shown]
	s_waitcnt vmcnt(5)
	v_lshrrev_b32_e32 v25, 16, v31
	v_perm_b32 v26, v28, v27, 0xc0c0400
	v_perm_b32 v47, v28, v27, 0xc0c0501
	;; [unrolled: 1-line block ×9, first 2 shown]
	v_or_b32_e32 v27, v28, v27
	v_ashrrev_i16 v28, 8, v25
	v_bfe_i32 v25, v25, 0, 8
	v_perm_b32 v46, v30, v29, 0x4000c0c
	v_perm_b32 v48, v30, v29, 0x5010c0c
	;; [unrolled: 1-line block ×3, first 2 shown]
	v_ashrrev_i16 v29, 8, v31
	v_bfe_i32 v30, v31, 0, 8
	v_or_b32_e32 v21, v21, v36
	v_or_b32_e32 v16, v17, v16
	v_perm_b32 v25, v28, v25, 0x5040100
	v_or_b32_e32 v17, v41, v18
	v_or_b32_e32 v18, v43, v42
	;; [unrolled: 1-line block ×6, first 2 shown]
	v_perm_b32 v29, v29, v30, 0x5040100
	v_add_co_u32 v9, vcc_lo, 0x200, v9
	v_add_co_ci_u32_e64 v10, null, 0, v10, vcc_lo
	v_add_co_u32 v11, vcc_lo, v11, 32
	v_add_co_ci_u32_e64 v12, null, 0, v12, vcc_lo
	v_add_co_u32 v13, vcc_lo, v13, -4
	v_add_co_ci_u32_e64 v14, null, -1, v14, vcc_lo
	v_add_co_u32 v5, vcc_lo, 0x80, v5
	v_add_co_ci_u32_e64 v6, null, 0, v6, vcc_lo
	v_cmp_eq_u64_e32 vcc_lo, 0, v[13:14]
	s_or_b32 s8, vcc_lo, s8
	s_waitcnt vmcnt(4)
	v_perm_b32 v28, v3, v3, 0xc020100
	s_waitcnt vmcnt(3)
	v_perm_b32 v3, v7, v3, 0x6050403
	s_waitcnt vmcnt(2)
	v_perm_b32 v7, v22, v7, 0x6050403
	s_waitcnt vmcnt(1)
	v_perm_b32 v31, v33, v32, 0xc0c0703
	v_perm_b32 v51, v35, v34, 0x7030c0c
	v_perm_b32 v52, v33, v32, 0xc0c0602
	;; [unrolled: 1-line block ×7, first 2 shown]
	v_or_b32_e32 v34, v37, v38
	v_or_b32_e32 v35, v39, v40
	v_lshrrev_b32_e32 v39, 24, v22
	v_dot4c_i32_i8 v0, v28, v21
	v_dot4c_i32_i8 v4, v16, v28
	;; [unrolled: 1-line block ×4, first 2 shown]
	v_or_b32_e32 v37, v50, v49
	v_bfe_i32 v16, v39, 0, 8
	v_dot4c_i32_i8 v0, v3, v17
	v_dot4c_i32_i8 v4, v19, v3
	v_dot4c_i32_i8 v2, v36, v3
	v_dot4c_i32_i8 v1, v18, v3
	v_pk_mul_lo_u16 v3, v16, v25 op_sel_hi:[0,1]
	v_pk_mul_lo_u16 v16, v16, v29 op_sel_hi:[0,1]
	v_dot4c_i32_i8 v4, v27, v7
	v_dot4c_i32_i8 v2, v37, v7
	;; [unrolled: 1-line block ×4, first 2 shown]
	v_or_b32_e32 v30, v51, v31
	v_or_b32_e32 v31, v53, v52
	;; [unrolled: 1-line block ×4, first 2 shown]
	v_add_nc_u32_sdwa v4, v4, sext(v3) dst_sel:DWORD dst_unused:UNUSED_PAD src0_sel:DWORD src1_sel:WORD_1
	v_add_nc_u32_sdwa v2, v2, sext(v3) dst_sel:DWORD dst_unused:UNUSED_PAD src0_sel:DWORD src1_sel:WORD_0
	v_add_nc_u32_sdwa v1, v1, sext(v16) dst_sel:DWORD dst_unused:UNUSED_PAD src0_sel:DWORD src1_sel:WORD_1
	v_add_nc_u32_sdwa v0, v0, sext(v16) dst_sel:DWORD dst_unused:UNUSED_PAD src0_sel:DWORD src1_sel:WORD_0
	s_waitcnt vmcnt(0)
	v_dot4c_i32_i8 v4, v20, v30
	v_dot4c_i32_i8 v2, v20, v31
	;; [unrolled: 1-line block ×4, first 2 shown]
	s_andn2_b32 exec_lo, exec_lo, s8
	s_cbranch_execnz .LBB66_33
; %bb.34:
	s_or_b32 exec_lo, exec_lo, s8
	v_mov_b32_e32 v3, v4
.LBB66_35:
	s_or_b32 exec_lo, exec_lo, s3
	v_and_b32_e32 v5, 3, v15
	v_mov_b32_e32 v6, 0
	s_mov_b32 s0, exec_lo
	v_cmpx_ne_u64_e32 0, v[5:6]
	s_cbranch_execz .LBB66_39
; %bb.36:
	v_lshlrev_b64 v[11:12], 2, v[11:12]
	v_lshlrev_b32_e32 v5, 2, v5
	s_mov_b32 s1, 0
	v_add_co_u32 v11, vcc_lo, s12, v11
	v_add_co_ci_u32_e64 v12, null, s13, v12, vcc_lo
.LBB66_37:                              ; =>This Inner Loop Header: Depth=1
	global_load_dword v4, v[11:12], off
	global_load_dwordx4 v[13:16], v[9:10], off
	s_waitcnt vmcnt(1)
	v_subrev_nc_u32_e32 v4, s16, v4
	s_waitcnt vmcnt(0)
	v_perm_b32 v19, v16, v15, 0x6020c0c
	v_perm_b32 v20, v14, v13, 0xc0c0501
	;; [unrolled: 1-line block ×3, first 2 shown]
	v_lshlrev_b32_e32 v4, 2, v4
	v_ashrrev_i32_e32 v7, 31, v4
	v_add_co_u32 v17, vcc_lo, s6, v4
	v_add_co_ci_u32_e64 v18, null, s7, v7, vcc_lo
	v_add_co_u32 v9, vcc_lo, 0x80, v9
	v_add_co_ci_u32_e64 v10, null, 0, v10, vcc_lo
	global_load_dword v4, v[17:18], off
	v_add_co_u32 v11, vcc_lo, v11, 32
	v_add_co_ci_u32_e64 v12, null, 0, v12, vcc_lo
	v_add_co_u32 v5, vcc_lo, v5, -4
	v_perm_b32 v7, v14, v13, 0xc0c0703
	v_perm_b32 v17, v16, v15, 0x7030c0c
	;; [unrolled: 1-line block ×5, first 2 shown]
	v_add_co_ci_u32_e64 v6, null, -1, v6, vcc_lo
	v_or_b32_e32 v7, v17, v7
	v_or_b32_e32 v15, v19, v18
	;; [unrolled: 1-line block ×4, first 2 shown]
	v_cmp_eq_u64_e32 vcc_lo, 0, v[5:6]
	s_or_b32 s1, vcc_lo, s1
	s_waitcnt vmcnt(0)
	v_dot4c_i32_i8 v3, v4, v7
	v_dot4c_i32_i8 v2, v4, v15
	;; [unrolled: 1-line block ×4, first 2 shown]
	s_andn2_b32 exec_lo, exec_lo, s1
	s_cbranch_execnz .LBB66_37
; %bb.38:
	s_or_b32 exec_lo, exec_lo, s1
	v_mov_b32_e32 v4, v3
.LBB66_39:
	s_or_b32 exec_lo, exec_lo, s0
.LBB66_40:
	s_or_b32 exec_lo, exec_lo, s2
.LBB66_41:
	v_mbcnt_lo_u32_b32 v3, -1, 0
	s_mov_b32 s2, -1
	v_xor_b32_e32 v5, 4, v3
	v_xor_b32_e32 v10, 2, v3
	v_cmp_gt_i32_e32 vcc_lo, 32, v5
	v_cndmask_b32_e32 v5, v3, v5, vcc_lo
	v_cmp_gt_i32_e32 vcc_lo, 32, v10
	v_lshlrev_b32_e32 v5, 2, v5
	v_cndmask_b32_e32 v10, v3, v10, vcc_lo
	ds_bpermute_b32 v6, v5, v0
	ds_bpermute_b32 v7, v5, v1
	;; [unrolled: 1-line block ×4, first 2 shown]
	v_lshlrev_b32_e32 v10, 2, v10
	s_waitcnt lgkmcnt(3)
	v_add_nc_u32_e32 v0, v6, v0
	s_waitcnt lgkmcnt(2)
	v_add_nc_u32_e32 v1, v7, v1
	;; [unrolled: 2-line block ×4, first 2 shown]
	ds_bpermute_b32 v5, v10, v0
	ds_bpermute_b32 v6, v10, v1
	;; [unrolled: 1-line block ×4, first 2 shown]
	v_xor_b32_e32 v10, 1, v3
	v_cmp_gt_i32_e32 vcc_lo, 32, v10
	v_cndmask_b32_e32 v3, v3, v10, vcc_lo
	v_cmp_eq_u32_e32 vcc_lo, 7, v23
	v_lshlrev_b32_e32 v10, 2, v3
	s_waitcnt lgkmcnt(3)
	v_add_nc_u32_e32 v0, v5, v0
	s_waitcnt lgkmcnt(2)
	v_add_nc_u32_e32 v1, v6, v1
	;; [unrolled: 2-line block ×4, first 2 shown]
	ds_bpermute_b32 v4, v10, v0
	ds_bpermute_b32 v5, v10, v1
	ds_bpermute_b32 v6, v10, v2
	ds_bpermute_b32 v7, v10, v3
	s_and_b32 exec_lo, exec_lo, vcc_lo
	s_cbranch_execz .LBB66_14
; %bb.42:
	s_load_dwordx2 s[0:1], s[4:5], 0x50
	s_waitcnt lgkmcnt(0)
	v_add_nc_u32_e32 v0, v4, v0
	v_add_nc_u32_e32 v1, v5, v1
	;; [unrolled: 1-line block ×4, first 2 shown]
	v_lshlrev_b32_e32 v4, 2, v8
	v_mul_lo_u32 v0, v0, s17
	v_mul_lo_u32 v1, v1, s17
	;; [unrolled: 1-line block ×4, first 2 shown]
	s_cmp_eq_u32 s18, 0
	s_cbranch_scc1 .LBB66_44
; %bb.43:
	v_ashrrev_i32_e32 v5, 31, v4
	s_mov_b32 s2, 0
	v_lshlrev_b64 v[5:6], 2, v[4:5]
	v_add_co_u32 v12, vcc_lo, s0, v5
	v_add_co_ci_u32_e64 v13, null, s1, v6, vcc_lo
	global_load_dwordx4 v[5:8], v[12:13], off
	s_waitcnt vmcnt(0)
	v_mad_u64_u32 v[14:15], null, v8, s18, v[3:4]
	v_mad_u64_u32 v[8:9], null, v5, s18, v[0:1]
	;; [unrolled: 1-line block ×4, first 2 shown]
	v_mov_b32_e32 v11, v14
	global_store_dwordx4 v[12:13], v[8:11], off
.LBB66_44:
	s_andn2_b32 vcc_lo, exec_lo, s2
	s_cbranch_vccnz .LBB66_14
; %bb.45:
	v_ashrrev_i32_e32 v5, 31, v4
	v_lshlrev_b64 v[4:5], 2, v[4:5]
	v_add_co_u32 v4, vcc_lo, s0, v4
	v_add_co_ci_u32_e64 v5, null, s1, v5, vcc_lo
	global_store_dwordx4 v[4:5], v[0:3], off
	s_endpgm
	.section	.rodata,"a",@progbits
	.p2align	6, 0x0
	.amdhsa_kernel _ZN9rocsparseL18bsrxmvn_4x4_kernelILj128ELj8EiliaaiEEvT3_20rocsparse_direction_NS_24const_host_device_scalarIT1_EES1_PKS1_PKT2_SA_S7_PKT4_PKT5_S5_PT6_21rocsparse_index_base_b
		.amdhsa_group_segment_fixed_size 0
		.amdhsa_private_segment_fixed_size 0
		.amdhsa_kernarg_size 96
		.amdhsa_user_sgpr_count 6
		.amdhsa_user_sgpr_private_segment_buffer 1
		.amdhsa_user_sgpr_dispatch_ptr 0
		.amdhsa_user_sgpr_queue_ptr 0
		.amdhsa_user_sgpr_kernarg_segment_ptr 1
		.amdhsa_user_sgpr_dispatch_id 0
		.amdhsa_user_sgpr_flat_scratch_init 0
		.amdhsa_user_sgpr_private_segment_size 0
		.amdhsa_wavefront_size32 1
		.amdhsa_uses_dynamic_stack 0
		.amdhsa_system_sgpr_private_segment_wavefront_offset 0
		.amdhsa_system_sgpr_workgroup_id_x 1
		.amdhsa_system_sgpr_workgroup_id_y 0
		.amdhsa_system_sgpr_workgroup_id_z 0
		.amdhsa_system_sgpr_workgroup_info 0
		.amdhsa_system_vgpr_workitem_id 0
		.amdhsa_next_free_vgpr 56
		.amdhsa_next_free_sgpr 19
		.amdhsa_reserve_vcc 1
		.amdhsa_reserve_flat_scratch 0
		.amdhsa_float_round_mode_32 0
		.amdhsa_float_round_mode_16_64 0
		.amdhsa_float_denorm_mode_32 3
		.amdhsa_float_denorm_mode_16_64 3
		.amdhsa_dx10_clamp 1
		.amdhsa_ieee_mode 1
		.amdhsa_fp16_overflow 0
		.amdhsa_workgroup_processor_mode 1
		.amdhsa_memory_ordered 1
		.amdhsa_forward_progress 1
		.amdhsa_shared_vgpr_count 0
		.amdhsa_exception_fp_ieee_invalid_op 0
		.amdhsa_exception_fp_denorm_src 0
		.amdhsa_exception_fp_ieee_div_zero 0
		.amdhsa_exception_fp_ieee_overflow 0
		.amdhsa_exception_fp_ieee_underflow 0
		.amdhsa_exception_fp_ieee_inexact 0
		.amdhsa_exception_int_div_zero 0
	.end_amdhsa_kernel
	.section	.text._ZN9rocsparseL18bsrxmvn_4x4_kernelILj128ELj8EiliaaiEEvT3_20rocsparse_direction_NS_24const_host_device_scalarIT1_EES1_PKS1_PKT2_SA_S7_PKT4_PKT5_S5_PT6_21rocsparse_index_base_b,"axG",@progbits,_ZN9rocsparseL18bsrxmvn_4x4_kernelILj128ELj8EiliaaiEEvT3_20rocsparse_direction_NS_24const_host_device_scalarIT1_EES1_PKS1_PKT2_SA_S7_PKT4_PKT5_S5_PT6_21rocsparse_index_base_b,comdat
.Lfunc_end66:
	.size	_ZN9rocsparseL18bsrxmvn_4x4_kernelILj128ELj8EiliaaiEEvT3_20rocsparse_direction_NS_24const_host_device_scalarIT1_EES1_PKS1_PKT2_SA_S7_PKT4_PKT5_S5_PT6_21rocsparse_index_base_b, .Lfunc_end66-_ZN9rocsparseL18bsrxmvn_4x4_kernelILj128ELj8EiliaaiEEvT3_20rocsparse_direction_NS_24const_host_device_scalarIT1_EES1_PKS1_PKT2_SA_S7_PKT4_PKT5_S5_PT6_21rocsparse_index_base_b
                                        ; -- End function
	.set _ZN9rocsparseL18bsrxmvn_4x4_kernelILj128ELj8EiliaaiEEvT3_20rocsparse_direction_NS_24const_host_device_scalarIT1_EES1_PKS1_PKT2_SA_S7_PKT4_PKT5_S5_PT6_21rocsparse_index_base_b.num_vgpr, 56
	.set _ZN9rocsparseL18bsrxmvn_4x4_kernelILj128ELj8EiliaaiEEvT3_20rocsparse_direction_NS_24const_host_device_scalarIT1_EES1_PKS1_PKT2_SA_S7_PKT4_PKT5_S5_PT6_21rocsparse_index_base_b.num_agpr, 0
	.set _ZN9rocsparseL18bsrxmvn_4x4_kernelILj128ELj8EiliaaiEEvT3_20rocsparse_direction_NS_24const_host_device_scalarIT1_EES1_PKS1_PKT2_SA_S7_PKT4_PKT5_S5_PT6_21rocsparse_index_base_b.numbered_sgpr, 19
	.set _ZN9rocsparseL18bsrxmvn_4x4_kernelILj128ELj8EiliaaiEEvT3_20rocsparse_direction_NS_24const_host_device_scalarIT1_EES1_PKS1_PKT2_SA_S7_PKT4_PKT5_S5_PT6_21rocsparse_index_base_b.num_named_barrier, 0
	.set _ZN9rocsparseL18bsrxmvn_4x4_kernelILj128ELj8EiliaaiEEvT3_20rocsparse_direction_NS_24const_host_device_scalarIT1_EES1_PKS1_PKT2_SA_S7_PKT4_PKT5_S5_PT6_21rocsparse_index_base_b.private_seg_size, 0
	.set _ZN9rocsparseL18bsrxmvn_4x4_kernelILj128ELj8EiliaaiEEvT3_20rocsparse_direction_NS_24const_host_device_scalarIT1_EES1_PKS1_PKT2_SA_S7_PKT4_PKT5_S5_PT6_21rocsparse_index_base_b.uses_vcc, 1
	.set _ZN9rocsparseL18bsrxmvn_4x4_kernelILj128ELj8EiliaaiEEvT3_20rocsparse_direction_NS_24const_host_device_scalarIT1_EES1_PKS1_PKT2_SA_S7_PKT4_PKT5_S5_PT6_21rocsparse_index_base_b.uses_flat_scratch, 0
	.set _ZN9rocsparseL18bsrxmvn_4x4_kernelILj128ELj8EiliaaiEEvT3_20rocsparse_direction_NS_24const_host_device_scalarIT1_EES1_PKS1_PKT2_SA_S7_PKT4_PKT5_S5_PT6_21rocsparse_index_base_b.has_dyn_sized_stack, 0
	.set _ZN9rocsparseL18bsrxmvn_4x4_kernelILj128ELj8EiliaaiEEvT3_20rocsparse_direction_NS_24const_host_device_scalarIT1_EES1_PKS1_PKT2_SA_S7_PKT4_PKT5_S5_PT6_21rocsparse_index_base_b.has_recursion, 0
	.set _ZN9rocsparseL18bsrxmvn_4x4_kernelILj128ELj8EiliaaiEEvT3_20rocsparse_direction_NS_24const_host_device_scalarIT1_EES1_PKS1_PKT2_SA_S7_PKT4_PKT5_S5_PT6_21rocsparse_index_base_b.has_indirect_call, 0
	.section	.AMDGPU.csdata,"",@progbits
; Kernel info:
; codeLenInByte = 3832
; TotalNumSgprs: 21
; NumVgprs: 56
; ScratchSize: 0
; MemoryBound: 0
; FloatMode: 240
; IeeeMode: 1
; LDSByteSize: 0 bytes/workgroup (compile time only)
; SGPRBlocks: 0
; VGPRBlocks: 6
; NumSGPRsForWavesPerEU: 21
; NumVGPRsForWavesPerEU: 56
; Occupancy: 16
; WaveLimiterHint : 1
; COMPUTE_PGM_RSRC2:SCRATCH_EN: 0
; COMPUTE_PGM_RSRC2:USER_SGPR: 6
; COMPUTE_PGM_RSRC2:TRAP_HANDLER: 0
; COMPUTE_PGM_RSRC2:TGID_X_EN: 1
; COMPUTE_PGM_RSRC2:TGID_Y_EN: 0
; COMPUTE_PGM_RSRC2:TGID_Z_EN: 0
; COMPUTE_PGM_RSRC2:TIDIG_COMP_CNT: 0
	.section	.text._ZN9rocsparseL18bsrxmvn_4x4_kernelILj128ELj16EiliaaiEEvT3_20rocsparse_direction_NS_24const_host_device_scalarIT1_EES1_PKS1_PKT2_SA_S7_PKT4_PKT5_S5_PT6_21rocsparse_index_base_b,"axG",@progbits,_ZN9rocsparseL18bsrxmvn_4x4_kernelILj128ELj16EiliaaiEEvT3_20rocsparse_direction_NS_24const_host_device_scalarIT1_EES1_PKS1_PKT2_SA_S7_PKT4_PKT5_S5_PT6_21rocsparse_index_base_b,comdat
	.globl	_ZN9rocsparseL18bsrxmvn_4x4_kernelILj128ELj16EiliaaiEEvT3_20rocsparse_direction_NS_24const_host_device_scalarIT1_EES1_PKS1_PKT2_SA_S7_PKT4_PKT5_S5_PT6_21rocsparse_index_base_b ; -- Begin function _ZN9rocsparseL18bsrxmvn_4x4_kernelILj128ELj16EiliaaiEEvT3_20rocsparse_direction_NS_24const_host_device_scalarIT1_EES1_PKS1_PKT2_SA_S7_PKT4_PKT5_S5_PT6_21rocsparse_index_base_b
	.p2align	8
	.type	_ZN9rocsparseL18bsrxmvn_4x4_kernelILj128ELj16EiliaaiEEvT3_20rocsparse_direction_NS_24const_host_device_scalarIT1_EES1_PKS1_PKT2_SA_S7_PKT4_PKT5_S5_PT6_21rocsparse_index_base_b,@function
_ZN9rocsparseL18bsrxmvn_4x4_kernelILj128ELj16EiliaaiEEvT3_20rocsparse_direction_NS_24const_host_device_scalarIT1_EES1_PKS1_PKT2_SA_S7_PKT4_PKT5_S5_PT6_21rocsparse_index_base_b: ; @_ZN9rocsparseL18bsrxmvn_4x4_kernelILj128ELj16EiliaaiEEvT3_20rocsparse_direction_NS_24const_host_device_scalarIT1_EES1_PKS1_PKT2_SA_S7_PKT4_PKT5_S5_PT6_21rocsparse_index_base_b
; %bb.0:
	s_clause 0x1
	s_load_dwordx2 s[16:17], s[4:5], 0x58
	s_load_dwordx2 s[2:3], s[4:5], 0x8
	s_mov_b32 s8, -1
	s_waitcnt lgkmcnt(0)
	s_bitcmp1_b32 s17, 0
                                        ; implicit-def: $sgpr17
	s_cselect_b32 s0, -1, 0
	s_xor_b32 s7, s0, -1
	s_and_b32 vcc_lo, exec_lo, s7
	s_cbranch_vccnz .LBB67_4
; %bb.1:
	s_load_dwordx2 s[0:1], s[4:5], 0x48
	s_andn2_b32 vcc_lo, exec_lo, s8
	s_cbranch_vccz .LBB67_5
.LBB67_2:
	s_and_b32 vcc_lo, exec_lo, s7
	s_cbranch_vccz .LBB67_6
.LBB67_3:
	s_waitcnt lgkmcnt(0)
	s_load_dword s18, s[0:1], 0x0
	s_cbranch_execz .LBB67_7
	s_branch .LBB67_8
.LBB67_4:
	s_load_dword s17, s[2:3], 0x0
	s_load_dwordx2 s[0:1], s[4:5], 0x48
	s_cbranch_execnz .LBB67_2
.LBB67_5:
	s_waitcnt lgkmcnt(0)
	s_mov_b32 s17, s2
	s_and_b32 vcc_lo, exec_lo, s7
	s_cbranch_vccnz .LBB67_3
.LBB67_6:
	s_waitcnt lgkmcnt(0)
                                        ; implicit-def: $sgpr18
.LBB67_7:
	s_waitcnt lgkmcnt(0)
	s_mov_b32 s18, s0
.LBB67_8:
	s_cmp_lg_u32 s17, 0
	s_mov_b32 s7, 0
	s_cselect_b32 s0, -1, 0
	s_waitcnt lgkmcnt(0)
	s_cmp_lg_u32 s18, 1
	s_cselect_b32 s1, -1, 0
	s_or_b32 s0, s0, s1
	s_andn2_b32 vcc_lo, exec_lo, s0
	s_cbranch_vccnz .LBB67_14
; %bb.9:
	s_clause 0x1
	s_load_dwordx2 s[2:3], s[4:5], 0x18
	s_load_dwordx2 s[0:1], s[4:5], 0x0
	v_lshrrev_b32_e32 v1, 4, v0
	v_lshl_or_b32 v8, s6, 3, v1
	s_waitcnt lgkmcnt(0)
	s_cmp_lg_u64 s[2:3], 0
	s_cbranch_scc0 .LBB67_15
; %bb.10:
	s_load_dword s6, s[4:5], 0x10
                                        ; implicit-def: $vgpr1
	s_waitcnt lgkmcnt(0)
	v_cmp_gt_i32_e32 vcc_lo, s6, v8
	s_mov_b32 s6, 0
	s_and_saveexec_b32 s8, vcc_lo
	s_xor_b32 s8, exec_lo, s8
	s_cbranch_execz .LBB67_12
; %bb.11:
	v_ashrrev_i32_e32 v9, 31, v8
	s_mov_b32 s7, exec_lo
	v_lshlrev_b64 v[1:2], 2, v[8:9]
	v_add_co_u32 v1, vcc_lo, s2, v1
	v_add_co_ci_u32_e64 v2, null, s3, v2, vcc_lo
	global_load_dword v1, v[1:2], off
	s_waitcnt vmcnt(0)
	v_subrev_nc_u32_e32 v1, s16, v1
.LBB67_12:
	s_or_b32 exec_lo, exec_lo, s8
	s_and_b32 vcc_lo, exec_lo, s6
	s_cbranch_vccz .LBB67_16
.LBB67_13:
	v_cmp_gt_i32_e32 vcc_lo, s0, v8
	s_andn2_b32 s0, s7, exec_lo
	s_and_b32 s2, vcc_lo, exec_lo
	s_or_b32 s7, s0, s2
	s_and_saveexec_b32 s0, s7
	s_cbranch_execnz .LBB67_17
.LBB67_14:
	s_endpgm
.LBB67_15:
                                        ; implicit-def: $vgpr1
	s_cbranch_execnz .LBB67_13
.LBB67_16:
	v_mov_b32_e32 v8, v1
	s_and_saveexec_b32 s0, s7
	s_cbranch_execz .LBB67_14
.LBB67_17:
	s_load_dwordx8 s[8:15], s[4:5], 0x20
	v_ashrrev_i32_e32 v9, 31, v8
	v_and_b32_e32 v23, 15, v0
	s_load_dwordx2 s[6:7], s[4:5], 0x40
	v_lshlrev_b64 v[1:2], 3, v[8:9]
	s_waitcnt lgkmcnt(0)
	v_add_co_u32 v3, vcc_lo, s8, v1
	v_add_co_ci_u32_e64 v4, null, s9, v2, vcc_lo
	v_add_co_u32 v1, vcc_lo, s10, v1
	v_add_co_ci_u32_e64 v2, null, s11, v2, vcc_lo
	v_add_co_u32 v5, vcc_lo, v3, 8
	global_load_dwordx2 v[13:14], v[3:4], off
	v_add_co_ci_u32_e64 v6, null, 0, v4, vcc_lo
	s_cmp_eq_u64 s[10:11], 0
	v_mov_b32_e32 v4, 0
	s_cselect_b32 vcc_lo, -1, 0
	s_cmp_eq_u32 s1, 1
	v_cndmask_b32_e32 v2, v2, v6, vcc_lo
	v_cndmask_b32_e32 v1, v1, v5, vcc_lo
	global_load_dwordx2 v[1:2], v[1:2], off
	s_waitcnt vmcnt(1)
	v_sub_co_u32 v0, vcc_lo, v13, s16
	v_subrev_co_ci_u32_e64 v3, null, 0, v14, vcc_lo
	v_add_co_u32 v11, vcc_lo, v0, v23
	v_add_co_ci_u32_e64 v12, null, 0, v3, vcc_lo
	s_waitcnt vmcnt(0)
	v_sub_co_u32 v15, vcc_lo, v1, s16
	v_lshlrev_b64 v[0:1], 4, v[11:12]
	v_subrev_co_ci_u32_e64 v16, null, 0, v2, vcc_lo
	v_add_co_u32 v9, vcc_lo, s14, v0
	v_cmp_lt_i64_e64 s0, v[11:12], v[15:16]
	v_add_co_ci_u32_e64 v10, null, s15, v1, vcc_lo
	s_cbranch_scc1 .LBB67_29
; %bb.18:
	v_mov_b32_e32 v2, 0
	v_mov_b32_e32 v1, 0
	v_mov_b32_e32 v0, 0
	s_and_saveexec_b32 s3, s0
	s_cbranch_execz .LBB67_28
; %bb.19:
	v_or_b32_e32 v0, 16, v23
	v_not_b32_e32 v3, v13
	v_not_b32_e32 v2, v14
	v_mov_b32_e32 v18, v12
	v_mov_b32_e32 v17, v11
	v_sub_co_u32 v0, s1, v0, s16
	v_sub_co_ci_u32_e64 v1, null, 0, 0, s1
	v_sub_co_u32 v4, s1, s16, v23
	v_add_co_u32 v0, vcc_lo, v0, v13
	v_add_co_ci_u32_e64 v1, null, v1, v14, vcc_lo
	v_sub_co_ci_u32_e64 v5, null, 0, 0, s1
	s_mov_b32 s9, 0
	v_cmp_gt_i64_e32 vcc_lo, v[0:1], v[15:16]
	v_cndmask_b32_e32 v1, v16, v1, vcc_lo
	v_cndmask_b32_e32 v0, v15, v0, vcc_lo
	v_add_co_u32 v3, vcc_lo, v4, v3
	v_add_co_ci_u32_e64 v2, null, v5, v2, vcc_lo
	v_mov_b32_e32 v4, 0
	v_add_co_u32 v19, vcc_lo, v3, v0
	v_add_co_ci_u32_e64 v20, null, v2, v1, vcc_lo
	v_mov_b32_e32 v5, v4
	v_mov_b32_e32 v6, v4
	;; [unrolled: 1-line block ×3, first 2 shown]
	v_lshrrev_b64 v[21:22], 4, v[19:20]
	v_mov_b32_e32 v0, v4
	v_mov_b32_e32 v1, v5
	;; [unrolled: 1-line block ×4, first 2 shown]
	v_cmp_lt_u64_e32 vcc_lo, 47, v[19:20]
	v_add_co_u32 v7, s1, v21, 1
	v_mov_b32_e32 v5, v9
	v_add_co_ci_u32_e64 v20, null, 0, v22, s1
	v_mov_b32_e32 v6, v10
	s_and_saveexec_b32 s8, vcc_lo
	s_cbranch_execz .LBB67_23
; %bb.20:
	v_lshlrev_b64 v[0:1], 2, v[11:12]
	v_mov_b32_e32 v5, v9
	v_mov_b32_e32 v18, v12
	v_and_b32_e32 v19, -4, v7
	v_mov_b32_e32 v2, 0
	v_mov_b32_e32 v6, v10
	v_add_co_u32 v0, vcc_lo, s12, v0
	v_add_co_ci_u32_e64 v3, null, s13, v1, vcc_lo
	v_mov_b32_e32 v1, 0
	v_add_co_u32 v21, vcc_lo, 0x80, v0
	v_add_co_ci_u32_e64 v22, null, 0, v3, vcc_lo
	v_mov_b32_e32 v0, 0
	v_mov_b32_e32 v17, v11
.LBB67_21:                              ; =>This Inner Loop Header: Depth=1
	s_clause 0x3
	global_load_dword v3, v[21:22], off offset:-128
	global_load_dword v36, v[21:22], off offset:-64
	global_load_dword v37, v[21:22], off
	global_load_dword v38, v[21:22], off offset:64
	s_clause 0x2
	global_load_dwordx4 v[24:27], v[5:6], off
	global_load_dwordx4 v[28:31], v[5:6], off offset:256
	global_load_dwordx4 v[32:35], v[5:6], off offset:512
	s_waitcnt vmcnt(6)
	v_subrev_nc_u32_e32 v3, s16, v3
	s_waitcnt vmcnt(5)
	v_subrev_nc_u32_e32 v36, s16, v36
	;; [unrolled: 2-line block ×4, first 2 shown]
	s_waitcnt vmcnt(2)
	v_bfe_i32 v45, v27, 0, 8
	v_lshlrev_b32_e32 v3, 2, v3
	v_lshlrev_b32_e32 v36, 2, v36
	v_lshlrev_b32_e32 v37, 2, v37
	s_waitcnt vmcnt(1)
	v_lshrrev_b16 v46, 8, v31
	s_waitcnt vmcnt(0)
	v_bfe_i32 v47, v35, 8, 8
	v_ashrrev_i32_e32 v39, 31, v3
	v_ashrrev_i32_e32 v43, 31, v36
	;; [unrolled: 1-line block ×3, first 2 shown]
	v_add_co_u32 v40, s2, s6, v3
	v_add_co_u32 v36, vcc_lo, s6, v36
	v_add_co_u32 v38, s1, s6, v37
	v_add_co_ci_u32_e64 v41, null, s7, v39, s2
	v_add_co_ci_u32_e64 v37, null, s7, v43, vcc_lo
	v_add_co_ci_u32_e64 v39, null, s7, v44, s1
	s_clause 0x2
	global_load_dword v3, v[40:41], off
	global_load_dword v43, v[36:37], off
	;; [unrolled: 1-line block ×3, first 2 shown]
	v_lshlrev_b32_e32 v36, 2, v42
	v_ashrrev_i32_e32 v42, 24, v27
	v_ashrrev_i32_e32 v37, 31, v36
	v_add_co_u32 v40, vcc_lo, s6, v36
	v_add_co_ci_u32_e64 v41, null, s7, v37, vcc_lo
	global_load_dwordx4 v[36:39], v[5:6], off offset:768
	global_load_dword v40, v[40:41], off
	v_lshrrev_b16 v41, 8, v27
	v_bfe_i32 v27, v27, 16, 8
	v_add_co_u32 v5, vcc_lo, 0x400, v5
	v_add_co_ci_u32_e64 v6, null, 0, v6, vcc_lo
	v_add_co_u32 v17, vcc_lo, v17, 64
	v_add_co_ci_u32_e64 v18, null, 0, v18, vcc_lo
	v_add_co_u32 v19, vcc_lo, v19, -4
	v_add_co_ci_u32_e64 v20, null, -1, v20, vcc_lo
	v_add_co_u32 v21, vcc_lo, 0x100, v21
	v_add_co_ci_u32_e64 v22, null, 0, v22, vcc_lo
	v_cmp_eq_u64_e32 vcc_lo, 0, v[19:20]
	s_or_b32 s9, vcc_lo, s9
	s_waitcnt vmcnt(4)
	v_lshrrev_b16 v48, 8, v3
	v_ashrrev_i32_e32 v49, 24, v3
	v_bfe_i32 v50, v3, 0, 8
	v_bfe_i32 v51, v3, 16, 8
	v_dot4c_i32_i8 v0, v3, v24
	v_dot4c_i32_i8 v1, v3, v25
	v_dot4c_i32_i8 v2, v3, v26
	s_waitcnt vmcnt(3)
	v_lshrrev_b16 v3, 8, v43
	v_mul_i32_i24_sdwa v25, sext(v31), sext(v43) dst_sel:DWORD dst_unused:UNUSED_PAD src0_sel:BYTE_3 src1_sel:BYTE_3
	v_mul_i32_i24_sdwa v24, sext(v31), sext(v43) dst_sel:DWORD dst_unused:UNUSED_PAD src0_sel:BYTE_0 src1_sel:BYTE_0
	v_mul_i32_i24_sdwa v26, sext(v31), sext(v43) dst_sel:DWORD dst_unused:UNUSED_PAD src0_sel:BYTE_2 src1_sel:BYTE_2
	v_mul_i32_i24_sdwa v41, sext(v41), sext(v48) dst_sel:DWORD dst_unused:UNUSED_PAD src0_sel:BYTE_0 src1_sel:BYTE_0
	v_mul_i32_i24_sdwa v3, sext(v46), sext(v3) dst_sel:DWORD dst_unused:UNUSED_PAD src0_sel:BYTE_0 src1_sel:BYTE_0
	v_mad_i32_i24 v25, v42, v49, v25
	s_waitcnt vmcnt(2)
	v_bfe_i32 v31, v44, 8, 8
	v_mul_i32_i24_sdwa v42, sext(v35), sext(v44) dst_sel:DWORD dst_unused:UNUSED_PAD src0_sel:BYTE_2 src1_sel:BYTE_2
	v_mad_i32_i24 v26, v27, v51, v26
	v_mad_i32_i24 v24, v45, v50, v24
	v_add3_u32 v3, v41, v3, v25
	v_mul_i32_i24_sdwa v25, sext(v44), sext(v35) dst_sel:DWORD dst_unused:UNUSED_PAD src0_sel:BYTE_0 src1_sel:BYTE_0
	v_mad_i32_i24 v31, v31, v47, v42
	v_mul_i32_i24_sdwa v27, sext(v35), sext(v44) dst_sel:DWORD dst_unused:UNUSED_PAD src0_sel:BYTE_3 src1_sel:BYTE_3
	v_dot4c_i32_i8 v0, v43, v28
	v_add3_u32 v3, v24, v26, v3
	v_dot4c_i32_i8 v2, v43, v30
	v_dot4c_i32_i8 v1, v43, v29
	v_dot4c_i32_i8 v0, v44, v32
	v_add3_u32 v3, v3, v25, v31
	v_dot4c_i32_i8 v2, v34, v44
	v_dot4c_i32_i8 v1, v33, v44
	s_waitcnt vmcnt(0)
	v_dot4c_i32_i8 v0, v40, v36
	v_add3_u32 v4, v3, v4, v27
	v_dot4c_i32_i8 v2, v40, v38
	v_dot4c_i32_i8 v1, v40, v37
	;; [unrolled: 1-line block ×3, first 2 shown]
	s_andn2_b32 exec_lo, exec_lo, s9
	s_cbranch_execnz .LBB67_21
; %bb.22:
	s_or_b32 exec_lo, exec_lo, s9
	v_mov_b32_e32 v3, v4
.LBB67_23:
	s_or_b32 exec_lo, exec_lo, s8
	v_and_b32_e32 v19, 3, v7
	v_mov_b32_e32 v20, 0
	s_mov_b32 s1, exec_lo
	v_cmpx_ne_u64_e32 0, v[19:20]
	s_cbranch_execz .LBB67_27
; %bb.24:
	v_lshlrev_b64 v[17:18], 2, v[17:18]
	v_lshlrev_b32_e32 v19, 2, v19
	s_mov_b32 s2, 0
	v_add_co_u32 v17, vcc_lo, s12, v17
	v_add_co_ci_u32_e64 v18, null, s13, v18, vcc_lo
	s_inst_prefetch 0x1
	.p2align	6
.LBB67_25:                              ; =>This Inner Loop Header: Depth=1
	global_load_dword v4, v[17:18], off
	s_waitcnt vmcnt(0)
	v_subrev_nc_u32_e32 v4, s16, v4
	v_lshlrev_b32_e32 v4, 2, v4
	v_ashrrev_i32_e32 v7, 31, v4
	v_add_co_u32 v21, vcc_lo, s6, v4
	v_add_co_ci_u32_e64 v22, null, s7, v7, vcc_lo
	global_load_dwordx4 v[24:27], v[5:6], off
	global_load_dword v4, v[21:22], off
	v_add_co_u32 v5, vcc_lo, 0x100, v5
	v_add_co_ci_u32_e64 v6, null, 0, v6, vcc_lo
	v_add_co_u32 v19, vcc_lo, v19, -4
	v_add_co_ci_u32_e64 v20, null, -1, v20, vcc_lo
	v_add_co_u32 v17, vcc_lo, v17, 64
	v_add_co_ci_u32_e64 v18, null, 0, v18, vcc_lo
	v_cmp_eq_u64_e32 vcc_lo, 0, v[19:20]
	s_or_b32 s2, vcc_lo, s2
	s_waitcnt vmcnt(0)
	v_dot4c_i32_i8 v3, v4, v27
	v_dot4c_i32_i8 v2, v4, v26
	v_dot4c_i32_i8 v1, v4, v25
	v_dot4c_i32_i8 v0, v4, v24
	s_andn2_b32 exec_lo, exec_lo, s2
	s_cbranch_execnz .LBB67_25
; %bb.26:
	s_inst_prefetch 0x2
	s_or_b32 exec_lo, exec_lo, s2
	v_mov_b32_e32 v4, v3
.LBB67_27:
	s_or_b32 exec_lo, exec_lo, s1
.LBB67_28:
	s_or_b32 exec_lo, exec_lo, s3
	s_cbranch_execz .LBB67_30
	s_branch .LBB67_41
.LBB67_29:
                                        ; implicit-def: $vgpr4
                                        ; implicit-def: $vgpr2
.LBB67_30:
	v_mov_b32_e32 v4, 0
	v_mov_b32_e32 v2, 0
	;; [unrolled: 1-line block ×4, first 2 shown]
	s_and_saveexec_b32 s2, s0
	s_cbranch_execz .LBB67_40
; %bb.31:
	v_or_b32_e32 v0, 16, v23
	v_not_b32_e32 v3, v13
	v_not_b32_e32 v2, v14
	s_mov_b32 s8, 0
	v_sub_co_u32 v0, s0, v0, s16
	v_sub_co_ci_u32_e64 v1, null, 0, 0, s0
	v_sub_co_u32 v4, s0, s16, v23
	v_add_co_u32 v0, vcc_lo, v0, v13
	v_add_co_ci_u32_e64 v1, null, v1, v14, vcc_lo
	v_sub_co_ci_u32_e64 v5, null, 0, 0, s0
	v_cmp_gt_i64_e32 vcc_lo, v[0:1], v[15:16]
	v_cndmask_b32_e32 v1, v16, v1, vcc_lo
	v_cndmask_b32_e32 v0, v15, v0, vcc_lo
	v_add_co_u32 v3, vcc_lo, v4, v3
	v_add_co_ci_u32_e64 v2, null, v5, v2, vcc_lo
	v_mov_b32_e32 v4, 0
	v_add_co_u32 v0, vcc_lo, v3, v0
	v_add_co_ci_u32_e64 v1, null, v2, v1, vcc_lo
	v_mov_b32_e32 v5, v4
	v_mov_b32_e32 v6, v4
	;; [unrolled: 1-line block ×3, first 2 shown]
	v_lshrrev_b64 v[2:3], 4, v[0:1]
	v_cmp_lt_u64_e32 vcc_lo, 47, v[0:1]
	v_add_co_u32 v15, s0, v2, 1
	v_add_co_ci_u32_e64 v14, null, 0, v3, s0
	v_mov_b32_e32 v0, v4
	v_mov_b32_e32 v1, v5
	;; [unrolled: 1-line block ×4, first 2 shown]
	s_and_saveexec_b32 s3, vcc_lo
	s_cbranch_execz .LBB67_35
; %bb.32:
	v_lshlrev_b64 v[0:1], 2, v[11:12]
	v_and_b32_e32 v13, -4, v15
	v_mov_b32_e32 v2, 0
	v_add_co_u32 v0, vcc_lo, s12, v0
	v_add_co_ci_u32_e64 v3, null, s13, v1, vcc_lo
	v_mov_b32_e32 v1, 0
	v_add_co_u32 v5, vcc_lo, 0x80, v0
	v_add_co_ci_u32_e64 v6, null, 0, v3, vcc_lo
	v_mov_b32_e32 v0, 0
.LBB67_33:                              ; =>This Inner Loop Header: Depth=1
	s_clause 0x3
	global_load_dword v3, v[5:6], off offset:-128
	global_load_dword v7, v[5:6], off offset:-64
	global_load_dword v20, v[5:6], off
	global_load_dword v21, v[5:6], off offset:64
	s_clause 0x2
	global_load_dwordx4 v[16:19], v[9:10], off
	global_load_dwordx4 v[24:27], v[9:10], off offset:256
	global_load_dwordx4 v[28:31], v[9:10], off offset:512
	s_waitcnt vmcnt(6)
	v_subrev_nc_u32_e32 v3, s16, v3
	s_waitcnt vmcnt(5)
	v_subrev_nc_u32_e32 v7, s16, v7
	;; [unrolled: 2-line block ×4, first 2 shown]
	s_waitcnt vmcnt(2)
	v_perm_b32 v37, v18, v17, 0xc05010c
	v_lshlrev_b32_e32 v3, 2, v3
	v_lshlrev_b32_e32 v7, 2, v7
	;; [unrolled: 1-line block ×4, first 2 shown]
	v_perm_b32 v39, v18, v17, 0xc06020c
	v_ashrrev_i32_e32 v21, 31, v3
	v_ashrrev_i32_e32 v33, 31, v7
	v_add_co_u32 v20, vcc_lo, s6, v7
	v_ashrrev_i32_e32 v7, 31, v22
	v_add_co_u32 v34, s1, s6, v3
	v_add_co_u32 v32, s0, s6, v22
	v_add_co_ci_u32_e64 v35, null, s7, v21, s1
	v_add_co_ci_u32_e64 v21, null, s7, v33, vcc_lo
	v_add_co_ci_u32_e64 v33, null, s7, v7, s0
	s_clause 0x2
	global_load_dword v3, v[34:35], off
	global_load_dword v7, v[20:21], off
	;; [unrolled: 1-line block ×3, first 2 shown]
	global_load_dwordx4 v[32:35], v[9:10], off offset:768
	v_ashrrev_i32_e32 v21, 31, v36
	v_add_co_u32 v20, vcc_lo, s6, v36
	s_waitcnt vmcnt(5)
	v_perm_b32 v41, v26, v25, 0x4000c0c
	v_perm_b32 v42, v24, v19, 0xc0c0501
	v_add_co_ci_u32_e64 v21, null, s7, v21, vcc_lo
	v_perm_b32 v43, v26, v25, 0x5010c0c
	v_perm_b32 v44, v24, v19, 0xc0c0602
	;; [unrolled: 1-line block ×3, first 2 shown]
	global_load_dword v20, v[20:21], off
	v_perm_b32 v21, v18, v17, 0xc04000c
	v_perm_b32 v17, v18, v17, 0xc07030c
	;; [unrolled: 1-line block ×5, first 2 shown]
	s_waitcnt vmcnt(5)
	v_lshrrev_b32_e32 v25, 16, v31
	v_perm_b32 v26, v28, v27, 0xc0c0400
	v_perm_b32 v47, v28, v27, 0xc0c0501
	;; [unrolled: 1-line block ×9, first 2 shown]
	v_or_b32_e32 v27, v28, v27
	v_ashrrev_i16 v28, 8, v25
	v_bfe_i32 v25, v25, 0, 8
	v_perm_b32 v46, v30, v29, 0x4000c0c
	v_perm_b32 v48, v30, v29, 0x5010c0c
	v_perm_b32 v50, v30, v29, 0x6020c0c
	v_ashrrev_i16 v29, 8, v31
	v_bfe_i32 v30, v31, 0, 8
	v_or_b32_e32 v21, v21, v36
	v_or_b32_e32 v16, v17, v16
	v_perm_b32 v25, v28, v25, 0x5040100
	v_or_b32_e32 v17, v41, v18
	v_or_b32_e32 v18, v43, v42
	;; [unrolled: 1-line block ×6, first 2 shown]
	v_perm_b32 v29, v29, v30, 0x5040100
	v_add_co_u32 v9, vcc_lo, 0x400, v9
	v_add_co_ci_u32_e64 v10, null, 0, v10, vcc_lo
	v_add_co_u32 v11, vcc_lo, v11, 64
	v_add_co_ci_u32_e64 v12, null, 0, v12, vcc_lo
	v_add_co_u32 v13, vcc_lo, v13, -4
	v_add_co_ci_u32_e64 v14, null, -1, v14, vcc_lo
	v_add_co_u32 v5, vcc_lo, 0x100, v5
	v_add_co_ci_u32_e64 v6, null, 0, v6, vcc_lo
	v_cmp_eq_u64_e32 vcc_lo, 0, v[13:14]
	s_or_b32 s8, vcc_lo, s8
	s_waitcnt vmcnt(4)
	v_perm_b32 v28, v3, v3, 0xc020100
	s_waitcnt vmcnt(3)
	v_perm_b32 v3, v7, v3, 0x6050403
	;; [unrolled: 2-line block ×4, first 2 shown]
	v_perm_b32 v51, v35, v34, 0x7030c0c
	v_perm_b32 v52, v33, v32, 0xc0c0602
	;; [unrolled: 1-line block ×7, first 2 shown]
	v_or_b32_e32 v34, v37, v38
	v_or_b32_e32 v35, v39, v40
	v_lshrrev_b32_e32 v39, 24, v22
	v_dot4c_i32_i8 v0, v28, v21
	v_dot4c_i32_i8 v4, v16, v28
	;; [unrolled: 1-line block ×4, first 2 shown]
	v_or_b32_e32 v37, v50, v49
	v_bfe_i32 v16, v39, 0, 8
	v_dot4c_i32_i8 v0, v3, v17
	v_dot4c_i32_i8 v4, v19, v3
	;; [unrolled: 1-line block ×4, first 2 shown]
	v_pk_mul_lo_u16 v3, v16, v25 op_sel_hi:[0,1]
	v_pk_mul_lo_u16 v16, v16, v29 op_sel_hi:[0,1]
	v_dot4c_i32_i8 v4, v27, v7
	v_dot4c_i32_i8 v2, v37, v7
	;; [unrolled: 1-line block ×4, first 2 shown]
	v_or_b32_e32 v30, v51, v31
	v_or_b32_e32 v31, v53, v52
	;; [unrolled: 1-line block ×4, first 2 shown]
	v_add_nc_u32_sdwa v4, v4, sext(v3) dst_sel:DWORD dst_unused:UNUSED_PAD src0_sel:DWORD src1_sel:WORD_1
	v_add_nc_u32_sdwa v2, v2, sext(v3) dst_sel:DWORD dst_unused:UNUSED_PAD src0_sel:DWORD src1_sel:WORD_0
	v_add_nc_u32_sdwa v1, v1, sext(v16) dst_sel:DWORD dst_unused:UNUSED_PAD src0_sel:DWORD src1_sel:WORD_1
	v_add_nc_u32_sdwa v0, v0, sext(v16) dst_sel:DWORD dst_unused:UNUSED_PAD src0_sel:DWORD src1_sel:WORD_0
	s_waitcnt vmcnt(0)
	v_dot4c_i32_i8 v4, v20, v30
	v_dot4c_i32_i8 v2, v20, v31
	;; [unrolled: 1-line block ×4, first 2 shown]
	s_andn2_b32 exec_lo, exec_lo, s8
	s_cbranch_execnz .LBB67_33
; %bb.34:
	s_or_b32 exec_lo, exec_lo, s8
	v_mov_b32_e32 v3, v4
.LBB67_35:
	s_or_b32 exec_lo, exec_lo, s3
	v_and_b32_e32 v5, 3, v15
	v_mov_b32_e32 v6, 0
	s_mov_b32 s0, exec_lo
	v_cmpx_ne_u64_e32 0, v[5:6]
	s_cbranch_execz .LBB67_39
; %bb.36:
	v_lshlrev_b64 v[11:12], 2, v[11:12]
	v_lshlrev_b32_e32 v5, 2, v5
	s_mov_b32 s1, 0
	v_add_co_u32 v11, vcc_lo, s12, v11
	v_add_co_ci_u32_e64 v12, null, s13, v12, vcc_lo
.LBB67_37:                              ; =>This Inner Loop Header: Depth=1
	global_load_dword v4, v[11:12], off
	global_load_dwordx4 v[13:16], v[9:10], off
	s_waitcnt vmcnt(1)
	v_subrev_nc_u32_e32 v4, s16, v4
	s_waitcnt vmcnt(0)
	v_perm_b32 v19, v16, v15, 0x6020c0c
	v_perm_b32 v20, v14, v13, 0xc0c0501
	;; [unrolled: 1-line block ×3, first 2 shown]
	v_lshlrev_b32_e32 v4, 2, v4
	v_ashrrev_i32_e32 v7, 31, v4
	v_add_co_u32 v17, vcc_lo, s6, v4
	v_add_co_ci_u32_e64 v18, null, s7, v7, vcc_lo
	v_add_co_u32 v9, vcc_lo, 0x100, v9
	v_add_co_ci_u32_e64 v10, null, 0, v10, vcc_lo
	global_load_dword v4, v[17:18], off
	v_add_co_u32 v11, vcc_lo, v11, 64
	v_add_co_ci_u32_e64 v12, null, 0, v12, vcc_lo
	v_add_co_u32 v5, vcc_lo, v5, -4
	v_perm_b32 v7, v14, v13, 0xc0c0703
	v_perm_b32 v17, v16, v15, 0x7030c0c
	;; [unrolled: 1-line block ×5, first 2 shown]
	v_add_co_ci_u32_e64 v6, null, -1, v6, vcc_lo
	v_or_b32_e32 v7, v17, v7
	v_or_b32_e32 v15, v19, v18
	;; [unrolled: 1-line block ×4, first 2 shown]
	v_cmp_eq_u64_e32 vcc_lo, 0, v[5:6]
	s_or_b32 s1, vcc_lo, s1
	s_waitcnt vmcnt(0)
	v_dot4c_i32_i8 v3, v4, v7
	v_dot4c_i32_i8 v2, v4, v15
	;; [unrolled: 1-line block ×4, first 2 shown]
	s_andn2_b32 exec_lo, exec_lo, s1
	s_cbranch_execnz .LBB67_37
; %bb.38:
	s_or_b32 exec_lo, exec_lo, s1
	v_mov_b32_e32 v4, v3
.LBB67_39:
	s_or_b32 exec_lo, exec_lo, s0
.LBB67_40:
	s_or_b32 exec_lo, exec_lo, s2
.LBB67_41:
	v_mbcnt_lo_u32_b32 v3, -1, 0
	s_mov_b32 s2, -1
	v_xor_b32_e32 v5, 8, v3
	v_xor_b32_e32 v10, 4, v3
	v_cmp_gt_i32_e32 vcc_lo, 32, v5
	v_cndmask_b32_e32 v5, v3, v5, vcc_lo
	v_cmp_gt_i32_e32 vcc_lo, 32, v10
	v_lshlrev_b32_e32 v5, 2, v5
	v_cndmask_b32_e32 v10, v3, v10, vcc_lo
	ds_bpermute_b32 v6, v5, v0
	ds_bpermute_b32 v7, v5, v1
	;; [unrolled: 1-line block ×4, first 2 shown]
	v_lshlrev_b32_e32 v10, 2, v10
	s_waitcnt lgkmcnt(3)
	v_add_nc_u32_e32 v0, v6, v0
	s_waitcnt lgkmcnt(2)
	v_add_nc_u32_e32 v1, v7, v1
	;; [unrolled: 2-line block ×4, first 2 shown]
	ds_bpermute_b32 v5, v10, v0
	ds_bpermute_b32 v6, v10, v1
	;; [unrolled: 1-line block ×4, first 2 shown]
	v_xor_b32_e32 v10, 2, v3
	v_cmp_gt_i32_e32 vcc_lo, 32, v10
	v_cndmask_b32_e32 v10, v3, v10, vcc_lo
	v_lshlrev_b32_e32 v10, 2, v10
	s_waitcnt lgkmcnt(3)
	v_add_nc_u32_e32 v0, v5, v0
	s_waitcnt lgkmcnt(2)
	v_add_nc_u32_e32 v1, v6, v1
	;; [unrolled: 2-line block ×4, first 2 shown]
	ds_bpermute_b32 v5, v10, v0
	ds_bpermute_b32 v6, v10, v1
	;; [unrolled: 1-line block ×4, first 2 shown]
	v_xor_b32_e32 v10, 1, v3
	v_cmp_gt_i32_e32 vcc_lo, 32, v10
	v_cndmask_b32_e32 v3, v3, v10, vcc_lo
	v_cmp_eq_u32_e32 vcc_lo, 15, v23
	v_lshlrev_b32_e32 v10, 2, v3
	s_waitcnt lgkmcnt(3)
	v_add_nc_u32_e32 v0, v5, v0
	s_waitcnt lgkmcnt(2)
	v_add_nc_u32_e32 v1, v6, v1
	s_waitcnt lgkmcnt(1)
	v_add_nc_u32_e32 v2, v7, v2
	s_waitcnt lgkmcnt(0)
	v_add_nc_u32_e32 v3, v9, v4
	ds_bpermute_b32 v4, v10, v0
	ds_bpermute_b32 v5, v10, v1
	;; [unrolled: 1-line block ×4, first 2 shown]
	s_and_b32 exec_lo, exec_lo, vcc_lo
	s_cbranch_execz .LBB67_14
; %bb.42:
	s_load_dwordx2 s[0:1], s[4:5], 0x50
	s_waitcnt lgkmcnt(0)
	v_add_nc_u32_e32 v0, v4, v0
	v_add_nc_u32_e32 v1, v5, v1
	;; [unrolled: 1-line block ×4, first 2 shown]
	v_lshlrev_b32_e32 v4, 2, v8
	v_mul_lo_u32 v0, v0, s17
	v_mul_lo_u32 v1, v1, s17
	;; [unrolled: 1-line block ×4, first 2 shown]
	s_cmp_eq_u32 s18, 0
	s_cbranch_scc1 .LBB67_44
; %bb.43:
	v_ashrrev_i32_e32 v5, 31, v4
	s_mov_b32 s2, 0
	v_lshlrev_b64 v[5:6], 2, v[4:5]
	v_add_co_u32 v12, vcc_lo, s0, v5
	v_add_co_ci_u32_e64 v13, null, s1, v6, vcc_lo
	global_load_dwordx4 v[5:8], v[12:13], off
	s_waitcnt vmcnt(0)
	v_mad_u64_u32 v[14:15], null, v8, s18, v[3:4]
	v_mad_u64_u32 v[8:9], null, v5, s18, v[0:1]
	;; [unrolled: 1-line block ×4, first 2 shown]
	v_mov_b32_e32 v11, v14
	global_store_dwordx4 v[12:13], v[8:11], off
.LBB67_44:
	s_andn2_b32 vcc_lo, exec_lo, s2
	s_cbranch_vccnz .LBB67_14
; %bb.45:
	v_ashrrev_i32_e32 v5, 31, v4
	v_lshlrev_b64 v[4:5], 2, v[4:5]
	v_add_co_u32 v4, vcc_lo, s0, v4
	v_add_co_ci_u32_e64 v5, null, s1, v5, vcc_lo
	global_store_dwordx4 v[4:5], v[0:3], off
	s_endpgm
	.section	.rodata,"a",@progbits
	.p2align	6, 0x0
	.amdhsa_kernel _ZN9rocsparseL18bsrxmvn_4x4_kernelILj128ELj16EiliaaiEEvT3_20rocsparse_direction_NS_24const_host_device_scalarIT1_EES1_PKS1_PKT2_SA_S7_PKT4_PKT5_S5_PT6_21rocsparse_index_base_b
		.amdhsa_group_segment_fixed_size 0
		.amdhsa_private_segment_fixed_size 0
		.amdhsa_kernarg_size 96
		.amdhsa_user_sgpr_count 6
		.amdhsa_user_sgpr_private_segment_buffer 1
		.amdhsa_user_sgpr_dispatch_ptr 0
		.amdhsa_user_sgpr_queue_ptr 0
		.amdhsa_user_sgpr_kernarg_segment_ptr 1
		.amdhsa_user_sgpr_dispatch_id 0
		.amdhsa_user_sgpr_flat_scratch_init 0
		.amdhsa_user_sgpr_private_segment_size 0
		.amdhsa_wavefront_size32 1
		.amdhsa_uses_dynamic_stack 0
		.amdhsa_system_sgpr_private_segment_wavefront_offset 0
		.amdhsa_system_sgpr_workgroup_id_x 1
		.amdhsa_system_sgpr_workgroup_id_y 0
		.amdhsa_system_sgpr_workgroup_id_z 0
		.amdhsa_system_sgpr_workgroup_info 0
		.amdhsa_system_vgpr_workitem_id 0
		.amdhsa_next_free_vgpr 56
		.amdhsa_next_free_sgpr 19
		.amdhsa_reserve_vcc 1
		.amdhsa_reserve_flat_scratch 0
		.amdhsa_float_round_mode_32 0
		.amdhsa_float_round_mode_16_64 0
		.amdhsa_float_denorm_mode_32 3
		.amdhsa_float_denorm_mode_16_64 3
		.amdhsa_dx10_clamp 1
		.amdhsa_ieee_mode 1
		.amdhsa_fp16_overflow 0
		.amdhsa_workgroup_processor_mode 1
		.amdhsa_memory_ordered 1
		.amdhsa_forward_progress 1
		.amdhsa_shared_vgpr_count 0
		.amdhsa_exception_fp_ieee_invalid_op 0
		.amdhsa_exception_fp_denorm_src 0
		.amdhsa_exception_fp_ieee_div_zero 0
		.amdhsa_exception_fp_ieee_overflow 0
		.amdhsa_exception_fp_ieee_underflow 0
		.amdhsa_exception_fp_ieee_inexact 0
		.amdhsa_exception_int_div_zero 0
	.end_amdhsa_kernel
	.section	.text._ZN9rocsparseL18bsrxmvn_4x4_kernelILj128ELj16EiliaaiEEvT3_20rocsparse_direction_NS_24const_host_device_scalarIT1_EES1_PKS1_PKT2_SA_S7_PKT4_PKT5_S5_PT6_21rocsparse_index_base_b,"axG",@progbits,_ZN9rocsparseL18bsrxmvn_4x4_kernelILj128ELj16EiliaaiEEvT3_20rocsparse_direction_NS_24const_host_device_scalarIT1_EES1_PKS1_PKT2_SA_S7_PKT4_PKT5_S5_PT6_21rocsparse_index_base_b,comdat
.Lfunc_end67:
	.size	_ZN9rocsparseL18bsrxmvn_4x4_kernelILj128ELj16EiliaaiEEvT3_20rocsparse_direction_NS_24const_host_device_scalarIT1_EES1_PKS1_PKT2_SA_S7_PKT4_PKT5_S5_PT6_21rocsparse_index_base_b, .Lfunc_end67-_ZN9rocsparseL18bsrxmvn_4x4_kernelILj128ELj16EiliaaiEEvT3_20rocsparse_direction_NS_24const_host_device_scalarIT1_EES1_PKS1_PKT2_SA_S7_PKT4_PKT5_S5_PT6_21rocsparse_index_base_b
                                        ; -- End function
	.set _ZN9rocsparseL18bsrxmvn_4x4_kernelILj128ELj16EiliaaiEEvT3_20rocsparse_direction_NS_24const_host_device_scalarIT1_EES1_PKS1_PKT2_SA_S7_PKT4_PKT5_S5_PT6_21rocsparse_index_base_b.num_vgpr, 56
	.set _ZN9rocsparseL18bsrxmvn_4x4_kernelILj128ELj16EiliaaiEEvT3_20rocsparse_direction_NS_24const_host_device_scalarIT1_EES1_PKS1_PKT2_SA_S7_PKT4_PKT5_S5_PT6_21rocsparse_index_base_b.num_agpr, 0
	.set _ZN9rocsparseL18bsrxmvn_4x4_kernelILj128ELj16EiliaaiEEvT3_20rocsparse_direction_NS_24const_host_device_scalarIT1_EES1_PKS1_PKT2_SA_S7_PKT4_PKT5_S5_PT6_21rocsparse_index_base_b.numbered_sgpr, 19
	.set _ZN9rocsparseL18bsrxmvn_4x4_kernelILj128ELj16EiliaaiEEvT3_20rocsparse_direction_NS_24const_host_device_scalarIT1_EES1_PKS1_PKT2_SA_S7_PKT4_PKT5_S5_PT6_21rocsparse_index_base_b.num_named_barrier, 0
	.set _ZN9rocsparseL18bsrxmvn_4x4_kernelILj128ELj16EiliaaiEEvT3_20rocsparse_direction_NS_24const_host_device_scalarIT1_EES1_PKS1_PKT2_SA_S7_PKT4_PKT5_S5_PT6_21rocsparse_index_base_b.private_seg_size, 0
	.set _ZN9rocsparseL18bsrxmvn_4x4_kernelILj128ELj16EiliaaiEEvT3_20rocsparse_direction_NS_24const_host_device_scalarIT1_EES1_PKS1_PKT2_SA_S7_PKT4_PKT5_S5_PT6_21rocsparse_index_base_b.uses_vcc, 1
	.set _ZN9rocsparseL18bsrxmvn_4x4_kernelILj128ELj16EiliaaiEEvT3_20rocsparse_direction_NS_24const_host_device_scalarIT1_EES1_PKS1_PKT2_SA_S7_PKT4_PKT5_S5_PT6_21rocsparse_index_base_b.uses_flat_scratch, 0
	.set _ZN9rocsparseL18bsrxmvn_4x4_kernelILj128ELj16EiliaaiEEvT3_20rocsparse_direction_NS_24const_host_device_scalarIT1_EES1_PKS1_PKT2_SA_S7_PKT4_PKT5_S5_PT6_21rocsparse_index_base_b.has_dyn_sized_stack, 0
	.set _ZN9rocsparseL18bsrxmvn_4x4_kernelILj128ELj16EiliaaiEEvT3_20rocsparse_direction_NS_24const_host_device_scalarIT1_EES1_PKS1_PKT2_SA_S7_PKT4_PKT5_S5_PT6_21rocsparse_index_base_b.has_recursion, 0
	.set _ZN9rocsparseL18bsrxmvn_4x4_kernelILj128ELj16EiliaaiEEvT3_20rocsparse_direction_NS_24const_host_device_scalarIT1_EES1_PKS1_PKT2_SA_S7_PKT4_PKT5_S5_PT6_21rocsparse_index_base_b.has_indirect_call, 0
	.section	.AMDGPU.csdata,"",@progbits
; Kernel info:
; codeLenInByte = 3916
; TotalNumSgprs: 21
; NumVgprs: 56
; ScratchSize: 0
; MemoryBound: 0
; FloatMode: 240
; IeeeMode: 1
; LDSByteSize: 0 bytes/workgroup (compile time only)
; SGPRBlocks: 0
; VGPRBlocks: 6
; NumSGPRsForWavesPerEU: 21
; NumVGPRsForWavesPerEU: 56
; Occupancy: 16
; WaveLimiterHint : 1
; COMPUTE_PGM_RSRC2:SCRATCH_EN: 0
; COMPUTE_PGM_RSRC2:USER_SGPR: 6
; COMPUTE_PGM_RSRC2:TRAP_HANDLER: 0
; COMPUTE_PGM_RSRC2:TGID_X_EN: 1
; COMPUTE_PGM_RSRC2:TGID_Y_EN: 0
; COMPUTE_PGM_RSRC2:TGID_Z_EN: 0
; COMPUTE_PGM_RSRC2:TIDIG_COMP_CNT: 0
	.section	.text._ZN9rocsparseL18bsrxmvn_4x4_kernelILj128ELj32EiliaaiEEvT3_20rocsparse_direction_NS_24const_host_device_scalarIT1_EES1_PKS1_PKT2_SA_S7_PKT4_PKT5_S5_PT6_21rocsparse_index_base_b,"axG",@progbits,_ZN9rocsparseL18bsrxmvn_4x4_kernelILj128ELj32EiliaaiEEvT3_20rocsparse_direction_NS_24const_host_device_scalarIT1_EES1_PKS1_PKT2_SA_S7_PKT4_PKT5_S5_PT6_21rocsparse_index_base_b,comdat
	.globl	_ZN9rocsparseL18bsrxmvn_4x4_kernelILj128ELj32EiliaaiEEvT3_20rocsparse_direction_NS_24const_host_device_scalarIT1_EES1_PKS1_PKT2_SA_S7_PKT4_PKT5_S5_PT6_21rocsparse_index_base_b ; -- Begin function _ZN9rocsparseL18bsrxmvn_4x4_kernelILj128ELj32EiliaaiEEvT3_20rocsparse_direction_NS_24const_host_device_scalarIT1_EES1_PKS1_PKT2_SA_S7_PKT4_PKT5_S5_PT6_21rocsparse_index_base_b
	.p2align	8
	.type	_ZN9rocsparseL18bsrxmvn_4x4_kernelILj128ELj32EiliaaiEEvT3_20rocsparse_direction_NS_24const_host_device_scalarIT1_EES1_PKS1_PKT2_SA_S7_PKT4_PKT5_S5_PT6_21rocsparse_index_base_b,@function
_ZN9rocsparseL18bsrxmvn_4x4_kernelILj128ELj32EiliaaiEEvT3_20rocsparse_direction_NS_24const_host_device_scalarIT1_EES1_PKS1_PKT2_SA_S7_PKT4_PKT5_S5_PT6_21rocsparse_index_base_b: ; @_ZN9rocsparseL18bsrxmvn_4x4_kernelILj128ELj32EiliaaiEEvT3_20rocsparse_direction_NS_24const_host_device_scalarIT1_EES1_PKS1_PKT2_SA_S7_PKT4_PKT5_S5_PT6_21rocsparse_index_base_b
; %bb.0:
	s_clause 0x1
	s_load_dwordx2 s[16:17], s[4:5], 0x58
	s_load_dwordx2 s[2:3], s[4:5], 0x8
	s_mov_b32 s8, -1
	s_waitcnt lgkmcnt(0)
	s_bitcmp1_b32 s17, 0
                                        ; implicit-def: $sgpr17
	s_cselect_b32 s0, -1, 0
	s_xor_b32 s7, s0, -1
	s_and_b32 vcc_lo, exec_lo, s7
	s_cbranch_vccnz .LBB68_4
; %bb.1:
	s_load_dwordx2 s[0:1], s[4:5], 0x48
	s_andn2_b32 vcc_lo, exec_lo, s8
	s_cbranch_vccz .LBB68_5
.LBB68_2:
	s_and_b32 vcc_lo, exec_lo, s7
	s_cbranch_vccz .LBB68_6
.LBB68_3:
	s_waitcnt lgkmcnt(0)
	s_load_dword s18, s[0:1], 0x0
	s_cbranch_execz .LBB68_7
	s_branch .LBB68_8
.LBB68_4:
	s_load_dword s17, s[2:3], 0x0
	s_load_dwordx2 s[0:1], s[4:5], 0x48
	s_cbranch_execnz .LBB68_2
.LBB68_5:
	s_waitcnt lgkmcnt(0)
	s_mov_b32 s17, s2
	s_and_b32 vcc_lo, exec_lo, s7
	s_cbranch_vccnz .LBB68_3
.LBB68_6:
	s_waitcnt lgkmcnt(0)
                                        ; implicit-def: $sgpr18
.LBB68_7:
	s_waitcnt lgkmcnt(0)
	s_mov_b32 s18, s0
.LBB68_8:
	s_cmp_lg_u32 s17, 0
	s_mov_b32 s7, 0
	s_cselect_b32 s0, -1, 0
	s_waitcnt lgkmcnt(0)
	s_cmp_lg_u32 s18, 1
	s_cselect_b32 s1, -1, 0
	s_or_b32 s0, s0, s1
	s_andn2_b32 vcc_lo, exec_lo, s0
	s_cbranch_vccnz .LBB68_14
; %bb.9:
	s_clause 0x1
	s_load_dwordx2 s[2:3], s[4:5], 0x18
	s_load_dwordx2 s[0:1], s[4:5], 0x0
	v_lshrrev_b32_e32 v1, 5, v0
	v_lshl_or_b32 v8, s6, 2, v1
	s_waitcnt lgkmcnt(0)
	s_cmp_lg_u64 s[2:3], 0
	s_cbranch_scc0 .LBB68_15
; %bb.10:
	s_load_dword s6, s[4:5], 0x10
                                        ; implicit-def: $vgpr1
	s_waitcnt lgkmcnt(0)
	v_cmp_gt_i32_e32 vcc_lo, s6, v8
	s_mov_b32 s6, 0
	s_and_saveexec_b32 s8, vcc_lo
	s_xor_b32 s8, exec_lo, s8
	s_cbranch_execz .LBB68_12
; %bb.11:
	v_ashrrev_i32_e32 v9, 31, v8
	s_mov_b32 s7, exec_lo
	v_lshlrev_b64 v[1:2], 2, v[8:9]
	v_add_co_u32 v1, vcc_lo, s2, v1
	v_add_co_ci_u32_e64 v2, null, s3, v2, vcc_lo
	global_load_dword v1, v[1:2], off
	s_waitcnt vmcnt(0)
	v_subrev_nc_u32_e32 v1, s16, v1
.LBB68_12:
	s_or_b32 exec_lo, exec_lo, s8
	s_and_b32 vcc_lo, exec_lo, s6
	s_cbranch_vccz .LBB68_16
.LBB68_13:
	v_cmp_gt_i32_e32 vcc_lo, s0, v8
	s_andn2_b32 s0, s7, exec_lo
	s_and_b32 s2, vcc_lo, exec_lo
	s_or_b32 s7, s0, s2
	s_and_saveexec_b32 s0, s7
	s_cbranch_execnz .LBB68_17
.LBB68_14:
	s_endpgm
.LBB68_15:
                                        ; implicit-def: $vgpr1
	s_cbranch_execnz .LBB68_13
.LBB68_16:
	v_mov_b32_e32 v8, v1
	s_and_saveexec_b32 s0, s7
	s_cbranch_execz .LBB68_14
.LBB68_17:
	s_load_dwordx8 s[8:15], s[4:5], 0x20
	v_ashrrev_i32_e32 v9, 31, v8
	v_and_b32_e32 v23, 31, v0
	s_load_dwordx2 s[6:7], s[4:5], 0x40
	v_lshlrev_b64 v[1:2], 3, v[8:9]
	s_waitcnt lgkmcnt(0)
	v_add_co_u32 v3, vcc_lo, s8, v1
	v_add_co_ci_u32_e64 v4, null, s9, v2, vcc_lo
	v_add_co_u32 v1, vcc_lo, s10, v1
	v_add_co_ci_u32_e64 v2, null, s11, v2, vcc_lo
	v_add_co_u32 v5, vcc_lo, v3, 8
	global_load_dwordx2 v[13:14], v[3:4], off
	v_add_co_ci_u32_e64 v6, null, 0, v4, vcc_lo
	s_cmp_eq_u64 s[10:11], 0
	v_mov_b32_e32 v4, 0
	s_cselect_b32 vcc_lo, -1, 0
	s_cmp_eq_u32 s1, 1
	v_cndmask_b32_e32 v2, v2, v6, vcc_lo
	v_cndmask_b32_e32 v1, v1, v5, vcc_lo
	global_load_dwordx2 v[1:2], v[1:2], off
	s_waitcnt vmcnt(1)
	v_sub_co_u32 v0, vcc_lo, v13, s16
	v_subrev_co_ci_u32_e64 v3, null, 0, v14, vcc_lo
	v_add_co_u32 v11, vcc_lo, v0, v23
	v_add_co_ci_u32_e64 v12, null, 0, v3, vcc_lo
	s_waitcnt vmcnt(0)
	v_sub_co_u32 v15, vcc_lo, v1, s16
	v_lshlrev_b64 v[0:1], 4, v[11:12]
	v_subrev_co_ci_u32_e64 v16, null, 0, v2, vcc_lo
	v_add_co_u32 v9, vcc_lo, s14, v0
	v_cmp_lt_i64_e64 s0, v[11:12], v[15:16]
	v_add_co_ci_u32_e64 v10, null, s15, v1, vcc_lo
	s_cbranch_scc1 .LBB68_29
; %bb.18:
	v_mov_b32_e32 v2, 0
	v_mov_b32_e32 v1, 0
	;; [unrolled: 1-line block ×3, first 2 shown]
	s_and_saveexec_b32 s3, s0
	s_cbranch_execz .LBB68_28
; %bb.19:
	v_or_b32_e32 v0, 32, v23
	v_not_b32_e32 v3, v13
	v_not_b32_e32 v2, v14
	v_mov_b32_e32 v18, v12
	v_mov_b32_e32 v17, v11
	v_sub_co_u32 v0, s1, v0, s16
	v_sub_co_ci_u32_e64 v1, null, 0, 0, s1
	v_sub_co_u32 v4, s1, s16, v23
	v_add_co_u32 v0, vcc_lo, v0, v13
	v_add_co_ci_u32_e64 v1, null, v1, v14, vcc_lo
	v_sub_co_ci_u32_e64 v5, null, 0, 0, s1
	s_mov_b32 s9, 0
	v_cmp_gt_i64_e32 vcc_lo, v[0:1], v[15:16]
	v_cndmask_b32_e32 v1, v16, v1, vcc_lo
	v_cndmask_b32_e32 v0, v15, v0, vcc_lo
	v_add_co_u32 v3, vcc_lo, v4, v3
	v_add_co_ci_u32_e64 v2, null, v5, v2, vcc_lo
	v_mov_b32_e32 v4, 0
	v_add_co_u32 v19, vcc_lo, v3, v0
	v_add_co_ci_u32_e64 v20, null, v2, v1, vcc_lo
	v_mov_b32_e32 v5, v4
	v_mov_b32_e32 v6, v4
	;; [unrolled: 1-line block ×3, first 2 shown]
	v_lshrrev_b64 v[21:22], 5, v[19:20]
	v_mov_b32_e32 v0, v4
	v_mov_b32_e32 v1, v5
	;; [unrolled: 1-line block ×4, first 2 shown]
	v_cmp_lt_u64_e32 vcc_lo, 0x5f, v[19:20]
	v_add_co_u32 v7, s1, v21, 1
	v_mov_b32_e32 v5, v9
	v_add_co_ci_u32_e64 v20, null, 0, v22, s1
	v_mov_b32_e32 v6, v10
	s_and_saveexec_b32 s8, vcc_lo
	s_cbranch_execz .LBB68_23
; %bb.20:
	v_lshlrev_b64 v[0:1], 2, v[11:12]
	v_mov_b32_e32 v5, v9
	v_mov_b32_e32 v18, v12
	v_and_b32_e32 v19, -4, v7
	v_mov_b32_e32 v2, 0
	v_mov_b32_e32 v6, v10
	v_add_co_u32 v0, vcc_lo, s12, v0
	v_add_co_ci_u32_e64 v3, null, s13, v1, vcc_lo
	v_mov_b32_e32 v1, 0
	v_add_co_u32 v21, vcc_lo, 0x100, v0
	v_add_co_ci_u32_e64 v22, null, 0, v3, vcc_lo
	v_mov_b32_e32 v0, 0
	v_mov_b32_e32 v17, v11
.LBB68_21:                              ; =>This Inner Loop Header: Depth=1
	s_clause 0x3
	global_load_dword v3, v[21:22], off offset:-256
	global_load_dword v36, v[21:22], off offset:-128
	global_load_dword v37, v[21:22], off
	global_load_dword v38, v[21:22], off offset:128
	s_clause 0x2
	global_load_dwordx4 v[24:27], v[5:6], off
	global_load_dwordx4 v[28:31], v[5:6], off offset:512
	global_load_dwordx4 v[32:35], v[5:6], off offset:1024
	s_waitcnt vmcnt(6)
	v_subrev_nc_u32_e32 v3, s16, v3
	s_waitcnt vmcnt(5)
	v_subrev_nc_u32_e32 v36, s16, v36
	;; [unrolled: 2-line block ×4, first 2 shown]
	s_waitcnt vmcnt(2)
	v_bfe_i32 v45, v27, 0, 8
	v_lshlrev_b32_e32 v3, 2, v3
	v_lshlrev_b32_e32 v36, 2, v36
	;; [unrolled: 1-line block ×3, first 2 shown]
	s_waitcnt vmcnt(1)
	v_lshrrev_b16 v46, 8, v31
	s_waitcnt vmcnt(0)
	v_bfe_i32 v47, v35, 8, 8
	v_ashrrev_i32_e32 v39, 31, v3
	v_ashrrev_i32_e32 v43, 31, v36
	;; [unrolled: 1-line block ×3, first 2 shown]
	v_add_co_u32 v40, s2, s6, v3
	v_add_co_u32 v36, vcc_lo, s6, v36
	v_add_co_u32 v38, s1, s6, v37
	v_add_co_ci_u32_e64 v41, null, s7, v39, s2
	v_add_co_ci_u32_e64 v37, null, s7, v43, vcc_lo
	v_add_co_ci_u32_e64 v39, null, s7, v44, s1
	s_clause 0x2
	global_load_dword v3, v[40:41], off
	global_load_dword v43, v[36:37], off
	;; [unrolled: 1-line block ×3, first 2 shown]
	v_lshlrev_b32_e32 v36, 2, v42
	v_ashrrev_i32_e32 v42, 24, v27
	v_ashrrev_i32_e32 v37, 31, v36
	v_add_co_u32 v40, vcc_lo, s6, v36
	v_add_co_ci_u32_e64 v41, null, s7, v37, vcc_lo
	global_load_dwordx4 v[36:39], v[5:6], off offset:1536
	global_load_dword v40, v[40:41], off
	v_lshrrev_b16 v41, 8, v27
	v_bfe_i32 v27, v27, 16, 8
	v_add_co_u32 v5, vcc_lo, 0x800, v5
	v_add_co_ci_u32_e64 v6, null, 0, v6, vcc_lo
	v_add_co_u32 v17, vcc_lo, 0x80, v17
	v_add_co_ci_u32_e64 v18, null, 0, v18, vcc_lo
	v_add_co_u32 v19, vcc_lo, v19, -4
	v_add_co_ci_u32_e64 v20, null, -1, v20, vcc_lo
	v_add_co_u32 v21, vcc_lo, 0x200, v21
	v_add_co_ci_u32_e64 v22, null, 0, v22, vcc_lo
	v_cmp_eq_u64_e32 vcc_lo, 0, v[19:20]
	s_or_b32 s9, vcc_lo, s9
	s_waitcnt vmcnt(4)
	v_lshrrev_b16 v48, 8, v3
	v_ashrrev_i32_e32 v49, 24, v3
	v_bfe_i32 v50, v3, 0, 8
	v_bfe_i32 v51, v3, 16, 8
	v_dot4c_i32_i8 v0, v3, v24
	v_dot4c_i32_i8 v1, v3, v25
	;; [unrolled: 1-line block ×3, first 2 shown]
	s_waitcnt vmcnt(3)
	v_lshrrev_b16 v3, 8, v43
	v_mul_i32_i24_sdwa v25, sext(v31), sext(v43) dst_sel:DWORD dst_unused:UNUSED_PAD src0_sel:BYTE_3 src1_sel:BYTE_3
	v_mul_i32_i24_sdwa v24, sext(v31), sext(v43) dst_sel:DWORD dst_unused:UNUSED_PAD src0_sel:BYTE_0 src1_sel:BYTE_0
	v_mul_i32_i24_sdwa v26, sext(v31), sext(v43) dst_sel:DWORD dst_unused:UNUSED_PAD src0_sel:BYTE_2 src1_sel:BYTE_2
	v_mul_i32_i24_sdwa v41, sext(v41), sext(v48) dst_sel:DWORD dst_unused:UNUSED_PAD src0_sel:BYTE_0 src1_sel:BYTE_0
	v_mul_i32_i24_sdwa v3, sext(v46), sext(v3) dst_sel:DWORD dst_unused:UNUSED_PAD src0_sel:BYTE_0 src1_sel:BYTE_0
	v_mad_i32_i24 v25, v42, v49, v25
	s_waitcnt vmcnt(2)
	v_bfe_i32 v31, v44, 8, 8
	v_mul_i32_i24_sdwa v42, sext(v35), sext(v44) dst_sel:DWORD dst_unused:UNUSED_PAD src0_sel:BYTE_2 src1_sel:BYTE_2
	v_mad_i32_i24 v26, v27, v51, v26
	v_mad_i32_i24 v24, v45, v50, v24
	v_add3_u32 v3, v41, v3, v25
	v_mul_i32_i24_sdwa v25, sext(v44), sext(v35) dst_sel:DWORD dst_unused:UNUSED_PAD src0_sel:BYTE_0 src1_sel:BYTE_0
	v_mad_i32_i24 v31, v31, v47, v42
	v_mul_i32_i24_sdwa v27, sext(v35), sext(v44) dst_sel:DWORD dst_unused:UNUSED_PAD src0_sel:BYTE_3 src1_sel:BYTE_3
	v_dot4c_i32_i8 v0, v43, v28
	v_add3_u32 v3, v24, v26, v3
	v_dot4c_i32_i8 v2, v43, v30
	v_dot4c_i32_i8 v1, v43, v29
	;; [unrolled: 1-line block ×3, first 2 shown]
	v_add3_u32 v3, v3, v25, v31
	v_dot4c_i32_i8 v2, v34, v44
	v_dot4c_i32_i8 v1, v33, v44
	s_waitcnt vmcnt(0)
	v_dot4c_i32_i8 v0, v40, v36
	v_add3_u32 v4, v3, v4, v27
	v_dot4c_i32_i8 v2, v40, v38
	v_dot4c_i32_i8 v1, v40, v37
	;; [unrolled: 1-line block ×3, first 2 shown]
	s_andn2_b32 exec_lo, exec_lo, s9
	s_cbranch_execnz .LBB68_21
; %bb.22:
	s_or_b32 exec_lo, exec_lo, s9
	v_mov_b32_e32 v3, v4
.LBB68_23:
	s_or_b32 exec_lo, exec_lo, s8
	v_and_b32_e32 v19, 3, v7
	v_mov_b32_e32 v20, 0
	s_mov_b32 s1, exec_lo
	v_cmpx_ne_u64_e32 0, v[19:20]
	s_cbranch_execz .LBB68_27
; %bb.24:
	v_lshlrev_b64 v[17:18], 2, v[17:18]
	v_lshlrev_b32_e32 v19, 2, v19
	s_mov_b32 s2, 0
	v_add_co_u32 v17, vcc_lo, s12, v17
	v_add_co_ci_u32_e64 v18, null, s13, v18, vcc_lo
	s_inst_prefetch 0x1
	.p2align	6
.LBB68_25:                              ; =>This Inner Loop Header: Depth=1
	global_load_dword v4, v[17:18], off
	s_waitcnt vmcnt(0)
	v_subrev_nc_u32_e32 v4, s16, v4
	v_lshlrev_b32_e32 v4, 2, v4
	v_ashrrev_i32_e32 v7, 31, v4
	v_add_co_u32 v21, vcc_lo, s6, v4
	v_add_co_ci_u32_e64 v22, null, s7, v7, vcc_lo
	global_load_dwordx4 v[24:27], v[5:6], off
	global_load_dword v4, v[21:22], off
	v_add_co_u32 v5, vcc_lo, 0x200, v5
	v_add_co_ci_u32_e64 v6, null, 0, v6, vcc_lo
	v_add_co_u32 v19, vcc_lo, v19, -4
	v_add_co_ci_u32_e64 v20, null, -1, v20, vcc_lo
	v_add_co_u32 v17, vcc_lo, 0x80, v17
	v_add_co_ci_u32_e64 v18, null, 0, v18, vcc_lo
	v_cmp_eq_u64_e32 vcc_lo, 0, v[19:20]
	s_or_b32 s2, vcc_lo, s2
	s_waitcnt vmcnt(0)
	v_dot4c_i32_i8 v3, v4, v27
	v_dot4c_i32_i8 v2, v4, v26
	;; [unrolled: 1-line block ×4, first 2 shown]
	s_andn2_b32 exec_lo, exec_lo, s2
	s_cbranch_execnz .LBB68_25
; %bb.26:
	s_inst_prefetch 0x2
	s_or_b32 exec_lo, exec_lo, s2
	v_mov_b32_e32 v4, v3
.LBB68_27:
	s_or_b32 exec_lo, exec_lo, s1
.LBB68_28:
	s_or_b32 exec_lo, exec_lo, s3
	s_cbranch_execz .LBB68_30
	s_branch .LBB68_41
.LBB68_29:
                                        ; implicit-def: $vgpr4
                                        ; implicit-def: $vgpr2
.LBB68_30:
	v_mov_b32_e32 v4, 0
	v_mov_b32_e32 v2, 0
	;; [unrolled: 1-line block ×4, first 2 shown]
	s_and_saveexec_b32 s2, s0
	s_cbranch_execz .LBB68_40
; %bb.31:
	v_or_b32_e32 v0, 32, v23
	v_not_b32_e32 v3, v13
	v_not_b32_e32 v2, v14
	s_mov_b32 s8, 0
	v_sub_co_u32 v0, s0, v0, s16
	v_sub_co_ci_u32_e64 v1, null, 0, 0, s0
	v_sub_co_u32 v4, s0, s16, v23
	v_add_co_u32 v0, vcc_lo, v0, v13
	v_add_co_ci_u32_e64 v1, null, v1, v14, vcc_lo
	v_sub_co_ci_u32_e64 v5, null, 0, 0, s0
	v_cmp_gt_i64_e32 vcc_lo, v[0:1], v[15:16]
	v_cndmask_b32_e32 v1, v16, v1, vcc_lo
	v_cndmask_b32_e32 v0, v15, v0, vcc_lo
	v_add_co_u32 v3, vcc_lo, v4, v3
	v_add_co_ci_u32_e64 v2, null, v5, v2, vcc_lo
	v_mov_b32_e32 v4, 0
	v_add_co_u32 v0, vcc_lo, v3, v0
	v_add_co_ci_u32_e64 v1, null, v2, v1, vcc_lo
	v_mov_b32_e32 v5, v4
	v_mov_b32_e32 v6, v4
	;; [unrolled: 1-line block ×3, first 2 shown]
	v_lshrrev_b64 v[2:3], 5, v[0:1]
	v_cmp_lt_u64_e32 vcc_lo, 0x5f, v[0:1]
	v_add_co_u32 v15, s0, v2, 1
	v_add_co_ci_u32_e64 v14, null, 0, v3, s0
	v_mov_b32_e32 v0, v4
	v_mov_b32_e32 v1, v5
	;; [unrolled: 1-line block ×4, first 2 shown]
	s_and_saveexec_b32 s3, vcc_lo
	s_cbranch_execz .LBB68_35
; %bb.32:
	v_lshlrev_b64 v[0:1], 2, v[11:12]
	v_and_b32_e32 v13, -4, v15
	v_mov_b32_e32 v2, 0
	v_add_co_u32 v0, vcc_lo, s12, v0
	v_add_co_ci_u32_e64 v3, null, s13, v1, vcc_lo
	v_mov_b32_e32 v1, 0
	v_add_co_u32 v5, vcc_lo, 0x100, v0
	v_add_co_ci_u32_e64 v6, null, 0, v3, vcc_lo
	v_mov_b32_e32 v0, 0
.LBB68_33:                              ; =>This Inner Loop Header: Depth=1
	s_clause 0x3
	global_load_dword v3, v[5:6], off offset:-256
	global_load_dword v7, v[5:6], off offset:-128
	global_load_dword v20, v[5:6], off
	global_load_dword v21, v[5:6], off offset:128
	s_clause 0x2
	global_load_dwordx4 v[16:19], v[9:10], off
	global_load_dwordx4 v[24:27], v[9:10], off offset:512
	global_load_dwordx4 v[28:31], v[9:10], off offset:1024
	s_waitcnt vmcnt(6)
	v_subrev_nc_u32_e32 v3, s16, v3
	s_waitcnt vmcnt(5)
	v_subrev_nc_u32_e32 v7, s16, v7
	;; [unrolled: 2-line block ×4, first 2 shown]
	s_waitcnt vmcnt(2)
	v_perm_b32 v37, v18, v17, 0xc05010c
	v_lshlrev_b32_e32 v3, 2, v3
	v_lshlrev_b32_e32 v7, 2, v7
	;; [unrolled: 1-line block ×4, first 2 shown]
	v_perm_b32 v39, v18, v17, 0xc06020c
	v_ashrrev_i32_e32 v21, 31, v3
	v_ashrrev_i32_e32 v33, 31, v7
	v_add_co_u32 v20, vcc_lo, s6, v7
	v_ashrrev_i32_e32 v7, 31, v22
	v_add_co_u32 v34, s1, s6, v3
	v_add_co_u32 v32, s0, s6, v22
	v_add_co_ci_u32_e64 v35, null, s7, v21, s1
	v_add_co_ci_u32_e64 v21, null, s7, v33, vcc_lo
	v_add_co_ci_u32_e64 v33, null, s7, v7, s0
	s_clause 0x2
	global_load_dword v3, v[34:35], off
	global_load_dword v7, v[20:21], off
	;; [unrolled: 1-line block ×3, first 2 shown]
	global_load_dwordx4 v[32:35], v[9:10], off offset:1536
	v_ashrrev_i32_e32 v21, 31, v36
	v_add_co_u32 v20, vcc_lo, s6, v36
	s_waitcnt vmcnt(5)
	v_perm_b32 v41, v26, v25, 0x4000c0c
	v_perm_b32 v42, v24, v19, 0xc0c0501
	v_add_co_ci_u32_e64 v21, null, s7, v21, vcc_lo
	v_perm_b32 v43, v26, v25, 0x5010c0c
	v_perm_b32 v44, v24, v19, 0xc0c0602
	;; [unrolled: 1-line block ×3, first 2 shown]
	global_load_dword v20, v[20:21], off
	v_perm_b32 v21, v18, v17, 0xc04000c
	v_perm_b32 v17, v18, v17, 0xc07030c
	;; [unrolled: 1-line block ×5, first 2 shown]
	s_waitcnt vmcnt(5)
	v_lshrrev_b32_e32 v25, 16, v31
	v_perm_b32 v26, v28, v27, 0xc0c0400
	v_perm_b32 v47, v28, v27, 0xc0c0501
	;; [unrolled: 1-line block ×9, first 2 shown]
	v_or_b32_e32 v27, v28, v27
	v_ashrrev_i16 v28, 8, v25
	v_bfe_i32 v25, v25, 0, 8
	v_perm_b32 v46, v30, v29, 0x4000c0c
	v_perm_b32 v48, v30, v29, 0x5010c0c
	;; [unrolled: 1-line block ×3, first 2 shown]
	v_ashrrev_i16 v29, 8, v31
	v_bfe_i32 v30, v31, 0, 8
	v_or_b32_e32 v21, v21, v36
	v_or_b32_e32 v16, v17, v16
	v_perm_b32 v25, v28, v25, 0x5040100
	v_or_b32_e32 v17, v41, v18
	v_or_b32_e32 v18, v43, v42
	;; [unrolled: 1-line block ×6, first 2 shown]
	v_perm_b32 v29, v29, v30, 0x5040100
	v_add_co_u32 v9, vcc_lo, 0x800, v9
	v_add_co_ci_u32_e64 v10, null, 0, v10, vcc_lo
	v_add_co_u32 v11, vcc_lo, 0x80, v11
	v_add_co_ci_u32_e64 v12, null, 0, v12, vcc_lo
	v_add_co_u32 v13, vcc_lo, v13, -4
	v_add_co_ci_u32_e64 v14, null, -1, v14, vcc_lo
	v_add_co_u32 v5, vcc_lo, 0x200, v5
	v_add_co_ci_u32_e64 v6, null, 0, v6, vcc_lo
	v_cmp_eq_u64_e32 vcc_lo, 0, v[13:14]
	s_or_b32 s8, vcc_lo, s8
	s_waitcnt vmcnt(4)
	v_perm_b32 v28, v3, v3, 0xc020100
	s_waitcnt vmcnt(3)
	v_perm_b32 v3, v7, v3, 0x6050403
	;; [unrolled: 2-line block ×4, first 2 shown]
	v_perm_b32 v51, v35, v34, 0x7030c0c
	v_perm_b32 v52, v33, v32, 0xc0c0602
	;; [unrolled: 1-line block ×7, first 2 shown]
	v_or_b32_e32 v34, v37, v38
	v_or_b32_e32 v35, v39, v40
	v_lshrrev_b32_e32 v39, 24, v22
	v_dot4c_i32_i8 v0, v28, v21
	v_dot4c_i32_i8 v4, v16, v28
	;; [unrolled: 1-line block ×4, first 2 shown]
	v_or_b32_e32 v37, v50, v49
	v_bfe_i32 v16, v39, 0, 8
	v_dot4c_i32_i8 v0, v3, v17
	v_dot4c_i32_i8 v4, v19, v3
	;; [unrolled: 1-line block ×4, first 2 shown]
	v_pk_mul_lo_u16 v3, v16, v25 op_sel_hi:[0,1]
	v_pk_mul_lo_u16 v16, v16, v29 op_sel_hi:[0,1]
	v_dot4c_i32_i8 v4, v27, v7
	v_dot4c_i32_i8 v2, v37, v7
	;; [unrolled: 1-line block ×4, first 2 shown]
	v_or_b32_e32 v30, v51, v31
	v_or_b32_e32 v31, v53, v52
	;; [unrolled: 1-line block ×4, first 2 shown]
	v_add_nc_u32_sdwa v4, v4, sext(v3) dst_sel:DWORD dst_unused:UNUSED_PAD src0_sel:DWORD src1_sel:WORD_1
	v_add_nc_u32_sdwa v2, v2, sext(v3) dst_sel:DWORD dst_unused:UNUSED_PAD src0_sel:DWORD src1_sel:WORD_0
	v_add_nc_u32_sdwa v1, v1, sext(v16) dst_sel:DWORD dst_unused:UNUSED_PAD src0_sel:DWORD src1_sel:WORD_1
	v_add_nc_u32_sdwa v0, v0, sext(v16) dst_sel:DWORD dst_unused:UNUSED_PAD src0_sel:DWORD src1_sel:WORD_0
	s_waitcnt vmcnt(0)
	v_dot4c_i32_i8 v4, v20, v30
	v_dot4c_i32_i8 v2, v20, v31
	;; [unrolled: 1-line block ×4, first 2 shown]
	s_andn2_b32 exec_lo, exec_lo, s8
	s_cbranch_execnz .LBB68_33
; %bb.34:
	s_or_b32 exec_lo, exec_lo, s8
	v_mov_b32_e32 v3, v4
.LBB68_35:
	s_or_b32 exec_lo, exec_lo, s3
	v_and_b32_e32 v5, 3, v15
	v_mov_b32_e32 v6, 0
	s_mov_b32 s0, exec_lo
	v_cmpx_ne_u64_e32 0, v[5:6]
	s_cbranch_execz .LBB68_39
; %bb.36:
	v_lshlrev_b64 v[11:12], 2, v[11:12]
	v_lshlrev_b32_e32 v5, 2, v5
	s_mov_b32 s1, 0
	v_add_co_u32 v11, vcc_lo, s12, v11
	v_add_co_ci_u32_e64 v12, null, s13, v12, vcc_lo
.LBB68_37:                              ; =>This Inner Loop Header: Depth=1
	global_load_dword v4, v[11:12], off
	global_load_dwordx4 v[13:16], v[9:10], off
	s_waitcnt vmcnt(1)
	v_subrev_nc_u32_e32 v4, s16, v4
	s_waitcnt vmcnt(0)
	v_perm_b32 v19, v16, v15, 0x6020c0c
	v_perm_b32 v20, v14, v13, 0xc0c0501
	v_perm_b32 v21, v16, v15, 0x5010c0c
	v_lshlrev_b32_e32 v4, 2, v4
	v_ashrrev_i32_e32 v7, 31, v4
	v_add_co_u32 v17, vcc_lo, s6, v4
	v_add_co_ci_u32_e64 v18, null, s7, v7, vcc_lo
	v_add_co_u32 v9, vcc_lo, 0x200, v9
	v_add_co_ci_u32_e64 v10, null, 0, v10, vcc_lo
	global_load_dword v4, v[17:18], off
	v_add_co_u32 v11, vcc_lo, 0x80, v11
	v_add_co_ci_u32_e64 v12, null, 0, v12, vcc_lo
	v_add_co_u32 v5, vcc_lo, v5, -4
	v_perm_b32 v7, v14, v13, 0xc0c0703
	v_perm_b32 v17, v16, v15, 0x7030c0c
	;; [unrolled: 1-line block ×5, first 2 shown]
	v_add_co_ci_u32_e64 v6, null, -1, v6, vcc_lo
	v_or_b32_e32 v7, v17, v7
	v_or_b32_e32 v15, v19, v18
	;; [unrolled: 1-line block ×4, first 2 shown]
	v_cmp_eq_u64_e32 vcc_lo, 0, v[5:6]
	s_or_b32 s1, vcc_lo, s1
	s_waitcnt vmcnt(0)
	v_dot4c_i32_i8 v3, v4, v7
	v_dot4c_i32_i8 v2, v4, v15
	;; [unrolled: 1-line block ×4, first 2 shown]
	s_andn2_b32 exec_lo, exec_lo, s1
	s_cbranch_execnz .LBB68_37
; %bb.38:
	s_or_b32 exec_lo, exec_lo, s1
	v_mov_b32_e32 v4, v3
.LBB68_39:
	s_or_b32 exec_lo, exec_lo, s0
.LBB68_40:
	s_or_b32 exec_lo, exec_lo, s2
.LBB68_41:
	v_mbcnt_lo_u32_b32 v3, -1, 0
	s_mov_b32 s2, -1
	v_xor_b32_e32 v5, 16, v3
	v_xor_b32_e32 v10, 8, v3
	v_cmp_gt_i32_e32 vcc_lo, 32, v5
	v_cndmask_b32_e32 v5, v3, v5, vcc_lo
	v_cmp_gt_i32_e32 vcc_lo, 32, v10
	v_lshlrev_b32_e32 v5, 2, v5
	v_cndmask_b32_e32 v10, v3, v10, vcc_lo
	ds_bpermute_b32 v6, v5, v0
	ds_bpermute_b32 v7, v5, v1
	;; [unrolled: 1-line block ×4, first 2 shown]
	v_lshlrev_b32_e32 v10, 2, v10
	s_waitcnt lgkmcnt(3)
	v_add_nc_u32_e32 v0, v6, v0
	s_waitcnt lgkmcnt(2)
	v_add_nc_u32_e32 v1, v7, v1
	s_waitcnt lgkmcnt(1)
	v_add_nc_u32_e32 v2, v9, v2
	s_waitcnt lgkmcnt(0)
	v_add_nc_u32_e32 v4, v5, v4
	ds_bpermute_b32 v5, v10, v0
	ds_bpermute_b32 v6, v10, v1
	ds_bpermute_b32 v7, v10, v2
	ds_bpermute_b32 v9, v10, v4
	v_xor_b32_e32 v10, 4, v3
	v_cmp_gt_i32_e32 vcc_lo, 32, v10
	v_cndmask_b32_e32 v10, v3, v10, vcc_lo
	v_lshlrev_b32_e32 v10, 2, v10
	s_waitcnt lgkmcnt(3)
	v_add_nc_u32_e32 v0, v5, v0
	s_waitcnt lgkmcnt(2)
	v_add_nc_u32_e32 v1, v6, v1
	s_waitcnt lgkmcnt(1)
	v_add_nc_u32_e32 v2, v7, v2
	s_waitcnt lgkmcnt(0)
	v_add_nc_u32_e32 v4, v9, v4
	ds_bpermute_b32 v5, v10, v0
	ds_bpermute_b32 v6, v10, v1
	ds_bpermute_b32 v7, v10, v2
	ds_bpermute_b32 v9, v10, v4
	v_xor_b32_e32 v10, 2, v3
	v_cmp_gt_i32_e32 vcc_lo, 32, v10
	v_cndmask_b32_e32 v10, v3, v10, vcc_lo
	;; [unrolled: 16-line block ×3, first 2 shown]
	v_cmp_eq_u32_e32 vcc_lo, 31, v23
	v_lshlrev_b32_e32 v10, 2, v3
	s_waitcnt lgkmcnt(3)
	v_add_nc_u32_e32 v0, v5, v0
	s_waitcnt lgkmcnt(2)
	v_add_nc_u32_e32 v1, v6, v1
	;; [unrolled: 2-line block ×4, first 2 shown]
	ds_bpermute_b32 v4, v10, v0
	ds_bpermute_b32 v5, v10, v1
	;; [unrolled: 1-line block ×4, first 2 shown]
	s_and_b32 exec_lo, exec_lo, vcc_lo
	s_cbranch_execz .LBB68_14
; %bb.42:
	s_load_dwordx2 s[0:1], s[4:5], 0x50
	s_waitcnt lgkmcnt(0)
	v_add_nc_u32_e32 v0, v4, v0
	v_add_nc_u32_e32 v1, v5, v1
	;; [unrolled: 1-line block ×4, first 2 shown]
	v_lshlrev_b32_e32 v4, 2, v8
	v_mul_lo_u32 v0, v0, s17
	v_mul_lo_u32 v1, v1, s17
	;; [unrolled: 1-line block ×4, first 2 shown]
	s_cmp_eq_u32 s18, 0
	s_cbranch_scc1 .LBB68_44
; %bb.43:
	v_ashrrev_i32_e32 v5, 31, v4
	s_mov_b32 s2, 0
	v_lshlrev_b64 v[5:6], 2, v[4:5]
	v_add_co_u32 v12, vcc_lo, s0, v5
	v_add_co_ci_u32_e64 v13, null, s1, v6, vcc_lo
	global_load_dwordx4 v[5:8], v[12:13], off
	s_waitcnt vmcnt(0)
	v_mad_u64_u32 v[14:15], null, v8, s18, v[3:4]
	v_mad_u64_u32 v[8:9], null, v5, s18, v[0:1]
	v_mad_u64_u32 v[9:10], null, v6, s18, v[1:2]
	v_mad_u64_u32 v[10:11], null, v7, s18, v[2:3]
	v_mov_b32_e32 v11, v14
	global_store_dwordx4 v[12:13], v[8:11], off
.LBB68_44:
	s_andn2_b32 vcc_lo, exec_lo, s2
	s_cbranch_vccnz .LBB68_14
; %bb.45:
	v_ashrrev_i32_e32 v5, 31, v4
	v_lshlrev_b64 v[4:5], 2, v[4:5]
	v_add_co_u32 v4, vcc_lo, s0, v4
	v_add_co_ci_u32_e64 v5, null, s1, v5, vcc_lo
	global_store_dwordx4 v[4:5], v[0:3], off
	s_endpgm
	.section	.rodata,"a",@progbits
	.p2align	6, 0x0
	.amdhsa_kernel _ZN9rocsparseL18bsrxmvn_4x4_kernelILj128ELj32EiliaaiEEvT3_20rocsparse_direction_NS_24const_host_device_scalarIT1_EES1_PKS1_PKT2_SA_S7_PKT4_PKT5_S5_PT6_21rocsparse_index_base_b
		.amdhsa_group_segment_fixed_size 0
		.amdhsa_private_segment_fixed_size 0
		.amdhsa_kernarg_size 96
		.amdhsa_user_sgpr_count 6
		.amdhsa_user_sgpr_private_segment_buffer 1
		.amdhsa_user_sgpr_dispatch_ptr 0
		.amdhsa_user_sgpr_queue_ptr 0
		.amdhsa_user_sgpr_kernarg_segment_ptr 1
		.amdhsa_user_sgpr_dispatch_id 0
		.amdhsa_user_sgpr_flat_scratch_init 0
		.amdhsa_user_sgpr_private_segment_size 0
		.amdhsa_wavefront_size32 1
		.amdhsa_uses_dynamic_stack 0
		.amdhsa_system_sgpr_private_segment_wavefront_offset 0
		.amdhsa_system_sgpr_workgroup_id_x 1
		.amdhsa_system_sgpr_workgroup_id_y 0
		.amdhsa_system_sgpr_workgroup_id_z 0
		.amdhsa_system_sgpr_workgroup_info 0
		.amdhsa_system_vgpr_workitem_id 0
		.amdhsa_next_free_vgpr 56
		.amdhsa_next_free_sgpr 19
		.amdhsa_reserve_vcc 1
		.amdhsa_reserve_flat_scratch 0
		.amdhsa_float_round_mode_32 0
		.amdhsa_float_round_mode_16_64 0
		.amdhsa_float_denorm_mode_32 3
		.amdhsa_float_denorm_mode_16_64 3
		.amdhsa_dx10_clamp 1
		.amdhsa_ieee_mode 1
		.amdhsa_fp16_overflow 0
		.amdhsa_workgroup_processor_mode 1
		.amdhsa_memory_ordered 1
		.amdhsa_forward_progress 1
		.amdhsa_shared_vgpr_count 0
		.amdhsa_exception_fp_ieee_invalid_op 0
		.amdhsa_exception_fp_denorm_src 0
		.amdhsa_exception_fp_ieee_div_zero 0
		.amdhsa_exception_fp_ieee_overflow 0
		.amdhsa_exception_fp_ieee_underflow 0
		.amdhsa_exception_fp_ieee_inexact 0
		.amdhsa_exception_int_div_zero 0
	.end_amdhsa_kernel
	.section	.text._ZN9rocsparseL18bsrxmvn_4x4_kernelILj128ELj32EiliaaiEEvT3_20rocsparse_direction_NS_24const_host_device_scalarIT1_EES1_PKS1_PKT2_SA_S7_PKT4_PKT5_S5_PT6_21rocsparse_index_base_b,"axG",@progbits,_ZN9rocsparseL18bsrxmvn_4x4_kernelILj128ELj32EiliaaiEEvT3_20rocsparse_direction_NS_24const_host_device_scalarIT1_EES1_PKS1_PKT2_SA_S7_PKT4_PKT5_S5_PT6_21rocsparse_index_base_b,comdat
.Lfunc_end68:
	.size	_ZN9rocsparseL18bsrxmvn_4x4_kernelILj128ELj32EiliaaiEEvT3_20rocsparse_direction_NS_24const_host_device_scalarIT1_EES1_PKS1_PKT2_SA_S7_PKT4_PKT5_S5_PT6_21rocsparse_index_base_b, .Lfunc_end68-_ZN9rocsparseL18bsrxmvn_4x4_kernelILj128ELj32EiliaaiEEvT3_20rocsparse_direction_NS_24const_host_device_scalarIT1_EES1_PKS1_PKT2_SA_S7_PKT4_PKT5_S5_PT6_21rocsparse_index_base_b
                                        ; -- End function
	.set _ZN9rocsparseL18bsrxmvn_4x4_kernelILj128ELj32EiliaaiEEvT3_20rocsparse_direction_NS_24const_host_device_scalarIT1_EES1_PKS1_PKT2_SA_S7_PKT4_PKT5_S5_PT6_21rocsparse_index_base_b.num_vgpr, 56
	.set _ZN9rocsparseL18bsrxmvn_4x4_kernelILj128ELj32EiliaaiEEvT3_20rocsparse_direction_NS_24const_host_device_scalarIT1_EES1_PKS1_PKT2_SA_S7_PKT4_PKT5_S5_PT6_21rocsparse_index_base_b.num_agpr, 0
	.set _ZN9rocsparseL18bsrxmvn_4x4_kernelILj128ELj32EiliaaiEEvT3_20rocsparse_direction_NS_24const_host_device_scalarIT1_EES1_PKS1_PKT2_SA_S7_PKT4_PKT5_S5_PT6_21rocsparse_index_base_b.numbered_sgpr, 19
	.set _ZN9rocsparseL18bsrxmvn_4x4_kernelILj128ELj32EiliaaiEEvT3_20rocsparse_direction_NS_24const_host_device_scalarIT1_EES1_PKS1_PKT2_SA_S7_PKT4_PKT5_S5_PT6_21rocsparse_index_base_b.num_named_barrier, 0
	.set _ZN9rocsparseL18bsrxmvn_4x4_kernelILj128ELj32EiliaaiEEvT3_20rocsparse_direction_NS_24const_host_device_scalarIT1_EES1_PKS1_PKT2_SA_S7_PKT4_PKT5_S5_PT6_21rocsparse_index_base_b.private_seg_size, 0
	.set _ZN9rocsparseL18bsrxmvn_4x4_kernelILj128ELj32EiliaaiEEvT3_20rocsparse_direction_NS_24const_host_device_scalarIT1_EES1_PKS1_PKT2_SA_S7_PKT4_PKT5_S5_PT6_21rocsparse_index_base_b.uses_vcc, 1
	.set _ZN9rocsparseL18bsrxmvn_4x4_kernelILj128ELj32EiliaaiEEvT3_20rocsparse_direction_NS_24const_host_device_scalarIT1_EES1_PKS1_PKT2_SA_S7_PKT4_PKT5_S5_PT6_21rocsparse_index_base_b.uses_flat_scratch, 0
	.set _ZN9rocsparseL18bsrxmvn_4x4_kernelILj128ELj32EiliaaiEEvT3_20rocsparse_direction_NS_24const_host_device_scalarIT1_EES1_PKS1_PKT2_SA_S7_PKT4_PKT5_S5_PT6_21rocsparse_index_base_b.has_dyn_sized_stack, 0
	.set _ZN9rocsparseL18bsrxmvn_4x4_kernelILj128ELj32EiliaaiEEvT3_20rocsparse_direction_NS_24const_host_device_scalarIT1_EES1_PKS1_PKT2_SA_S7_PKT4_PKT5_S5_PT6_21rocsparse_index_base_b.has_recursion, 0
	.set _ZN9rocsparseL18bsrxmvn_4x4_kernelILj128ELj32EiliaaiEEvT3_20rocsparse_direction_NS_24const_host_device_scalarIT1_EES1_PKS1_PKT2_SA_S7_PKT4_PKT5_S5_PT6_21rocsparse_index_base_b.has_indirect_call, 0
	.section	.AMDGPU.csdata,"",@progbits
; Kernel info:
; codeLenInByte = 4012
; TotalNumSgprs: 21
; NumVgprs: 56
; ScratchSize: 0
; MemoryBound: 0
; FloatMode: 240
; IeeeMode: 1
; LDSByteSize: 0 bytes/workgroup (compile time only)
; SGPRBlocks: 0
; VGPRBlocks: 6
; NumSGPRsForWavesPerEU: 21
; NumVGPRsForWavesPerEU: 56
; Occupancy: 16
; WaveLimiterHint : 1
; COMPUTE_PGM_RSRC2:SCRATCH_EN: 0
; COMPUTE_PGM_RSRC2:USER_SGPR: 6
; COMPUTE_PGM_RSRC2:TRAP_HANDLER: 0
; COMPUTE_PGM_RSRC2:TGID_X_EN: 1
; COMPUTE_PGM_RSRC2:TGID_Y_EN: 0
; COMPUTE_PGM_RSRC2:TGID_Z_EN: 0
; COMPUTE_PGM_RSRC2:TIDIG_COMP_CNT: 0
	.section	.text._ZN9rocsparseL18bsrxmvn_4x4_kernelILj128ELj64EiliaaiEEvT3_20rocsparse_direction_NS_24const_host_device_scalarIT1_EES1_PKS1_PKT2_SA_S7_PKT4_PKT5_S5_PT6_21rocsparse_index_base_b,"axG",@progbits,_ZN9rocsparseL18bsrxmvn_4x4_kernelILj128ELj64EiliaaiEEvT3_20rocsparse_direction_NS_24const_host_device_scalarIT1_EES1_PKS1_PKT2_SA_S7_PKT4_PKT5_S5_PT6_21rocsparse_index_base_b,comdat
	.globl	_ZN9rocsparseL18bsrxmvn_4x4_kernelILj128ELj64EiliaaiEEvT3_20rocsparse_direction_NS_24const_host_device_scalarIT1_EES1_PKS1_PKT2_SA_S7_PKT4_PKT5_S5_PT6_21rocsparse_index_base_b ; -- Begin function _ZN9rocsparseL18bsrxmvn_4x4_kernelILj128ELj64EiliaaiEEvT3_20rocsparse_direction_NS_24const_host_device_scalarIT1_EES1_PKS1_PKT2_SA_S7_PKT4_PKT5_S5_PT6_21rocsparse_index_base_b
	.p2align	8
	.type	_ZN9rocsparseL18bsrxmvn_4x4_kernelILj128ELj64EiliaaiEEvT3_20rocsparse_direction_NS_24const_host_device_scalarIT1_EES1_PKS1_PKT2_SA_S7_PKT4_PKT5_S5_PT6_21rocsparse_index_base_b,@function
_ZN9rocsparseL18bsrxmvn_4x4_kernelILj128ELj64EiliaaiEEvT3_20rocsparse_direction_NS_24const_host_device_scalarIT1_EES1_PKS1_PKT2_SA_S7_PKT4_PKT5_S5_PT6_21rocsparse_index_base_b: ; @_ZN9rocsparseL18bsrxmvn_4x4_kernelILj128ELj64EiliaaiEEvT3_20rocsparse_direction_NS_24const_host_device_scalarIT1_EES1_PKS1_PKT2_SA_S7_PKT4_PKT5_S5_PT6_21rocsparse_index_base_b
; %bb.0:
	s_clause 0x1
	s_load_dwordx2 s[16:17], s[4:5], 0x58
	s_load_dwordx2 s[2:3], s[4:5], 0x8
	s_mov_b32 s8, -1
	s_waitcnt lgkmcnt(0)
	s_bitcmp1_b32 s17, 0
                                        ; implicit-def: $sgpr17
	s_cselect_b32 s0, -1, 0
	s_xor_b32 s7, s0, -1
	s_and_b32 vcc_lo, exec_lo, s7
	s_cbranch_vccnz .LBB69_4
; %bb.1:
	s_load_dwordx2 s[0:1], s[4:5], 0x48
	s_andn2_b32 vcc_lo, exec_lo, s8
	s_cbranch_vccz .LBB69_5
.LBB69_2:
	s_and_b32 vcc_lo, exec_lo, s7
	s_cbranch_vccz .LBB69_6
.LBB69_3:
	s_waitcnt lgkmcnt(0)
	s_load_dword s18, s[0:1], 0x0
	s_cbranch_execz .LBB69_7
	s_branch .LBB69_8
.LBB69_4:
	s_load_dword s17, s[2:3], 0x0
	s_load_dwordx2 s[0:1], s[4:5], 0x48
	s_cbranch_execnz .LBB69_2
.LBB69_5:
	s_waitcnt lgkmcnt(0)
	s_mov_b32 s17, s2
	s_and_b32 vcc_lo, exec_lo, s7
	s_cbranch_vccnz .LBB69_3
.LBB69_6:
	s_waitcnt lgkmcnt(0)
                                        ; implicit-def: $sgpr18
.LBB69_7:
	s_waitcnt lgkmcnt(0)
	s_mov_b32 s18, s0
.LBB69_8:
	s_cmp_lg_u32 s17, 0
	s_mov_b32 s7, 0
	s_cselect_b32 s0, -1, 0
	s_waitcnt lgkmcnt(0)
	s_cmp_lg_u32 s18, 1
	s_cselect_b32 s1, -1, 0
	s_or_b32 s0, s0, s1
	s_andn2_b32 vcc_lo, exec_lo, s0
	s_cbranch_vccnz .LBB69_14
; %bb.9:
	s_clause 0x1
	s_load_dwordx2 s[2:3], s[4:5], 0x18
	s_load_dwordx2 s[0:1], s[4:5], 0x0
	v_lshrrev_b32_e32 v1, 6, v0
	v_lshl_or_b32 v8, s6, 1, v1
	s_waitcnt lgkmcnt(0)
	s_cmp_lg_u64 s[2:3], 0
	s_cbranch_scc0 .LBB69_15
; %bb.10:
	s_load_dword s6, s[4:5], 0x10
                                        ; implicit-def: $vgpr1
	s_waitcnt lgkmcnt(0)
	v_cmp_gt_i32_e32 vcc_lo, s6, v8
	s_mov_b32 s6, 0
	s_and_saveexec_b32 s8, vcc_lo
	s_xor_b32 s8, exec_lo, s8
	s_cbranch_execz .LBB69_12
; %bb.11:
	v_ashrrev_i32_e32 v9, 31, v8
	s_mov_b32 s7, exec_lo
	v_lshlrev_b64 v[1:2], 2, v[8:9]
	v_add_co_u32 v1, vcc_lo, s2, v1
	v_add_co_ci_u32_e64 v2, null, s3, v2, vcc_lo
	global_load_dword v1, v[1:2], off
	s_waitcnt vmcnt(0)
	v_subrev_nc_u32_e32 v1, s16, v1
.LBB69_12:
	s_or_b32 exec_lo, exec_lo, s8
	s_and_b32 vcc_lo, exec_lo, s6
	s_cbranch_vccz .LBB69_16
.LBB69_13:
	v_cmp_gt_i32_e32 vcc_lo, s0, v8
	s_andn2_b32 s0, s7, exec_lo
	s_and_b32 s2, vcc_lo, exec_lo
	s_or_b32 s7, s0, s2
	s_and_saveexec_b32 s0, s7
	s_cbranch_execnz .LBB69_17
.LBB69_14:
	s_endpgm
.LBB69_15:
                                        ; implicit-def: $vgpr1
	s_cbranch_execnz .LBB69_13
.LBB69_16:
	v_mov_b32_e32 v8, v1
	s_and_saveexec_b32 s0, s7
	s_cbranch_execz .LBB69_14
.LBB69_17:
	s_load_dwordx8 s[8:15], s[4:5], 0x20
	v_ashrrev_i32_e32 v9, 31, v8
	v_and_b32_e32 v23, 63, v0
	s_load_dwordx2 s[6:7], s[4:5], 0x40
	v_lshlrev_b64 v[1:2], 3, v[8:9]
	s_waitcnt lgkmcnt(0)
	v_add_co_u32 v3, vcc_lo, s8, v1
	v_add_co_ci_u32_e64 v4, null, s9, v2, vcc_lo
	v_add_co_u32 v1, vcc_lo, s10, v1
	v_add_co_ci_u32_e64 v2, null, s11, v2, vcc_lo
	v_add_co_u32 v5, vcc_lo, v3, 8
	global_load_dwordx2 v[13:14], v[3:4], off
	v_add_co_ci_u32_e64 v6, null, 0, v4, vcc_lo
	s_cmp_eq_u64 s[10:11], 0
	v_mov_b32_e32 v4, 0
	s_cselect_b32 vcc_lo, -1, 0
	s_cmp_eq_u32 s1, 1
	v_cndmask_b32_e32 v2, v2, v6, vcc_lo
	v_cndmask_b32_e32 v1, v1, v5, vcc_lo
	global_load_dwordx2 v[1:2], v[1:2], off
	s_waitcnt vmcnt(1)
	v_sub_co_u32 v0, vcc_lo, v13, s16
	v_subrev_co_ci_u32_e64 v3, null, 0, v14, vcc_lo
	v_add_co_u32 v11, vcc_lo, v0, v23
	v_add_co_ci_u32_e64 v12, null, 0, v3, vcc_lo
	s_waitcnt vmcnt(0)
	v_sub_co_u32 v15, vcc_lo, v1, s16
	v_lshlrev_b64 v[0:1], 4, v[11:12]
	v_subrev_co_ci_u32_e64 v16, null, 0, v2, vcc_lo
	v_add_co_u32 v9, vcc_lo, s14, v0
	v_cmp_lt_i64_e64 s0, v[11:12], v[15:16]
	v_add_co_ci_u32_e64 v10, null, s15, v1, vcc_lo
	s_cbranch_scc1 .LBB69_29
; %bb.18:
	v_mov_b32_e32 v2, 0
	v_mov_b32_e32 v1, 0
	;; [unrolled: 1-line block ×3, first 2 shown]
	s_and_saveexec_b32 s3, s0
	s_cbranch_execz .LBB69_28
; %bb.19:
	v_or_b32_e32 v0, 64, v23
	v_not_b32_e32 v3, v13
	v_not_b32_e32 v2, v14
	v_mov_b32_e32 v18, v12
	v_mov_b32_e32 v17, v11
	v_sub_co_u32 v0, s1, v0, s16
	v_sub_co_ci_u32_e64 v1, null, 0, 0, s1
	v_sub_co_u32 v4, s1, s16, v23
	v_add_co_u32 v0, vcc_lo, v0, v13
	v_add_co_ci_u32_e64 v1, null, v1, v14, vcc_lo
	v_sub_co_ci_u32_e64 v5, null, 0, 0, s1
	s_mov_b32 s9, 0
	v_cmp_gt_i64_e32 vcc_lo, v[0:1], v[15:16]
	v_cndmask_b32_e32 v1, v16, v1, vcc_lo
	v_cndmask_b32_e32 v0, v15, v0, vcc_lo
	v_add_co_u32 v3, vcc_lo, v4, v3
	v_add_co_ci_u32_e64 v2, null, v5, v2, vcc_lo
	v_mov_b32_e32 v4, 0
	v_add_co_u32 v19, vcc_lo, v3, v0
	v_add_co_ci_u32_e64 v20, null, v2, v1, vcc_lo
	v_mov_b32_e32 v5, v4
	v_mov_b32_e32 v6, v4
	;; [unrolled: 1-line block ×3, first 2 shown]
	v_lshrrev_b64 v[21:22], 6, v[19:20]
	v_mov_b32_e32 v0, v4
	v_mov_b32_e32 v1, v5
	;; [unrolled: 1-line block ×4, first 2 shown]
	v_cmp_lt_u64_e32 vcc_lo, 0xbf, v[19:20]
	v_add_co_u32 v7, s1, v21, 1
	v_mov_b32_e32 v5, v9
	v_add_co_ci_u32_e64 v20, null, 0, v22, s1
	v_mov_b32_e32 v6, v10
	s_and_saveexec_b32 s8, vcc_lo
	s_cbranch_execz .LBB69_23
; %bb.20:
	v_lshlrev_b64 v[0:1], 2, v[11:12]
	v_mov_b32_e32 v5, v9
	v_mov_b32_e32 v18, v12
	v_and_b32_e32 v19, -4, v7
	v_mov_b32_e32 v2, 0
	v_mov_b32_e32 v6, v10
	v_add_co_u32 v0, vcc_lo, s12, v0
	v_add_co_ci_u32_e64 v3, null, s13, v1, vcc_lo
	v_mov_b32_e32 v1, 0
	v_add_co_u32 v21, vcc_lo, 0x200, v0
	v_add_co_ci_u32_e64 v22, null, 0, v3, vcc_lo
	v_mov_b32_e32 v0, 0
	v_mov_b32_e32 v17, v11
.LBB69_21:                              ; =>This Inner Loop Header: Depth=1
	s_clause 0x3
	global_load_dword v3, v[21:22], off offset:-512
	global_load_dword v38, v[21:22], off offset:-256
	global_load_dword v39, v[21:22], off
	global_load_dword v40, v[21:22], off offset:256
	v_add_co_u32 v36, vcc_lo, 0x800, v5
	v_add_co_ci_u32_e64 v37, null, 0, v6, vcc_lo
	s_clause 0x2
	global_load_dwordx4 v[24:27], v[5:6], off
	global_load_dwordx4 v[28:31], v[5:6], off offset:1024
	global_load_dwordx4 v[32:35], v[36:37], off
	s_waitcnt vmcnt(6)
	v_subrev_nc_u32_e32 v3, s16, v3
	s_waitcnt vmcnt(5)
	v_subrev_nc_u32_e32 v38, s16, v38
	;; [unrolled: 2-line block ×4, first 2 shown]
	v_lshlrev_b32_e32 v3, 2, v3
	v_lshlrev_b32_e32 v38, 2, v38
	;; [unrolled: 1-line block ×3, first 2 shown]
	s_waitcnt vmcnt(0)
	v_bfe_i32 v47, v35, 8, 8
	v_ashrrev_i32_e32 v41, 31, v3
	v_ashrrev_i32_e32 v45, 31, v38
	;; [unrolled: 1-line block ×3, first 2 shown]
	v_add_co_u32 v42, s2, s6, v3
	v_add_co_u32 v38, vcc_lo, s6, v38
	v_add_co_u32 v40, s1, s6, v39
	v_add_co_ci_u32_e64 v43, null, s7, v41, s2
	v_add_co_ci_u32_e64 v39, null, s7, v45, vcc_lo
	v_add_co_ci_u32_e64 v41, null, s7, v46, s1
	s_clause 0x2
	global_load_dword v3, v[42:43], off
	global_load_dword v42, v[38:39], off
	;; [unrolled: 1-line block ×3, first 2 shown]
	v_lshlrev_b32_e32 v38, 2, v44
	v_ashrrev_i32_e32 v44, 24, v27
	v_lshrrev_b16 v46, 8, v31
	v_bfe_i32 v45, v27, 0, 8
	v_ashrrev_i32_e32 v39, 31, v38
	v_add_co_u32 v40, vcc_lo, s6, v38
	v_add_co_ci_u32_e64 v41, null, s7, v39, vcc_lo
	global_load_dwordx4 v[36:39], v[36:37], off offset:1024
	global_load_dword v40, v[40:41], off
	v_lshrrev_b16 v41, 8, v27
	v_bfe_i32 v27, v27, 16, 8
	v_add_co_u32 v5, vcc_lo, 0x1000, v5
	v_add_co_ci_u32_e64 v6, null, 0, v6, vcc_lo
	v_add_co_u32 v17, vcc_lo, 0x100, v17
	v_add_co_ci_u32_e64 v18, null, 0, v18, vcc_lo
	v_add_co_u32 v19, vcc_lo, v19, -4
	v_add_co_ci_u32_e64 v20, null, -1, v20, vcc_lo
	v_add_co_u32 v21, vcc_lo, 0x400, v21
	v_add_co_ci_u32_e64 v22, null, 0, v22, vcc_lo
	v_cmp_eq_u64_e32 vcc_lo, 0, v[19:20]
	s_or_b32 s9, vcc_lo, s9
	s_waitcnt vmcnt(4)
	v_lshrrev_b16 v48, 8, v3
	v_ashrrev_i32_e32 v49, 24, v3
	v_bfe_i32 v50, v3, 0, 8
	v_bfe_i32 v51, v3, 16, 8
	v_dot4c_i32_i8 v0, v3, v24
	v_dot4c_i32_i8 v1, v3, v25
	;; [unrolled: 1-line block ×3, first 2 shown]
	s_waitcnt vmcnt(3)
	v_lshrrev_b16 v3, 8, v42
	v_mul_i32_i24_sdwa v25, sext(v31), sext(v42) dst_sel:DWORD dst_unused:UNUSED_PAD src0_sel:BYTE_3 src1_sel:BYTE_3
	v_mul_i32_i24_sdwa v24, sext(v31), sext(v42) dst_sel:DWORD dst_unused:UNUSED_PAD src0_sel:BYTE_0 src1_sel:BYTE_0
	v_mul_i32_i24_sdwa v26, sext(v31), sext(v42) dst_sel:DWORD dst_unused:UNUSED_PAD src0_sel:BYTE_2 src1_sel:BYTE_2
	v_mul_i32_i24_sdwa v41, sext(v41), sext(v48) dst_sel:DWORD dst_unused:UNUSED_PAD src0_sel:BYTE_0 src1_sel:BYTE_0
	v_mul_i32_i24_sdwa v3, sext(v46), sext(v3) dst_sel:DWORD dst_unused:UNUSED_PAD src0_sel:BYTE_0 src1_sel:BYTE_0
	v_mad_i32_i24 v25, v44, v49, v25
	s_waitcnt vmcnt(2)
	v_bfe_i32 v31, v43, 8, 8
	v_mul_i32_i24_sdwa v44, sext(v35), sext(v43) dst_sel:DWORD dst_unused:UNUSED_PAD src0_sel:BYTE_2 src1_sel:BYTE_2
	v_mad_i32_i24 v26, v27, v51, v26
	v_mad_i32_i24 v24, v45, v50, v24
	v_add3_u32 v3, v41, v3, v25
	v_mul_i32_i24_sdwa v25, sext(v43), sext(v35) dst_sel:DWORD dst_unused:UNUSED_PAD src0_sel:BYTE_0 src1_sel:BYTE_0
	v_mad_i32_i24 v31, v31, v47, v44
	v_mul_i32_i24_sdwa v27, sext(v35), sext(v43) dst_sel:DWORD dst_unused:UNUSED_PAD src0_sel:BYTE_3 src1_sel:BYTE_3
	v_dot4c_i32_i8 v0, v42, v28
	v_add3_u32 v3, v24, v26, v3
	v_dot4c_i32_i8 v2, v42, v30
	v_dot4c_i32_i8 v1, v42, v29
	;; [unrolled: 1-line block ×3, first 2 shown]
	v_add3_u32 v3, v3, v25, v31
	v_dot4c_i32_i8 v2, v34, v43
	v_dot4c_i32_i8 v1, v33, v43
	s_waitcnt vmcnt(0)
	v_dot4c_i32_i8 v0, v40, v36
	v_add3_u32 v4, v3, v4, v27
	v_dot4c_i32_i8 v2, v40, v38
	v_dot4c_i32_i8 v1, v40, v37
	;; [unrolled: 1-line block ×3, first 2 shown]
	s_andn2_b32 exec_lo, exec_lo, s9
	s_cbranch_execnz .LBB69_21
; %bb.22:
	s_or_b32 exec_lo, exec_lo, s9
	v_mov_b32_e32 v3, v4
.LBB69_23:
	s_or_b32 exec_lo, exec_lo, s8
	v_and_b32_e32 v19, 3, v7
	v_mov_b32_e32 v20, 0
	s_mov_b32 s1, exec_lo
	v_cmpx_ne_u64_e32 0, v[19:20]
	s_cbranch_execz .LBB69_27
; %bb.24:
	v_lshlrev_b64 v[17:18], 2, v[17:18]
	v_lshlrev_b32_e32 v19, 2, v19
	s_mov_b32 s2, 0
	v_add_co_u32 v17, vcc_lo, s12, v17
	v_add_co_ci_u32_e64 v18, null, s13, v18, vcc_lo
	s_inst_prefetch 0x1
	.p2align	6
.LBB69_25:                              ; =>This Inner Loop Header: Depth=1
	global_load_dword v4, v[17:18], off
	s_waitcnt vmcnt(0)
	v_subrev_nc_u32_e32 v4, s16, v4
	v_lshlrev_b32_e32 v4, 2, v4
	v_ashrrev_i32_e32 v7, 31, v4
	v_add_co_u32 v21, vcc_lo, s6, v4
	v_add_co_ci_u32_e64 v22, null, s7, v7, vcc_lo
	global_load_dwordx4 v[24:27], v[5:6], off
	global_load_dword v4, v[21:22], off
	v_add_co_u32 v5, vcc_lo, 0x400, v5
	v_add_co_ci_u32_e64 v6, null, 0, v6, vcc_lo
	v_add_co_u32 v19, vcc_lo, v19, -4
	v_add_co_ci_u32_e64 v20, null, -1, v20, vcc_lo
	v_add_co_u32 v17, vcc_lo, 0x100, v17
	v_add_co_ci_u32_e64 v18, null, 0, v18, vcc_lo
	v_cmp_eq_u64_e32 vcc_lo, 0, v[19:20]
	s_or_b32 s2, vcc_lo, s2
	s_waitcnt vmcnt(0)
	v_dot4c_i32_i8 v3, v4, v27
	v_dot4c_i32_i8 v2, v4, v26
	;; [unrolled: 1-line block ×4, first 2 shown]
	s_andn2_b32 exec_lo, exec_lo, s2
	s_cbranch_execnz .LBB69_25
; %bb.26:
	s_inst_prefetch 0x2
	s_or_b32 exec_lo, exec_lo, s2
	v_mov_b32_e32 v4, v3
.LBB69_27:
	s_or_b32 exec_lo, exec_lo, s1
.LBB69_28:
	s_or_b32 exec_lo, exec_lo, s3
	s_cbranch_execz .LBB69_30
	s_branch .LBB69_41
.LBB69_29:
                                        ; implicit-def: $vgpr4
                                        ; implicit-def: $vgpr2
.LBB69_30:
	v_mov_b32_e32 v4, 0
	v_mov_b32_e32 v2, 0
	v_mov_b32_e32 v1, 0
	v_mov_b32_e32 v0, 0
	s_and_saveexec_b32 s2, s0
	s_cbranch_execz .LBB69_40
; %bb.31:
	v_or_b32_e32 v0, 64, v23
	v_not_b32_e32 v3, v13
	v_not_b32_e32 v2, v14
	s_mov_b32 s8, 0
	v_sub_co_u32 v0, s0, v0, s16
	v_sub_co_ci_u32_e64 v1, null, 0, 0, s0
	v_sub_co_u32 v4, s0, s16, v23
	v_add_co_u32 v0, vcc_lo, v0, v13
	v_add_co_ci_u32_e64 v1, null, v1, v14, vcc_lo
	v_sub_co_ci_u32_e64 v5, null, 0, 0, s0
	v_cmp_gt_i64_e32 vcc_lo, v[0:1], v[15:16]
	v_cndmask_b32_e32 v1, v16, v1, vcc_lo
	v_cndmask_b32_e32 v0, v15, v0, vcc_lo
	v_add_co_u32 v3, vcc_lo, v4, v3
	v_add_co_ci_u32_e64 v2, null, v5, v2, vcc_lo
	v_mov_b32_e32 v4, 0
	v_add_co_u32 v0, vcc_lo, v3, v0
	v_add_co_ci_u32_e64 v1, null, v2, v1, vcc_lo
	v_mov_b32_e32 v5, v4
	v_mov_b32_e32 v6, v4
	;; [unrolled: 1-line block ×3, first 2 shown]
	v_lshrrev_b64 v[2:3], 6, v[0:1]
	v_cmp_lt_u64_e32 vcc_lo, 0xbf, v[0:1]
	v_add_co_u32 v15, s0, v2, 1
	v_add_co_ci_u32_e64 v14, null, 0, v3, s0
	v_mov_b32_e32 v0, v4
	v_mov_b32_e32 v1, v5
	;; [unrolled: 1-line block ×4, first 2 shown]
	s_and_saveexec_b32 s3, vcc_lo
	s_cbranch_execz .LBB69_35
; %bb.32:
	v_lshlrev_b64 v[0:1], 2, v[11:12]
	v_and_b32_e32 v13, -4, v15
	v_mov_b32_e32 v2, 0
	v_add_co_u32 v0, vcc_lo, s12, v0
	v_add_co_ci_u32_e64 v3, null, s13, v1, vcc_lo
	v_mov_b32_e32 v1, 0
	v_add_co_u32 v5, vcc_lo, 0x200, v0
	v_add_co_ci_u32_e64 v6, null, 0, v3, vcc_lo
	v_mov_b32_e32 v0, 0
.LBB69_33:                              ; =>This Inner Loop Header: Depth=1
	s_clause 0x3
	global_load_dword v3, v[5:6], off offset:-512
	global_load_dword v7, v[5:6], off offset:-256
	global_load_dword v22, v[5:6], off
	global_load_dword v32, v[5:6], off offset:256
	v_add_co_u32 v20, vcc_lo, 0x800, v9
	v_add_co_ci_u32_e64 v21, null, 0, v10, vcc_lo
	s_clause 0x2
	global_load_dwordx4 v[16:19], v[9:10], off
	global_load_dwordx4 v[24:27], v[9:10], off offset:1024
	global_load_dwordx4 v[28:31], v[20:21], off
	s_waitcnt vmcnt(6)
	v_subrev_nc_u32_e32 v3, s16, v3
	s_waitcnt vmcnt(5)
	v_subrev_nc_u32_e32 v7, s16, v7
	;; [unrolled: 2-line block ×4, first 2 shown]
	v_lshlrev_b32_e32 v3, 2, v3
	v_lshlrev_b32_e32 v7, 2, v7
	;; [unrolled: 1-line block ×4, first 2 shown]
	s_waitcnt vmcnt(2)
	v_perm_b32 v39, v18, v17, 0xc06020c
	v_ashrrev_i32_e32 v33, 31, v3
	v_ashrrev_i32_e32 v35, 31, v7
	v_add_co_u32 v32, vcc_lo, s6, v7
	v_ashrrev_i32_e32 v7, 31, v22
	v_add_co_u32 v36, s1, s6, v3
	v_add_co_u32 v34, s0, s6, v22
	v_add_co_ci_u32_e64 v37, null, s7, v33, s1
	v_add_co_ci_u32_e64 v33, null, s7, v35, vcc_lo
	v_add_co_ci_u32_e64 v35, null, s7, v7, s0
	s_clause 0x2
	global_load_dword v3, v[36:37], off
	global_load_dword v7, v[32:33], off
	;; [unrolled: 1-line block ×3, first 2 shown]
	global_load_dwordx4 v[32:35], v[20:21], off offset:1024
	v_ashrrev_i32_e32 v21, 31, v38
	v_add_co_u32 v20, vcc_lo, s6, v38
	v_perm_b32 v36, v16, v16, 0xc0c0c00
	v_perm_b32 v37, v18, v17, 0xc05010c
	v_add_co_ci_u32_e64 v21, null, s7, v21, vcc_lo
	v_perm_b32 v38, v16, v16, 0xc0c0c01
	v_perm_b32 v40, v16, v16, 0xc0c0c02
	;; [unrolled: 1-line block ×3, first 2 shown]
	global_load_dword v20, v[20:21], off
	v_perm_b32 v21, v18, v17, 0xc04000c
	v_perm_b32 v17, v18, v17, 0xc07030c
	s_waitcnt vmcnt(6)
	v_perm_b32 v18, v24, v19, 0xc0c0400
	v_perm_b32 v41, v26, v25, 0x4000c0c
	;; [unrolled: 1-line block ×8, first 2 shown]
	v_or_b32_e32 v25, v37, v38
	v_or_b32_e32 v26, v39, v40
	;; [unrolled: 1-line block ×6, first 2 shown]
	s_waitcnt vmcnt(5)
	v_lshrrev_b32_e32 v24, 16, v31
	v_perm_b32 v37, v30, v29, 0x4000c0c
	v_perm_b32 v38, v28, v27, 0xc0c0400
	;; [unrolled: 1-line block ×8, first 2 shown]
	v_or_b32_e32 v21, v21, v36
	v_or_b32_e32 v36, v45, v44
	v_ashrrev_i16 v28, 8, v31
	v_bfe_i32 v30, v31, 0, 8
	v_or_b32_e32 v27, v29, v27
	v_ashrrev_i16 v29, 8, v24
	v_bfe_i32 v24, v24, 0, 8
	v_add_co_u32 v9, vcc_lo, 0x1000, v9
	v_perm_b32 v28, v28, v30, 0x5040100
	v_add_co_ci_u32_e64 v10, null, 0, v10, vcc_lo
	v_perm_b32 v24, v29, v24, 0x5040100
	v_add_co_u32 v11, vcc_lo, 0x100, v11
	v_add_co_ci_u32_e64 v12, null, 0, v12, vcc_lo
	v_add_co_u32 v13, vcc_lo, v13, -4
	v_add_co_ci_u32_e64 v14, null, -1, v14, vcc_lo
	v_add_co_u32 v5, vcc_lo, 0x400, v5
	v_add_co_ci_u32_e64 v6, null, 0, v6, vcc_lo
	v_cmp_eq_u64_e32 vcc_lo, 0, v[13:14]
	s_or_b32 s8, vcc_lo, s8
	s_waitcnt vmcnt(4)
	v_perm_b32 v29, v3, v3, 0xc020100
	s_waitcnt vmcnt(3)
	v_perm_b32 v3, v7, v3, 0x6050403
	;; [unrolled: 2-line block ×4, first 2 shown]
	v_perm_b32 v43, v35, v34, 0x7030c0c
	v_perm_b32 v44, v33, v32, 0xc0c0602
	;; [unrolled: 1-line block ×7, first 2 shown]
	v_or_b32_e32 v35, v39, v40
	v_lshrrev_b32_e32 v39, 24, v22
	v_dot4c_i32_i8 v0, v29, v21
	v_dot4c_i32_i8 v4, v16, v29
	;; [unrolled: 1-line block ×4, first 2 shown]
	v_or_b32_e32 v34, v37, v38
	v_or_b32_e32 v37, v41, v42
	v_bfe_i32 v16, v39, 0, 8
	v_dot4c_i32_i8 v0, v3, v17
	v_dot4c_i32_i8 v4, v19, v3
	;; [unrolled: 1-line block ×4, first 2 shown]
	v_pk_mul_lo_u16 v3, v16, v28 op_sel_hi:[0,1]
	v_pk_mul_lo_u16 v16, v16, v24 op_sel_hi:[0,1]
	v_dot4c_i32_i8 v4, v27, v7
	v_dot4c_i32_i8 v2, v37, v7
	;; [unrolled: 1-line block ×4, first 2 shown]
	v_or_b32_e32 v30, v43, v31
	v_or_b32_e32 v31, v45, v44
	;; [unrolled: 1-line block ×4, first 2 shown]
	v_add_nc_u32_sdwa v4, v4, sext(v16) dst_sel:DWORD dst_unused:UNUSED_PAD src0_sel:DWORD src1_sel:WORD_1
	v_add_nc_u32_sdwa v2, v2, sext(v16) dst_sel:DWORD dst_unused:UNUSED_PAD src0_sel:DWORD src1_sel:WORD_0
	v_add_nc_u32_sdwa v1, v1, sext(v3) dst_sel:DWORD dst_unused:UNUSED_PAD src0_sel:DWORD src1_sel:WORD_1
	v_add_nc_u32_sdwa v0, v0, sext(v3) dst_sel:DWORD dst_unused:UNUSED_PAD src0_sel:DWORD src1_sel:WORD_0
	s_waitcnt vmcnt(0)
	v_dot4c_i32_i8 v4, v20, v30
	v_dot4c_i32_i8 v2, v20, v31
	;; [unrolled: 1-line block ×4, first 2 shown]
	s_andn2_b32 exec_lo, exec_lo, s8
	s_cbranch_execnz .LBB69_33
; %bb.34:
	s_or_b32 exec_lo, exec_lo, s8
	v_mov_b32_e32 v3, v4
.LBB69_35:
	s_or_b32 exec_lo, exec_lo, s3
	v_and_b32_e32 v5, 3, v15
	v_mov_b32_e32 v6, 0
	s_mov_b32 s0, exec_lo
	v_cmpx_ne_u64_e32 0, v[5:6]
	s_cbranch_execz .LBB69_39
; %bb.36:
	v_lshlrev_b64 v[11:12], 2, v[11:12]
	v_lshlrev_b32_e32 v5, 2, v5
	s_mov_b32 s1, 0
	v_add_co_u32 v11, vcc_lo, s12, v11
	v_add_co_ci_u32_e64 v12, null, s13, v12, vcc_lo
.LBB69_37:                              ; =>This Inner Loop Header: Depth=1
	global_load_dword v4, v[11:12], off
	global_load_dwordx4 v[13:16], v[9:10], off
	s_waitcnt vmcnt(1)
	v_subrev_nc_u32_e32 v4, s16, v4
	s_waitcnt vmcnt(0)
	v_perm_b32 v19, v16, v15, 0x6020c0c
	v_perm_b32 v20, v14, v13, 0xc0c0501
	;; [unrolled: 1-line block ×3, first 2 shown]
	v_lshlrev_b32_e32 v4, 2, v4
	v_ashrrev_i32_e32 v7, 31, v4
	v_add_co_u32 v17, vcc_lo, s6, v4
	v_add_co_ci_u32_e64 v18, null, s7, v7, vcc_lo
	v_add_co_u32 v9, vcc_lo, 0x400, v9
	v_add_co_ci_u32_e64 v10, null, 0, v10, vcc_lo
	global_load_dword v4, v[17:18], off
	v_add_co_u32 v11, vcc_lo, 0x100, v11
	v_add_co_ci_u32_e64 v12, null, 0, v12, vcc_lo
	v_add_co_u32 v5, vcc_lo, v5, -4
	v_perm_b32 v7, v14, v13, 0xc0c0703
	v_perm_b32 v17, v16, v15, 0x7030c0c
	v_perm_b32 v18, v14, v13, 0xc0c0602
	v_perm_b32 v13, v14, v13, 0xc0c0400
	v_perm_b32 v14, v16, v15, 0x4000c0c
	v_add_co_ci_u32_e64 v6, null, -1, v6, vcc_lo
	v_or_b32_e32 v7, v17, v7
	v_or_b32_e32 v15, v19, v18
	v_or_b32_e32 v16, v21, v20
	v_or_b32_e32 v13, v14, v13
	v_cmp_eq_u64_e32 vcc_lo, 0, v[5:6]
	s_or_b32 s1, vcc_lo, s1
	s_waitcnt vmcnt(0)
	v_dot4c_i32_i8 v3, v4, v7
	v_dot4c_i32_i8 v2, v4, v15
	;; [unrolled: 1-line block ×4, first 2 shown]
	s_andn2_b32 exec_lo, exec_lo, s1
	s_cbranch_execnz .LBB69_37
; %bb.38:
	s_or_b32 exec_lo, exec_lo, s1
	v_mov_b32_e32 v4, v3
.LBB69_39:
	s_or_b32 exec_lo, exec_lo, s0
.LBB69_40:
	s_or_b32 exec_lo, exec_lo, s2
.LBB69_41:
	v_mbcnt_lo_u32_b32 v3, -1, 0
	s_mov_b32 s2, -1
	v_or_b32_e32 v5, 32, v3
	v_xor_b32_e32 v10, 16, v3
	v_cmp_gt_i32_e32 vcc_lo, 32, v5
	v_cndmask_b32_e32 v5, v3, v5, vcc_lo
	v_cmp_gt_i32_e32 vcc_lo, 32, v10
	v_lshlrev_b32_e32 v5, 2, v5
	v_cndmask_b32_e32 v10, v3, v10, vcc_lo
	ds_bpermute_b32 v6, v5, v0
	ds_bpermute_b32 v7, v5, v1
	ds_bpermute_b32 v9, v5, v2
	ds_bpermute_b32 v5, v5, v4
	v_lshlrev_b32_e32 v10, 2, v10
	s_waitcnt lgkmcnt(3)
	v_add_nc_u32_e32 v0, v6, v0
	s_waitcnt lgkmcnt(2)
	v_add_nc_u32_e32 v1, v7, v1
	s_waitcnt lgkmcnt(1)
	v_add_nc_u32_e32 v2, v9, v2
	s_waitcnt lgkmcnt(0)
	v_add_nc_u32_e32 v4, v5, v4
	ds_bpermute_b32 v5, v10, v0
	ds_bpermute_b32 v6, v10, v1
	ds_bpermute_b32 v7, v10, v2
	ds_bpermute_b32 v9, v10, v4
	v_xor_b32_e32 v10, 8, v3
	v_cmp_gt_i32_e32 vcc_lo, 32, v10
	v_cndmask_b32_e32 v10, v3, v10, vcc_lo
	v_lshlrev_b32_e32 v10, 2, v10
	s_waitcnt lgkmcnt(3)
	v_add_nc_u32_e32 v0, v5, v0
	s_waitcnt lgkmcnt(2)
	v_add_nc_u32_e32 v1, v6, v1
	s_waitcnt lgkmcnt(1)
	v_add_nc_u32_e32 v2, v7, v2
	s_waitcnt lgkmcnt(0)
	v_add_nc_u32_e32 v4, v9, v4
	ds_bpermute_b32 v5, v10, v0
	ds_bpermute_b32 v6, v10, v1
	ds_bpermute_b32 v7, v10, v2
	ds_bpermute_b32 v9, v10, v4
	v_xor_b32_e32 v10, 4, v3
	v_cmp_gt_i32_e32 vcc_lo, 32, v10
	v_cndmask_b32_e32 v10, v3, v10, vcc_lo
	;; [unrolled: 16-line block ×4, first 2 shown]
	v_cmp_eq_u32_e32 vcc_lo, 63, v23
	v_lshlrev_b32_e32 v10, 2, v3
	s_waitcnt lgkmcnt(3)
	v_add_nc_u32_e32 v0, v5, v0
	s_waitcnt lgkmcnt(2)
	v_add_nc_u32_e32 v1, v6, v1
	;; [unrolled: 2-line block ×4, first 2 shown]
	ds_bpermute_b32 v4, v10, v0
	ds_bpermute_b32 v5, v10, v1
	;; [unrolled: 1-line block ×4, first 2 shown]
	s_and_b32 exec_lo, exec_lo, vcc_lo
	s_cbranch_execz .LBB69_14
; %bb.42:
	s_load_dwordx2 s[0:1], s[4:5], 0x50
	s_waitcnt lgkmcnt(0)
	v_add_nc_u32_e32 v0, v4, v0
	v_add_nc_u32_e32 v1, v5, v1
	;; [unrolled: 1-line block ×4, first 2 shown]
	v_lshlrev_b32_e32 v4, 2, v8
	v_mul_lo_u32 v0, v0, s17
	v_mul_lo_u32 v1, v1, s17
	;; [unrolled: 1-line block ×4, first 2 shown]
	s_cmp_eq_u32 s18, 0
	s_cbranch_scc1 .LBB69_44
; %bb.43:
	v_ashrrev_i32_e32 v5, 31, v4
	s_mov_b32 s2, 0
	v_lshlrev_b64 v[5:6], 2, v[4:5]
	v_add_co_u32 v12, vcc_lo, s0, v5
	v_add_co_ci_u32_e64 v13, null, s1, v6, vcc_lo
	global_load_dwordx4 v[5:8], v[12:13], off
	s_waitcnt vmcnt(0)
	v_mad_u64_u32 v[14:15], null, v8, s18, v[3:4]
	v_mad_u64_u32 v[8:9], null, v5, s18, v[0:1]
	;; [unrolled: 1-line block ×4, first 2 shown]
	v_mov_b32_e32 v11, v14
	global_store_dwordx4 v[12:13], v[8:11], off
.LBB69_44:
	s_andn2_b32 vcc_lo, exec_lo, s2
	s_cbranch_vccnz .LBB69_14
; %bb.45:
	v_ashrrev_i32_e32 v5, 31, v4
	v_lshlrev_b64 v[4:5], 2, v[4:5]
	v_add_co_u32 v4, vcc_lo, s0, v4
	v_add_co_ci_u32_e64 v5, null, s1, v5, vcc_lo
	global_store_dwordx4 v[4:5], v[0:3], off
	s_endpgm
	.section	.rodata,"a",@progbits
	.p2align	6, 0x0
	.amdhsa_kernel _ZN9rocsparseL18bsrxmvn_4x4_kernelILj128ELj64EiliaaiEEvT3_20rocsparse_direction_NS_24const_host_device_scalarIT1_EES1_PKS1_PKT2_SA_S7_PKT4_PKT5_S5_PT6_21rocsparse_index_base_b
		.amdhsa_group_segment_fixed_size 0
		.amdhsa_private_segment_fixed_size 0
		.amdhsa_kernarg_size 96
		.amdhsa_user_sgpr_count 6
		.amdhsa_user_sgpr_private_segment_buffer 1
		.amdhsa_user_sgpr_dispatch_ptr 0
		.amdhsa_user_sgpr_queue_ptr 0
		.amdhsa_user_sgpr_kernarg_segment_ptr 1
		.amdhsa_user_sgpr_dispatch_id 0
		.amdhsa_user_sgpr_flat_scratch_init 0
		.amdhsa_user_sgpr_private_segment_size 0
		.amdhsa_wavefront_size32 1
		.amdhsa_uses_dynamic_stack 0
		.amdhsa_system_sgpr_private_segment_wavefront_offset 0
		.amdhsa_system_sgpr_workgroup_id_x 1
		.amdhsa_system_sgpr_workgroup_id_y 0
		.amdhsa_system_sgpr_workgroup_id_z 0
		.amdhsa_system_sgpr_workgroup_info 0
		.amdhsa_system_vgpr_workitem_id 0
		.amdhsa_next_free_vgpr 52
		.amdhsa_next_free_sgpr 19
		.amdhsa_reserve_vcc 1
		.amdhsa_reserve_flat_scratch 0
		.amdhsa_float_round_mode_32 0
		.amdhsa_float_round_mode_16_64 0
		.amdhsa_float_denorm_mode_32 3
		.amdhsa_float_denorm_mode_16_64 3
		.amdhsa_dx10_clamp 1
		.amdhsa_ieee_mode 1
		.amdhsa_fp16_overflow 0
		.amdhsa_workgroup_processor_mode 1
		.amdhsa_memory_ordered 1
		.amdhsa_forward_progress 1
		.amdhsa_shared_vgpr_count 0
		.amdhsa_exception_fp_ieee_invalid_op 0
		.amdhsa_exception_fp_denorm_src 0
		.amdhsa_exception_fp_ieee_div_zero 0
		.amdhsa_exception_fp_ieee_overflow 0
		.amdhsa_exception_fp_ieee_underflow 0
		.amdhsa_exception_fp_ieee_inexact 0
		.amdhsa_exception_int_div_zero 0
	.end_amdhsa_kernel
	.section	.text._ZN9rocsparseL18bsrxmvn_4x4_kernelILj128ELj64EiliaaiEEvT3_20rocsparse_direction_NS_24const_host_device_scalarIT1_EES1_PKS1_PKT2_SA_S7_PKT4_PKT5_S5_PT6_21rocsparse_index_base_b,"axG",@progbits,_ZN9rocsparseL18bsrxmvn_4x4_kernelILj128ELj64EiliaaiEEvT3_20rocsparse_direction_NS_24const_host_device_scalarIT1_EES1_PKS1_PKT2_SA_S7_PKT4_PKT5_S5_PT6_21rocsparse_index_base_b,comdat
.Lfunc_end69:
	.size	_ZN9rocsparseL18bsrxmvn_4x4_kernelILj128ELj64EiliaaiEEvT3_20rocsparse_direction_NS_24const_host_device_scalarIT1_EES1_PKS1_PKT2_SA_S7_PKT4_PKT5_S5_PT6_21rocsparse_index_base_b, .Lfunc_end69-_ZN9rocsparseL18bsrxmvn_4x4_kernelILj128ELj64EiliaaiEEvT3_20rocsparse_direction_NS_24const_host_device_scalarIT1_EES1_PKS1_PKT2_SA_S7_PKT4_PKT5_S5_PT6_21rocsparse_index_base_b
                                        ; -- End function
	.set _ZN9rocsparseL18bsrxmvn_4x4_kernelILj128ELj64EiliaaiEEvT3_20rocsparse_direction_NS_24const_host_device_scalarIT1_EES1_PKS1_PKT2_SA_S7_PKT4_PKT5_S5_PT6_21rocsparse_index_base_b.num_vgpr, 52
	.set _ZN9rocsparseL18bsrxmvn_4x4_kernelILj128ELj64EiliaaiEEvT3_20rocsparse_direction_NS_24const_host_device_scalarIT1_EES1_PKS1_PKT2_SA_S7_PKT4_PKT5_S5_PT6_21rocsparse_index_base_b.num_agpr, 0
	.set _ZN9rocsparseL18bsrxmvn_4x4_kernelILj128ELj64EiliaaiEEvT3_20rocsparse_direction_NS_24const_host_device_scalarIT1_EES1_PKS1_PKT2_SA_S7_PKT4_PKT5_S5_PT6_21rocsparse_index_base_b.numbered_sgpr, 19
	.set _ZN9rocsparseL18bsrxmvn_4x4_kernelILj128ELj64EiliaaiEEvT3_20rocsparse_direction_NS_24const_host_device_scalarIT1_EES1_PKS1_PKT2_SA_S7_PKT4_PKT5_S5_PT6_21rocsparse_index_base_b.num_named_barrier, 0
	.set _ZN9rocsparseL18bsrxmvn_4x4_kernelILj128ELj64EiliaaiEEvT3_20rocsparse_direction_NS_24const_host_device_scalarIT1_EES1_PKS1_PKT2_SA_S7_PKT4_PKT5_S5_PT6_21rocsparse_index_base_b.private_seg_size, 0
	.set _ZN9rocsparseL18bsrxmvn_4x4_kernelILj128ELj64EiliaaiEEvT3_20rocsparse_direction_NS_24const_host_device_scalarIT1_EES1_PKS1_PKT2_SA_S7_PKT4_PKT5_S5_PT6_21rocsparse_index_base_b.uses_vcc, 1
	.set _ZN9rocsparseL18bsrxmvn_4x4_kernelILj128ELj64EiliaaiEEvT3_20rocsparse_direction_NS_24const_host_device_scalarIT1_EES1_PKS1_PKT2_SA_S7_PKT4_PKT5_S5_PT6_21rocsparse_index_base_b.uses_flat_scratch, 0
	.set _ZN9rocsparseL18bsrxmvn_4x4_kernelILj128ELj64EiliaaiEEvT3_20rocsparse_direction_NS_24const_host_device_scalarIT1_EES1_PKS1_PKT2_SA_S7_PKT4_PKT5_S5_PT6_21rocsparse_index_base_b.has_dyn_sized_stack, 0
	.set _ZN9rocsparseL18bsrxmvn_4x4_kernelILj128ELj64EiliaaiEEvT3_20rocsparse_direction_NS_24const_host_device_scalarIT1_EES1_PKS1_PKT2_SA_S7_PKT4_PKT5_S5_PT6_21rocsparse_index_base_b.has_recursion, 0
	.set _ZN9rocsparseL18bsrxmvn_4x4_kernelILj128ELj64EiliaaiEEvT3_20rocsparse_direction_NS_24const_host_device_scalarIT1_EES1_PKS1_PKT2_SA_S7_PKT4_PKT5_S5_PT6_21rocsparse_index_base_b.has_indirect_call, 0
	.section	.AMDGPU.csdata,"",@progbits
; Kernel info:
; codeLenInByte = 4112
; TotalNumSgprs: 21
; NumVgprs: 52
; ScratchSize: 0
; MemoryBound: 0
; FloatMode: 240
; IeeeMode: 1
; LDSByteSize: 0 bytes/workgroup (compile time only)
; SGPRBlocks: 0
; VGPRBlocks: 6
; NumSGPRsForWavesPerEU: 21
; NumVGPRsForWavesPerEU: 52
; Occupancy: 16
; WaveLimiterHint : 1
; COMPUTE_PGM_RSRC2:SCRATCH_EN: 0
; COMPUTE_PGM_RSRC2:USER_SGPR: 6
; COMPUTE_PGM_RSRC2:TRAP_HANDLER: 0
; COMPUTE_PGM_RSRC2:TGID_X_EN: 1
; COMPUTE_PGM_RSRC2:TGID_Y_EN: 0
; COMPUTE_PGM_RSRC2:TGID_Z_EN: 0
; COMPUTE_PGM_RSRC2:TIDIG_COMP_CNT: 0
	.section	.text._ZN9rocsparseL18bsrxmvn_4x4_kernelILj128ELj4EillaaiEEvT3_20rocsparse_direction_NS_24const_host_device_scalarIT1_EES1_PKS1_PKT2_SA_S7_PKT4_PKT5_S5_PT6_21rocsparse_index_base_b,"axG",@progbits,_ZN9rocsparseL18bsrxmvn_4x4_kernelILj128ELj4EillaaiEEvT3_20rocsparse_direction_NS_24const_host_device_scalarIT1_EES1_PKS1_PKT2_SA_S7_PKT4_PKT5_S5_PT6_21rocsparse_index_base_b,comdat
	.globl	_ZN9rocsparseL18bsrxmvn_4x4_kernelILj128ELj4EillaaiEEvT3_20rocsparse_direction_NS_24const_host_device_scalarIT1_EES1_PKS1_PKT2_SA_S7_PKT4_PKT5_S5_PT6_21rocsparse_index_base_b ; -- Begin function _ZN9rocsparseL18bsrxmvn_4x4_kernelILj128ELj4EillaaiEEvT3_20rocsparse_direction_NS_24const_host_device_scalarIT1_EES1_PKS1_PKT2_SA_S7_PKT4_PKT5_S5_PT6_21rocsparse_index_base_b
	.p2align	8
	.type	_ZN9rocsparseL18bsrxmvn_4x4_kernelILj128ELj4EillaaiEEvT3_20rocsparse_direction_NS_24const_host_device_scalarIT1_EES1_PKS1_PKT2_SA_S7_PKT4_PKT5_S5_PT6_21rocsparse_index_base_b,@function
_ZN9rocsparseL18bsrxmvn_4x4_kernelILj128ELj4EillaaiEEvT3_20rocsparse_direction_NS_24const_host_device_scalarIT1_EES1_PKS1_PKT2_SA_S7_PKT4_PKT5_S5_PT6_21rocsparse_index_base_b: ; @_ZN9rocsparseL18bsrxmvn_4x4_kernelILj128ELj4EillaaiEEvT3_20rocsparse_direction_NS_24const_host_device_scalarIT1_EES1_PKS1_PKT2_SA_S7_PKT4_PKT5_S5_PT6_21rocsparse_index_base_b
; %bb.0:
	s_clause 0x1
	s_load_dwordx2 s[8:9], s[4:5], 0x60
	s_load_dwordx4 s[0:3], s[4:5], 0x10
	s_mov_b32 s12, -1
	s_waitcnt lgkmcnt(0)
	s_bitcmp1_b32 s9, 0
	s_cselect_b32 s7, -1, 0
	s_xor_b32 s9, s7, -1
                                        ; implicit-def: $sgpr7
	s_and_b32 vcc_lo, exec_lo, s9
	s_cbranch_vccnz .LBB70_4
; %bb.1:
	s_load_dwordx2 s[10:11], s[4:5], 0x50
	s_andn2_b32 vcc_lo, exec_lo, s12
	s_cbranch_vccz .LBB70_5
.LBB70_2:
	s_and_b32 vcc_lo, exec_lo, s9
	s_cbranch_vccz .LBB70_6
.LBB70_3:
	s_waitcnt lgkmcnt(0)
	s_load_dword s16, s[10:11], 0x0
	s_cbranch_execz .LBB70_7
	s_branch .LBB70_8
.LBB70_4:
	s_load_dword s7, s[0:1], 0x0
	s_load_dwordx2 s[10:11], s[4:5], 0x50
	s_cbranch_execnz .LBB70_2
.LBB70_5:
	s_waitcnt lgkmcnt(0)
	s_mov_b32 s7, s0
	s_and_b32 vcc_lo, exec_lo, s9
	s_cbranch_vccnz .LBB70_3
.LBB70_6:
                                        ; implicit-def: $sgpr16
.LBB70_7:
	s_waitcnt lgkmcnt(0)
	s_mov_b32 s16, s10
.LBB70_8:
	s_waitcnt lgkmcnt(0)
	s_cmp_lg_u32 s7, 0
	s_mov_b32 s10, 0
	s_cselect_b32 s0, -1, 0
	s_cmp_lg_u32 s16, 1
	s_cselect_b32 s1, -1, 0
	s_or_b32 s0, s0, s1
	s_andn2_b32 vcc_lo, exec_lo, s0
	s_cbranch_vccnz .LBB70_14
; %bb.9:
	s_load_dwordx2 s[0:1], s[4:5], 0x20
	v_lshrrev_b32_e32 v1, 2, v0
	v_mov_b32_e32 v2, 0
	v_lshl_or_b32 v1, s6, 5, v1
	s_waitcnt lgkmcnt(0)
	s_cmp_lg_u64 s[0:1], 0
	s_cbranch_scc0 .LBB70_15
; %bb.10:
	v_cmp_gt_i64_e32 vcc_lo, s[2:3], v[1:2]
	s_mov_b32 s2, 0
                                        ; implicit-def: $vgpr8_vgpr9
                                        ; implicit-def: $vgpr10_vgpr11
	s_and_saveexec_b32 s3, vcc_lo
	s_xor_b32 s3, exec_lo, s3
	s_cbranch_execz .LBB70_12
; %bb.11:
	v_lshlrev_b64 v[3:4], 3, v[1:2]
	s_mov_b32 s9, 0
	s_mov_b32 s10, exec_lo
	v_mov_b32_e32 v11, s9
	v_mov_b32_e32 v10, s8
	v_add_co_u32 v3, vcc_lo, s0, v3
	v_add_co_ci_u32_e64 v4, null, s1, v4, vcc_lo
	global_load_dwordx2 v[3:4], v[3:4], off
	s_waitcnt vmcnt(0)
	v_sub_co_u32 v8, vcc_lo, v3, s8
	v_subrev_co_ci_u32_e64 v9, null, 0, v4, vcc_lo
.LBB70_12:
	s_or_b32 exec_lo, exec_lo, s3
	s_and_b32 vcc_lo, exec_lo, s2
	s_cbranch_vccnz .LBB70_16
.LBB70_13:
	s_and_saveexec_b32 s0, s10
	s_cbranch_execnz .LBB70_19
.LBB70_14:
	s_endpgm
.LBB70_15:
                                        ; implicit-def: $vgpr8_vgpr9
                                        ; implicit-def: $vgpr10_vgpr11
	s_cbranch_execz .LBB70_13
.LBB70_16:
	s_load_dwordx2 s[0:1], s[4:5], 0x0
	s_waitcnt lgkmcnt(0)
	v_cmp_gt_i64_e32 vcc_lo, s[0:1], v[1:2]
	s_and_saveexec_b32 s0, vcc_lo
; %bb.17:
	s_mov_b32 s9, 0
	s_or_b32 s10, s10, exec_lo
; %bb.18:
	s_or_b32 exec_lo, exec_lo, s0
	v_mov_b32_e32 v11, s9
	v_mov_b32_e32 v9, v2
	;; [unrolled: 1-line block ×4, first 2 shown]
	s_and_saveexec_b32 s0, s10
	s_cbranch_execz .LBB70_14
.LBB70_19:
	s_load_dwordx8 s[8:15], s[4:5], 0x28
	v_lshlrev_b64 v[1:2], 3, v[8:9]
	v_and_b32_e32 v26, 3, v0
	s_clause 0x1
	s_load_dword s1, s[4:5], 0x8
	s_load_dwordx2 s[2:3], s[4:5], 0x48
	s_waitcnt lgkmcnt(0)
	v_add_co_u32 v3, vcc_lo, s8, v1
	v_add_co_ci_u32_e64 v4, null, s9, v2, vcc_lo
	v_add_co_u32 v1, vcc_lo, s10, v1
	v_add_co_ci_u32_e64 v2, null, s11, v2, vcc_lo
	v_add_co_u32 v5, vcc_lo, v3, 8
	global_load_dwordx2 v[16:17], v[3:4], off
	v_add_co_ci_u32_e64 v6, null, 0, v4, vcc_lo
	s_cmp_eq_u64 s[10:11], 0
	v_mov_b32_e32 v4, 0
	s_cselect_b32 vcc_lo, -1, 0
	s_cmp_eq_u32 s1, 1
	v_cndmask_b32_e32 v2, v2, v6, vcc_lo
	v_cndmask_b32_e32 v1, v1, v5, vcc_lo
	global_load_dwordx2 v[1:2], v[1:2], off
	s_waitcnt vmcnt(1)
	v_sub_co_u32 v0, vcc_lo, v16, v10
	v_sub_co_ci_u32_e64 v3, null, v17, v11, vcc_lo
	v_add_co_u32 v14, vcc_lo, v0, v26
	v_add_co_ci_u32_e64 v15, null, 0, v3, vcc_lo
	s_waitcnt vmcnt(0)
	v_sub_co_u32 v18, vcc_lo, v1, v10
	v_lshlrev_b64 v[0:1], 4, v[14:15]
	v_sub_co_ci_u32_e64 v19, null, v2, v11, vcc_lo
	v_add_co_u32 v12, vcc_lo, s14, v0
	v_cmp_lt_i64_e64 s0, v[14:15], v[18:19]
	v_add_co_ci_u32_e64 v13, null, s15, v1, vcc_lo
	s_cbranch_scc1 .LBB70_31
; %bb.20:
	v_mov_b32_e32 v2, 0
	v_mov_b32_e32 v1, 0
	;; [unrolled: 1-line block ×3, first 2 shown]
	s_and_saveexec_b32 s6, s0
	s_cbranch_execz .LBB70_30
; %bb.21:
	v_or_b32_e32 v0, 4, v26
	v_not_b32_e32 v3, v16
	v_sub_co_u32 v4, s1, v10, v26
	v_not_b32_e32 v2, v17
	v_sub_co_u32 v0, vcc_lo, v0, v10
	v_sub_co_ci_u32_e64 v1, null, 0, v11, vcc_lo
	v_subrev_co_ci_u32_e64 v5, null, 0, v11, s1
	v_add_co_u32 v0, vcc_lo, v0, v16
	v_add_co_ci_u32_e64 v1, null, v1, v17, vcc_lo
	v_mov_b32_e32 v21, v15
	v_mov_b32_e32 v20, v14
	s_mov_b32 s9, 0
	v_cmp_gt_i64_e32 vcc_lo, v[0:1], v[18:19]
	v_cndmask_b32_e32 v1, v19, v1, vcc_lo
	v_cndmask_b32_e32 v0, v18, v0, vcc_lo
	v_add_co_u32 v3, vcc_lo, v4, v3
	v_add_co_ci_u32_e64 v2, null, v5, v2, vcc_lo
	v_mov_b32_e32 v4, 0
	v_add_co_u32 v22, vcc_lo, v3, v0
	v_add_co_ci_u32_e64 v23, null, v2, v1, vcc_lo
	v_mov_b32_e32 v5, v4
	v_mov_b32_e32 v6, v4
	;; [unrolled: 1-line block ×3, first 2 shown]
	v_lshrrev_b64 v[24:25], 2, v[22:23]
	v_mov_b32_e32 v0, v4
	v_mov_b32_e32 v1, v5
	;; [unrolled: 1-line block ×4, first 2 shown]
	v_cmp_lt_u64_e32 vcc_lo, 11, v[22:23]
	v_add_co_u32 v7, s1, v24, 1
	v_mov_b32_e32 v5, v12
	v_add_co_ci_u32_e64 v23, null, 0, v25, s1
	v_mov_b32_e32 v6, v13
	s_and_saveexec_b32 s8, vcc_lo
	s_cbranch_execz .LBB70_25
; %bb.22:
	v_lshlrev_b64 v[0:1], 3, v[14:15]
	v_mov_b32_e32 v5, v12
	v_mov_b32_e32 v21, v15
	v_and_b32_e32 v22, -4, v7
	v_mov_b32_e32 v2, 0
	v_mov_b32_e32 v6, v13
	v_add_co_u32 v0, vcc_lo, s12, v0
	v_add_co_ci_u32_e64 v3, null, s13, v1, vcc_lo
	v_mov_b32_e32 v1, 0
	v_add_co_u32 v24, vcc_lo, v0, 64
	v_add_co_ci_u32_e64 v25, null, 0, v3, vcc_lo
	v_mov_b32_e32 v0, 0
	v_mov_b32_e32 v20, v14
.LBB70_23:                              ; =>This Inner Loop Header: Depth=1
	s_clause 0x3
	global_load_dwordx2 v[39:40], v[24:25], off offset:-64
	global_load_dwordx2 v[41:42], v[24:25], off offset:-32
	global_load_dwordx2 v[43:44], v[24:25], off
	global_load_dwordx2 v[45:46], v[24:25], off offset:32
	s_clause 0x2
	global_load_dwordx4 v[27:30], v[5:6], off
	global_load_dwordx4 v[31:34], v[5:6], off offset:64
	global_load_dwordx4 v[35:38], v[5:6], off offset:128
	s_waitcnt vmcnt(6)
	v_sub_co_u32 v39, vcc_lo, v39, v10
	v_sub_co_ci_u32_e64 v40, null, v40, v11, vcc_lo
	s_waitcnt vmcnt(5)
	v_sub_co_u32 v41, vcc_lo, v41, v10
	v_sub_co_ci_u32_e64 v42, null, v42, v11, vcc_lo
	;; [unrolled: 3-line block ×3, first 2 shown]
	v_lshlrev_b64 v[39:40], 2, v[39:40]
	v_lshlrev_b64 v[41:42], 2, v[41:42]
	s_waitcnt vmcnt(3)
	v_sub_co_u32 v45, vcc_lo, v45, v10
	v_lshlrev_b64 v[43:44], 2, v[43:44]
	v_sub_co_ci_u32_e64 v46, null, v46, v11, vcc_lo
	v_add_co_u32 v39, s1, s2, v39
	v_add_co_ci_u32_e64 v40, null, s3, v40, s1
	v_add_co_u32 v41, s1, s2, v41
	v_add_co_ci_u32_e64 v42, null, s3, v42, s1
	;; [unrolled: 2-line block ×3, first 2 shown]
	s_clause 0x2
	global_load_dword v3, v[39:40], off
	global_load_dword v47, v[41:42], off
	;; [unrolled: 1-line block ×3, first 2 shown]
	v_lshlrev_b64 v[39:40], 2, v[45:46]
	s_waitcnt vmcnt(5)
	v_ashrrev_i32_e32 v45, 24, v30
	s_waitcnt vmcnt(4)
	v_lshrrev_b16 v49, 8, v34
	v_bfe_i32 v46, v30, 0, 8
	s_waitcnt vmcnt(3)
	v_bfe_i32 v50, v38, 8, 8
	v_add_co_u32 v43, vcc_lo, s2, v39
	v_add_co_ci_u32_e64 v44, null, s3, v40, vcc_lo
	global_load_dwordx4 v[39:42], v[5:6], off offset:192
	global_load_dword v43, v[43:44], off
	v_lshrrev_b16 v44, 8, v30
	v_bfe_i32 v30, v30, 16, 8
	v_add_co_u32 v5, vcc_lo, 0x100, v5
	v_add_co_ci_u32_e64 v6, null, 0, v6, vcc_lo
	v_add_co_u32 v20, vcc_lo, v20, 16
	v_add_co_ci_u32_e64 v21, null, 0, v21, vcc_lo
	v_add_co_u32 v22, vcc_lo, v22, -4
	v_add_co_ci_u32_e64 v23, null, -1, v23, vcc_lo
	v_add_co_u32 v24, vcc_lo, 0x80, v24
	v_add_co_ci_u32_e64 v25, null, 0, v25, vcc_lo
	v_cmp_eq_u64_e32 vcc_lo, 0, v[22:23]
	s_or_b32 s9, vcc_lo, s9
	s_waitcnt vmcnt(4)
	v_lshrrev_b16 v51, 8, v3
	v_ashrrev_i32_e32 v52, 24, v3
	v_bfe_i32 v53, v3, 0, 8
	v_bfe_i32 v54, v3, 16, 8
	v_dot4c_i32_i8 v0, v3, v27
	v_dot4c_i32_i8 v1, v3, v28
	;; [unrolled: 1-line block ×3, first 2 shown]
	s_waitcnt vmcnt(3)
	v_lshrrev_b16 v3, 8, v47
	v_mul_i32_i24_sdwa v28, sext(v34), sext(v47) dst_sel:DWORD dst_unused:UNUSED_PAD src0_sel:BYTE_3 src1_sel:BYTE_3
	v_mul_i32_i24_sdwa v27, sext(v34), sext(v47) dst_sel:DWORD dst_unused:UNUSED_PAD src0_sel:BYTE_0 src1_sel:BYTE_0
	v_mul_i32_i24_sdwa v29, sext(v34), sext(v47) dst_sel:DWORD dst_unused:UNUSED_PAD src0_sel:BYTE_2 src1_sel:BYTE_2
	v_mul_i32_i24_sdwa v44, sext(v44), sext(v51) dst_sel:DWORD dst_unused:UNUSED_PAD src0_sel:BYTE_0 src1_sel:BYTE_0
	v_mul_i32_i24_sdwa v3, sext(v49), sext(v3) dst_sel:DWORD dst_unused:UNUSED_PAD src0_sel:BYTE_0 src1_sel:BYTE_0
	v_mad_i32_i24 v28, v45, v52, v28
	s_waitcnt vmcnt(2)
	v_bfe_i32 v34, v48, 8, 8
	v_mul_i32_i24_sdwa v45, sext(v38), sext(v48) dst_sel:DWORD dst_unused:UNUSED_PAD src0_sel:BYTE_2 src1_sel:BYTE_2
	v_mad_i32_i24 v29, v30, v54, v29
	v_mad_i32_i24 v27, v46, v53, v27
	v_add3_u32 v3, v44, v3, v28
	v_mul_i32_i24_sdwa v28, sext(v48), sext(v38) dst_sel:DWORD dst_unused:UNUSED_PAD src0_sel:BYTE_0 src1_sel:BYTE_0
	v_mad_i32_i24 v34, v34, v50, v45
	v_mul_i32_i24_sdwa v30, sext(v38), sext(v48) dst_sel:DWORD dst_unused:UNUSED_PAD src0_sel:BYTE_3 src1_sel:BYTE_3
	v_dot4c_i32_i8 v0, v47, v31
	v_add3_u32 v3, v27, v29, v3
	v_dot4c_i32_i8 v2, v47, v33
	v_dot4c_i32_i8 v1, v47, v32
	v_dot4c_i32_i8 v0, v48, v35
	v_add3_u32 v3, v3, v28, v34
	v_dot4c_i32_i8 v2, v37, v48
	v_dot4c_i32_i8 v1, v36, v48
	s_waitcnt vmcnt(0)
	v_dot4c_i32_i8 v0, v43, v39
	v_add3_u32 v4, v3, v4, v30
	v_dot4c_i32_i8 v2, v43, v41
	v_dot4c_i32_i8 v1, v43, v40
	;; [unrolled: 1-line block ×3, first 2 shown]
	s_andn2_b32 exec_lo, exec_lo, s9
	s_cbranch_execnz .LBB70_23
; %bb.24:
	s_or_b32 exec_lo, exec_lo, s9
	v_mov_b32_e32 v3, v4
.LBB70_25:
	s_or_b32 exec_lo, exec_lo, s8
	v_and_b32_e32 v22, 3, v7
	v_mov_b32_e32 v23, 0
	s_mov_b32 s1, exec_lo
	v_cmpx_ne_u64_e32 0, v[22:23]
	s_cbranch_execz .LBB70_29
; %bb.26:
	v_lshlrev_b64 v[20:21], 3, v[20:21]
	v_lshlrev_b32_e32 v22, 1, v22
	s_mov_b32 s8, 0
	v_add_co_u32 v20, vcc_lo, s12, v20
	v_add_co_ci_u32_e64 v21, null, s13, v21, vcc_lo
	s_inst_prefetch 0x1
	.p2align	6
.LBB70_27:                              ; =>This Inner Loop Header: Depth=1
	global_load_dwordx2 v[24:25], v[20:21], off
	s_waitcnt vmcnt(0)
	v_sub_co_u32 v24, vcc_lo, v24, v10
	v_sub_co_ci_u32_e64 v25, null, v25, v11, vcc_lo
	v_lshlrev_b64 v[24:25], 2, v[24:25]
	v_add_co_u32 v24, vcc_lo, s2, v24
	v_add_co_ci_u32_e64 v25, null, s3, v25, vcc_lo
	global_load_dwordx4 v[27:30], v[5:6], off
	global_load_dword v4, v[24:25], off
	v_add_co_u32 v5, vcc_lo, v5, 64
	v_add_co_ci_u32_e64 v6, null, 0, v6, vcc_lo
	v_add_co_u32 v22, vcc_lo, v22, -2
	v_add_co_ci_u32_e64 v23, null, -1, v23, vcc_lo
	v_add_co_u32 v20, vcc_lo, v20, 32
	v_add_co_ci_u32_e64 v21, null, 0, v21, vcc_lo
	v_cmp_eq_u64_e32 vcc_lo, 0, v[22:23]
	s_or_b32 s8, vcc_lo, s8
	s_waitcnt vmcnt(0)
	v_dot4c_i32_i8 v3, v4, v30
	v_dot4c_i32_i8 v2, v4, v29
	;; [unrolled: 1-line block ×4, first 2 shown]
	s_andn2_b32 exec_lo, exec_lo, s8
	s_cbranch_execnz .LBB70_27
; %bb.28:
	s_inst_prefetch 0x2
	s_or_b32 exec_lo, exec_lo, s8
	v_mov_b32_e32 v4, v3
.LBB70_29:
	s_or_b32 exec_lo, exec_lo, s1
.LBB70_30:
	s_or_b32 exec_lo, exec_lo, s6
	s_cbranch_execz .LBB70_32
	s_branch .LBB70_43
.LBB70_31:
                                        ; implicit-def: $vgpr4
                                        ; implicit-def: $vgpr2
.LBB70_32:
	v_mov_b32_e32 v4, 0
	v_mov_b32_e32 v2, 0
	;; [unrolled: 1-line block ×4, first 2 shown]
	s_and_saveexec_b32 s1, s0
	s_cbranch_execz .LBB70_42
; %bb.33:
	v_or_b32_e32 v0, 4, v26
	v_not_b32_e32 v3, v16
	v_sub_co_u32 v4, s0, v10, v26
	v_not_b32_e32 v2, v17
	v_sub_co_u32 v0, vcc_lo, v0, v10
	v_sub_co_ci_u32_e64 v1, null, 0, v11, vcc_lo
	v_subrev_co_ci_u32_e64 v5, null, 0, v11, s0
	v_add_co_u32 v0, vcc_lo, v0, v16
	v_add_co_ci_u32_e64 v1, null, v1, v17, vcc_lo
	s_mov_b32 s8, 0
	v_cmp_gt_i64_e32 vcc_lo, v[0:1], v[18:19]
	v_cndmask_b32_e32 v1, v19, v1, vcc_lo
	v_cndmask_b32_e32 v0, v18, v0, vcc_lo
	v_add_co_u32 v3, vcc_lo, v4, v3
	v_add_co_ci_u32_e64 v2, null, v5, v2, vcc_lo
	v_mov_b32_e32 v4, 0
	v_add_co_u32 v0, vcc_lo, v3, v0
	v_add_co_ci_u32_e64 v1, null, v2, v1, vcc_lo
	v_mov_b32_e32 v5, v4
	v_mov_b32_e32 v6, v4
	;; [unrolled: 1-line block ×3, first 2 shown]
	v_lshrrev_b64 v[2:3], 2, v[0:1]
	v_cmp_lt_u64_e32 vcc_lo, 11, v[0:1]
	v_add_co_u32 v18, s0, v2, 1
	v_add_co_ci_u32_e64 v17, null, 0, v3, s0
	v_mov_b32_e32 v0, v4
	v_mov_b32_e32 v1, v5
	;; [unrolled: 1-line block ×4, first 2 shown]
	s_and_saveexec_b32 s6, vcc_lo
	s_cbranch_execz .LBB70_37
; %bb.34:
	v_lshlrev_b64 v[0:1], 3, v[14:15]
	v_and_b32_e32 v16, -4, v18
	v_mov_b32_e32 v2, 0
	v_add_co_u32 v0, vcc_lo, s12, v0
	v_add_co_ci_u32_e64 v3, null, s13, v1, vcc_lo
	v_mov_b32_e32 v1, 0
	v_add_co_u32 v5, vcc_lo, v0, 64
	v_add_co_ci_u32_e64 v6, null, 0, v3, vcc_lo
	v_mov_b32_e32 v0, 0
.LBB70_35:                              ; =>This Inner Loop Header: Depth=1
	s_clause 0x3
	global_load_dwordx2 v[23:24], v[5:6], off offset:-64
	global_load_dwordx2 v[39:40], v[5:6], off offset:-32
	global_load_dwordx2 v[41:42], v[5:6], off
	global_load_dwordx2 v[43:44], v[5:6], off offset:32
	s_clause 0x3
	global_load_dwordx4 v[19:22], v[12:13], off
	global_load_dwordx4 v[27:30], v[12:13], off offset:64
	global_load_dwordx4 v[31:34], v[12:13], off offset:128
	;; [unrolled: 1-line block ×3, first 2 shown]
	s_waitcnt vmcnt(7)
	v_sub_co_u32 v23, vcc_lo, v23, v10
	v_sub_co_ci_u32_e64 v24, null, v24, v11, vcc_lo
	s_waitcnt vmcnt(6)
	v_sub_co_u32 v39, vcc_lo, v39, v10
	v_sub_co_ci_u32_e64 v40, null, v40, v11, vcc_lo
	;; [unrolled: 3-line block ×3, first 2 shown]
	v_lshlrev_b64 v[23:24], 2, v[23:24]
	v_lshlrev_b64 v[39:40], 2, v[39:40]
	s_waitcnt vmcnt(4)
	v_sub_co_u32 v43, vcc_lo, v43, v10
	v_lshlrev_b64 v[41:42], 2, v[41:42]
	v_sub_co_ci_u32_e64 v44, null, v44, v11, vcc_lo
	v_add_co_u32 v23, s0, s2, v23
	v_add_co_ci_u32_e64 v24, null, s3, v24, s0
	v_add_co_u32 v39, s0, s2, v39
	v_add_co_ci_u32_e64 v40, null, s3, v40, s0
	;; [unrolled: 2-line block ×3, first 2 shown]
	s_clause 0x2
	global_load_dword v3, v[23:24], off
	global_load_dword v7, v[39:40], off
	global_load_dword v25, v[41:42], off
	v_lshlrev_b64 v[23:24], 2, v[43:44]
	s_waitcnt vmcnt(6)
	v_perm_b32 v40, v21, v20, 0xc05010c
	v_perm_b32 v42, v21, v20, 0xc06020c
	s_waitcnt vmcnt(5)
	v_perm_b32 v44, v29, v28, 0x4000c0c
	v_perm_b32 v45, v27, v22, 0xc0c0501
	;; [unrolled: 1-line block ×3, first 2 shown]
	v_add_co_u32 v23, vcc_lo, s2, v23
	v_add_co_ci_u32_e64 v24, null, s3, v24, vcc_lo
	v_perm_b32 v47, v27, v22, 0xc0c0602
	v_perm_b32 v48, v29, v28, 0x6020c0c
	s_waitcnt vmcnt(4)
	v_perm_b32 v50, v31, v30, 0xc0c0501
	global_load_dword v23, v[23:24], off
	v_perm_b32 v24, v21, v20, 0xc04000c
	v_perm_b32 v20, v21, v20, 0xc07030c
	;; [unrolled: 1-line block ×5, first 2 shown]
	v_lshrrev_b32_e32 v28, 16, v34
	v_perm_b32 v29, v31, v30, 0xc0c0400
	v_perm_b32 v52, v31, v30, 0xc0c0602
	;; [unrolled: 1-line block ×8, first 2 shown]
	v_or_b32_e32 v30, v31, v30
	v_ashrrev_i16 v31, 8, v28
	v_bfe_i32 v28, v28, 0, 8
	v_perm_b32 v49, v33, v32, 0x4000c0c
	v_perm_b32 v51, v33, v32, 0x5010c0c
	v_perm_b32 v53, v33, v32, 0x6020c0c
	v_ashrrev_i16 v32, 8, v34
	v_bfe_i32 v33, v34, 0, 8
	s_waitcnt vmcnt(4)
	v_perm_b32 v34, v36, v35, 0xc0c0703
	v_perm_b32 v54, v38, v37, 0x7030c0c
	;; [unrolled: 1-line block ×8, first 2 shown]
	v_or_b32_e32 v24, v24, v39
	v_or_b32_e32 v37, v40, v41
	;; [unrolled: 1-line block ×4, first 2 shown]
	v_perm_b32 v28, v31, v28, 0x5040100
	v_or_b32_e32 v20, v44, v21
	v_or_b32_e32 v21, v46, v45
	;; [unrolled: 1-line block ×7, first 2 shown]
	v_perm_b32 v32, v32, v33, 0x5040100
	v_add_co_u32 v12, vcc_lo, 0x100, v12
	v_add_co_ci_u32_e64 v13, null, 0, v13, vcc_lo
	v_add_co_u32 v14, vcc_lo, v14, 16
	v_add_co_ci_u32_e64 v15, null, 0, v15, vcc_lo
	v_add_co_u32 v16, vcc_lo, v16, -4
	v_add_co_ci_u32_e64 v17, null, -1, v17, vcc_lo
	v_add_co_u32 v5, vcc_lo, 0x80, v5
	v_or_b32_e32 v33, v54, v34
	v_or_b32_e32 v34, v56, v55
	;; [unrolled: 1-line block ×3, first 2 shown]
	v_add_co_ci_u32_e64 v6, null, 0, v6, vcc_lo
	v_cmp_eq_u64_e32 vcc_lo, 0, v[16:17]
	s_or_b32 s8, vcc_lo, s8
	s_waitcnt vmcnt(3)
	v_perm_b32 v31, v3, v3, 0xc020100
	s_waitcnt vmcnt(2)
	v_perm_b32 v3, v7, v3, 0x6050403
	s_waitcnt vmcnt(1)
	v_lshrrev_b32_e32 v42, 24, v25
	v_perm_b32 v7, v25, v7, 0x6050403
	v_dot4c_i32_i8 v0, v31, v24
	v_dot4c_i32_i8 v4, v19, v31
	;; [unrolled: 1-line block ×4, first 2 shown]
	v_bfe_i32 v19, v42, 0, 8
	v_dot4c_i32_i8 v0, v3, v20
	v_dot4c_i32_i8 v4, v22, v3
	;; [unrolled: 1-line block ×4, first 2 shown]
	v_pk_mul_lo_u16 v3, v19, v32 op_sel_hi:[0,1]
	v_pk_mul_lo_u16 v19, v19, v28 op_sel_hi:[0,1]
	v_dot4c_i32_i8 v4, v30, v7
	v_dot4c_i32_i8 v2, v40, v7
	;; [unrolled: 1-line block ×4, first 2 shown]
	v_or_b32_e32 v7, v36, v35
	v_add_nc_u32_sdwa v4, v4, sext(v19) dst_sel:DWORD dst_unused:UNUSED_PAD src0_sel:DWORD src1_sel:WORD_1
	v_add_nc_u32_sdwa v2, v2, sext(v19) dst_sel:DWORD dst_unused:UNUSED_PAD src0_sel:DWORD src1_sel:WORD_0
	v_add_nc_u32_sdwa v1, v1, sext(v3) dst_sel:DWORD dst_unused:UNUSED_PAD src0_sel:DWORD src1_sel:WORD_1
	v_add_nc_u32_sdwa v0, v0, sext(v3) dst_sel:DWORD dst_unused:UNUSED_PAD src0_sel:DWORD src1_sel:WORD_0
	s_waitcnt vmcnt(0)
	v_dot4c_i32_i8 v4, v23, v33
	v_dot4c_i32_i8 v2, v23, v34
	;; [unrolled: 1-line block ×4, first 2 shown]
	s_andn2_b32 exec_lo, exec_lo, s8
	s_cbranch_execnz .LBB70_35
; %bb.36:
	s_or_b32 exec_lo, exec_lo, s8
	v_mov_b32_e32 v3, v4
.LBB70_37:
	s_or_b32 exec_lo, exec_lo, s6
	v_and_b32_e32 v5, 3, v18
	v_mov_b32_e32 v6, 0
	s_mov_b32 s0, exec_lo
	v_cmpx_ne_u64_e32 0, v[5:6]
	s_cbranch_execz .LBB70_41
; %bb.38:
	v_lshlrev_b64 v[14:15], 3, v[14:15]
	v_lshlrev_b32_e32 v5, 1, v5
	s_mov_b32 s6, 0
	v_add_co_u32 v14, vcc_lo, s12, v14
	v_add_co_ci_u32_e64 v15, null, s13, v15, vcc_lo
.LBB70_39:                              ; =>This Inner Loop Header: Depth=1
	global_load_dwordx2 v[20:21], v[14:15], off
	global_load_dwordx4 v[16:19], v[12:13], off
	s_waitcnt vmcnt(1)
	v_sub_co_u32 v20, vcc_lo, v20, v10
	v_sub_co_ci_u32_e64 v21, null, v21, v11, vcc_lo
	s_waitcnt vmcnt(0)
	v_perm_b32 v7, v17, v16, 0xc0c0703
	v_perm_b32 v22, v19, v18, 0x6020c0c
	;; [unrolled: 1-line block ×3, first 2 shown]
	v_lshlrev_b64 v[20:21], 2, v[20:21]
	v_perm_b32 v24, v19, v18, 0x5010c0c
	v_add_co_u32 v20, vcc_lo, s2, v20
	v_add_co_ci_u32_e64 v21, null, s3, v21, vcc_lo
	v_add_co_u32 v12, vcc_lo, v12, 64
	v_add_co_ci_u32_e64 v13, null, 0, v13, vcc_lo
	global_load_dword v4, v[20:21], off
	v_add_co_u32 v14, vcc_lo, v14, 32
	v_add_co_ci_u32_e64 v15, null, 0, v15, vcc_lo
	v_add_co_u32 v5, vcc_lo, v5, -2
	v_perm_b32 v20, v19, v18, 0x7030c0c
	v_perm_b32 v21, v17, v16, 0xc0c0602
	;; [unrolled: 1-line block ×4, first 2 shown]
	v_add_co_ci_u32_e64 v6, null, -1, v6, vcc_lo
	v_or_b32_e32 v7, v20, v7
	v_or_b32_e32 v18, v22, v21
	;; [unrolled: 1-line block ×4, first 2 shown]
	v_cmp_eq_u64_e32 vcc_lo, 0, v[5:6]
	s_or_b32 s6, vcc_lo, s6
	s_waitcnt vmcnt(0)
	v_dot4c_i32_i8 v3, v4, v7
	v_dot4c_i32_i8 v2, v4, v18
	;; [unrolled: 1-line block ×4, first 2 shown]
	s_andn2_b32 exec_lo, exec_lo, s6
	s_cbranch_execnz .LBB70_39
; %bb.40:
	s_or_b32 exec_lo, exec_lo, s6
	v_mov_b32_e32 v4, v3
.LBB70_41:
	s_or_b32 exec_lo, exec_lo, s0
.LBB70_42:
	s_or_b32 exec_lo, exec_lo, s1
.LBB70_43:
	v_mbcnt_lo_u32_b32 v3, -1, 0
	s_mov_b32 s2, -1
	v_xor_b32_e32 v5, 2, v3
	v_xor_b32_e32 v11, 1, v3
	v_cmp_gt_i32_e32 vcc_lo, 32, v5
	v_cndmask_b32_e32 v5, v3, v5, vcc_lo
	v_cmp_gt_i32_e32 vcc_lo, 32, v11
	v_lshlrev_b32_e32 v5, 2, v5
	v_cndmask_b32_e32 v3, v3, v11, vcc_lo
	v_cmp_eq_u32_e32 vcc_lo, 3, v26
	ds_bpermute_b32 v6, v5, v0
	ds_bpermute_b32 v7, v5, v1
	;; [unrolled: 1-line block ×4, first 2 shown]
	v_lshlrev_b32_e32 v11, 2, v3
	s_waitcnt lgkmcnt(3)
	v_add_nc_u32_e32 v0, v6, v0
	s_waitcnt lgkmcnt(2)
	v_add_nc_u32_e32 v1, v7, v1
	;; [unrolled: 2-line block ×4, first 2 shown]
	ds_bpermute_b32 v4, v11, v0
	ds_bpermute_b32 v5, v11, v1
	ds_bpermute_b32 v6, v11, v2
	ds_bpermute_b32 v7, v11, v3
	s_and_b32 exec_lo, exec_lo, vcc_lo
	s_cbranch_execz .LBB70_14
; %bb.44:
	s_load_dwordx2 s[0:1], s[4:5], 0x58
	s_waitcnt lgkmcnt(0)
	v_add_nc_u32_e32 v0, v4, v0
	v_add_nc_u32_e32 v1, v5, v1
	;; [unrolled: 1-line block ×4, first 2 shown]
	v_lshlrev_b64 v[4:5], 4, v[8:9]
	v_mul_lo_u32 v0, v0, s7
	v_mul_lo_u32 v1, v1, s7
	;; [unrolled: 1-line block ×4, first 2 shown]
	s_cmp_eq_u32 s16, 0
	s_cbranch_scc1 .LBB70_46
; %bb.45:
	v_add_co_u32 v13, vcc_lo, s0, v4
	v_add_co_ci_u32_e64 v14, null, s1, v5, vcc_lo
	s_mov_b32 s2, 0
	global_load_dwordx4 v[6:9], v[13:14], off
	s_waitcnt vmcnt(0)
	v_mad_u64_u32 v[15:16], null, v9, s16, v[3:4]
	v_mad_u64_u32 v[9:10], null, v6, s16, v[0:1]
	;; [unrolled: 1-line block ×4, first 2 shown]
	v_mov_b32_e32 v12, v15
	global_store_dwordx4 v[13:14], v[9:12], off
.LBB70_46:
	s_andn2_b32 vcc_lo, exec_lo, s2
	s_cbranch_vccnz .LBB70_14
; %bb.47:
	v_add_co_u32 v4, vcc_lo, s0, v4
	v_add_co_ci_u32_e64 v5, null, s1, v5, vcc_lo
	global_store_dwordx4 v[4:5], v[0:3], off
	s_endpgm
	.section	.rodata,"a",@progbits
	.p2align	6, 0x0
	.amdhsa_kernel _ZN9rocsparseL18bsrxmvn_4x4_kernelILj128ELj4EillaaiEEvT3_20rocsparse_direction_NS_24const_host_device_scalarIT1_EES1_PKS1_PKT2_SA_S7_PKT4_PKT5_S5_PT6_21rocsparse_index_base_b
		.amdhsa_group_segment_fixed_size 0
		.amdhsa_private_segment_fixed_size 0
		.amdhsa_kernarg_size 104
		.amdhsa_user_sgpr_count 6
		.amdhsa_user_sgpr_private_segment_buffer 1
		.amdhsa_user_sgpr_dispatch_ptr 0
		.amdhsa_user_sgpr_queue_ptr 0
		.amdhsa_user_sgpr_kernarg_segment_ptr 1
		.amdhsa_user_sgpr_dispatch_id 0
		.amdhsa_user_sgpr_flat_scratch_init 0
		.amdhsa_user_sgpr_private_segment_size 0
		.amdhsa_wavefront_size32 1
		.amdhsa_uses_dynamic_stack 0
		.amdhsa_system_sgpr_private_segment_wavefront_offset 0
		.amdhsa_system_sgpr_workgroup_id_x 1
		.amdhsa_system_sgpr_workgroup_id_y 0
		.amdhsa_system_sgpr_workgroup_id_z 0
		.amdhsa_system_sgpr_workgroup_info 0
		.amdhsa_system_vgpr_workitem_id 0
		.amdhsa_next_free_vgpr 59
		.amdhsa_next_free_sgpr 17
		.amdhsa_reserve_vcc 1
		.amdhsa_reserve_flat_scratch 0
		.amdhsa_float_round_mode_32 0
		.amdhsa_float_round_mode_16_64 0
		.amdhsa_float_denorm_mode_32 3
		.amdhsa_float_denorm_mode_16_64 3
		.amdhsa_dx10_clamp 1
		.amdhsa_ieee_mode 1
		.amdhsa_fp16_overflow 0
		.amdhsa_workgroup_processor_mode 1
		.amdhsa_memory_ordered 1
		.amdhsa_forward_progress 1
		.amdhsa_shared_vgpr_count 0
		.amdhsa_exception_fp_ieee_invalid_op 0
		.amdhsa_exception_fp_denorm_src 0
		.amdhsa_exception_fp_ieee_div_zero 0
		.amdhsa_exception_fp_ieee_overflow 0
		.amdhsa_exception_fp_ieee_underflow 0
		.amdhsa_exception_fp_ieee_inexact 0
		.amdhsa_exception_int_div_zero 0
	.end_amdhsa_kernel
	.section	.text._ZN9rocsparseL18bsrxmvn_4x4_kernelILj128ELj4EillaaiEEvT3_20rocsparse_direction_NS_24const_host_device_scalarIT1_EES1_PKS1_PKT2_SA_S7_PKT4_PKT5_S5_PT6_21rocsparse_index_base_b,"axG",@progbits,_ZN9rocsparseL18bsrxmvn_4x4_kernelILj128ELj4EillaaiEEvT3_20rocsparse_direction_NS_24const_host_device_scalarIT1_EES1_PKS1_PKT2_SA_S7_PKT4_PKT5_S5_PT6_21rocsparse_index_base_b,comdat
.Lfunc_end70:
	.size	_ZN9rocsparseL18bsrxmvn_4x4_kernelILj128ELj4EillaaiEEvT3_20rocsparse_direction_NS_24const_host_device_scalarIT1_EES1_PKS1_PKT2_SA_S7_PKT4_PKT5_S5_PT6_21rocsparse_index_base_b, .Lfunc_end70-_ZN9rocsparseL18bsrxmvn_4x4_kernelILj128ELj4EillaaiEEvT3_20rocsparse_direction_NS_24const_host_device_scalarIT1_EES1_PKS1_PKT2_SA_S7_PKT4_PKT5_S5_PT6_21rocsparse_index_base_b
                                        ; -- End function
	.set _ZN9rocsparseL18bsrxmvn_4x4_kernelILj128ELj4EillaaiEEvT3_20rocsparse_direction_NS_24const_host_device_scalarIT1_EES1_PKS1_PKT2_SA_S7_PKT4_PKT5_S5_PT6_21rocsparse_index_base_b.num_vgpr, 59
	.set _ZN9rocsparseL18bsrxmvn_4x4_kernelILj128ELj4EillaaiEEvT3_20rocsparse_direction_NS_24const_host_device_scalarIT1_EES1_PKS1_PKT2_SA_S7_PKT4_PKT5_S5_PT6_21rocsparse_index_base_b.num_agpr, 0
	.set _ZN9rocsparseL18bsrxmvn_4x4_kernelILj128ELj4EillaaiEEvT3_20rocsparse_direction_NS_24const_host_device_scalarIT1_EES1_PKS1_PKT2_SA_S7_PKT4_PKT5_S5_PT6_21rocsparse_index_base_b.numbered_sgpr, 17
	.set _ZN9rocsparseL18bsrxmvn_4x4_kernelILj128ELj4EillaaiEEvT3_20rocsparse_direction_NS_24const_host_device_scalarIT1_EES1_PKS1_PKT2_SA_S7_PKT4_PKT5_S5_PT6_21rocsparse_index_base_b.num_named_barrier, 0
	.set _ZN9rocsparseL18bsrxmvn_4x4_kernelILj128ELj4EillaaiEEvT3_20rocsparse_direction_NS_24const_host_device_scalarIT1_EES1_PKS1_PKT2_SA_S7_PKT4_PKT5_S5_PT6_21rocsparse_index_base_b.private_seg_size, 0
	.set _ZN9rocsparseL18bsrxmvn_4x4_kernelILj128ELj4EillaaiEEvT3_20rocsparse_direction_NS_24const_host_device_scalarIT1_EES1_PKS1_PKT2_SA_S7_PKT4_PKT5_S5_PT6_21rocsparse_index_base_b.uses_vcc, 1
	.set _ZN9rocsparseL18bsrxmvn_4x4_kernelILj128ELj4EillaaiEEvT3_20rocsparse_direction_NS_24const_host_device_scalarIT1_EES1_PKS1_PKT2_SA_S7_PKT4_PKT5_S5_PT6_21rocsparse_index_base_b.uses_flat_scratch, 0
	.set _ZN9rocsparseL18bsrxmvn_4x4_kernelILj128ELj4EillaaiEEvT3_20rocsparse_direction_NS_24const_host_device_scalarIT1_EES1_PKS1_PKT2_SA_S7_PKT4_PKT5_S5_PT6_21rocsparse_index_base_b.has_dyn_sized_stack, 0
	.set _ZN9rocsparseL18bsrxmvn_4x4_kernelILj128ELj4EillaaiEEvT3_20rocsparse_direction_NS_24const_host_device_scalarIT1_EES1_PKS1_PKT2_SA_S7_PKT4_PKT5_S5_PT6_21rocsparse_index_base_b.has_recursion, 0
	.set _ZN9rocsparseL18bsrxmvn_4x4_kernelILj128ELj4EillaaiEEvT3_20rocsparse_direction_NS_24const_host_device_scalarIT1_EES1_PKS1_PKT2_SA_S7_PKT4_PKT5_S5_PT6_21rocsparse_index_base_b.has_indirect_call, 0
	.section	.AMDGPU.csdata,"",@progbits
; Kernel info:
; codeLenInByte = 3860
; TotalNumSgprs: 19
; NumVgprs: 59
; ScratchSize: 0
; MemoryBound: 0
; FloatMode: 240
; IeeeMode: 1
; LDSByteSize: 0 bytes/workgroup (compile time only)
; SGPRBlocks: 0
; VGPRBlocks: 7
; NumSGPRsForWavesPerEU: 19
; NumVGPRsForWavesPerEU: 59
; Occupancy: 16
; WaveLimiterHint : 1
; COMPUTE_PGM_RSRC2:SCRATCH_EN: 0
; COMPUTE_PGM_RSRC2:USER_SGPR: 6
; COMPUTE_PGM_RSRC2:TRAP_HANDLER: 0
; COMPUTE_PGM_RSRC2:TGID_X_EN: 1
; COMPUTE_PGM_RSRC2:TGID_Y_EN: 0
; COMPUTE_PGM_RSRC2:TGID_Z_EN: 0
; COMPUTE_PGM_RSRC2:TIDIG_COMP_CNT: 0
	.section	.text._ZN9rocsparseL18bsrxmvn_4x4_kernelILj128ELj8EillaaiEEvT3_20rocsparse_direction_NS_24const_host_device_scalarIT1_EES1_PKS1_PKT2_SA_S7_PKT4_PKT5_S5_PT6_21rocsparse_index_base_b,"axG",@progbits,_ZN9rocsparseL18bsrxmvn_4x4_kernelILj128ELj8EillaaiEEvT3_20rocsparse_direction_NS_24const_host_device_scalarIT1_EES1_PKS1_PKT2_SA_S7_PKT4_PKT5_S5_PT6_21rocsparse_index_base_b,comdat
	.globl	_ZN9rocsparseL18bsrxmvn_4x4_kernelILj128ELj8EillaaiEEvT3_20rocsparse_direction_NS_24const_host_device_scalarIT1_EES1_PKS1_PKT2_SA_S7_PKT4_PKT5_S5_PT6_21rocsparse_index_base_b ; -- Begin function _ZN9rocsparseL18bsrxmvn_4x4_kernelILj128ELj8EillaaiEEvT3_20rocsparse_direction_NS_24const_host_device_scalarIT1_EES1_PKS1_PKT2_SA_S7_PKT4_PKT5_S5_PT6_21rocsparse_index_base_b
	.p2align	8
	.type	_ZN9rocsparseL18bsrxmvn_4x4_kernelILj128ELj8EillaaiEEvT3_20rocsparse_direction_NS_24const_host_device_scalarIT1_EES1_PKS1_PKT2_SA_S7_PKT4_PKT5_S5_PT6_21rocsparse_index_base_b,@function
_ZN9rocsparseL18bsrxmvn_4x4_kernelILj128ELj8EillaaiEEvT3_20rocsparse_direction_NS_24const_host_device_scalarIT1_EES1_PKS1_PKT2_SA_S7_PKT4_PKT5_S5_PT6_21rocsparse_index_base_b: ; @_ZN9rocsparseL18bsrxmvn_4x4_kernelILj128ELj8EillaaiEEvT3_20rocsparse_direction_NS_24const_host_device_scalarIT1_EES1_PKS1_PKT2_SA_S7_PKT4_PKT5_S5_PT6_21rocsparse_index_base_b
; %bb.0:
	s_clause 0x1
	s_load_dwordx2 s[8:9], s[4:5], 0x60
	s_load_dwordx4 s[0:3], s[4:5], 0x10
	s_mov_b32 s12, -1
	s_waitcnt lgkmcnt(0)
	s_bitcmp1_b32 s9, 0
	s_cselect_b32 s7, -1, 0
	s_xor_b32 s9, s7, -1
                                        ; implicit-def: $sgpr7
	s_and_b32 vcc_lo, exec_lo, s9
	s_cbranch_vccnz .LBB71_4
; %bb.1:
	s_load_dwordx2 s[10:11], s[4:5], 0x50
	s_andn2_b32 vcc_lo, exec_lo, s12
	s_cbranch_vccz .LBB71_5
.LBB71_2:
	s_and_b32 vcc_lo, exec_lo, s9
	s_cbranch_vccz .LBB71_6
.LBB71_3:
	s_waitcnt lgkmcnt(0)
	s_load_dword s16, s[10:11], 0x0
	s_cbranch_execz .LBB71_7
	s_branch .LBB71_8
.LBB71_4:
	s_load_dword s7, s[0:1], 0x0
	s_load_dwordx2 s[10:11], s[4:5], 0x50
	s_cbranch_execnz .LBB71_2
.LBB71_5:
	s_waitcnt lgkmcnt(0)
	s_mov_b32 s7, s0
	s_and_b32 vcc_lo, exec_lo, s9
	s_cbranch_vccnz .LBB71_3
.LBB71_6:
                                        ; implicit-def: $sgpr16
.LBB71_7:
	s_waitcnt lgkmcnt(0)
	s_mov_b32 s16, s10
.LBB71_8:
	s_waitcnt lgkmcnt(0)
	s_cmp_lg_u32 s7, 0
	s_mov_b32 s10, 0
	s_cselect_b32 s0, -1, 0
	s_cmp_lg_u32 s16, 1
	s_cselect_b32 s1, -1, 0
	s_or_b32 s0, s0, s1
	s_andn2_b32 vcc_lo, exec_lo, s0
	s_cbranch_vccnz .LBB71_14
; %bb.9:
	s_load_dwordx2 s[0:1], s[4:5], 0x20
	v_lshrrev_b32_e32 v1, 3, v0
	v_mov_b32_e32 v2, 0
	v_lshl_or_b32 v1, s6, 4, v1
	s_waitcnt lgkmcnt(0)
	s_cmp_lg_u64 s[0:1], 0
	s_cbranch_scc0 .LBB71_15
; %bb.10:
	v_cmp_gt_i64_e32 vcc_lo, s[2:3], v[1:2]
	s_mov_b32 s2, 0
                                        ; implicit-def: $vgpr8_vgpr9
                                        ; implicit-def: $vgpr10_vgpr11
	s_and_saveexec_b32 s3, vcc_lo
	s_xor_b32 s3, exec_lo, s3
	s_cbranch_execz .LBB71_12
; %bb.11:
	v_lshlrev_b64 v[3:4], 3, v[1:2]
	s_mov_b32 s9, 0
	s_mov_b32 s10, exec_lo
	v_mov_b32_e32 v11, s9
	v_mov_b32_e32 v10, s8
	v_add_co_u32 v3, vcc_lo, s0, v3
	v_add_co_ci_u32_e64 v4, null, s1, v4, vcc_lo
	global_load_dwordx2 v[3:4], v[3:4], off
	s_waitcnt vmcnt(0)
	v_sub_co_u32 v8, vcc_lo, v3, s8
	v_subrev_co_ci_u32_e64 v9, null, 0, v4, vcc_lo
.LBB71_12:
	s_or_b32 exec_lo, exec_lo, s3
	s_and_b32 vcc_lo, exec_lo, s2
	s_cbranch_vccnz .LBB71_16
.LBB71_13:
	s_and_saveexec_b32 s0, s10
	s_cbranch_execnz .LBB71_19
.LBB71_14:
	s_endpgm
.LBB71_15:
                                        ; implicit-def: $vgpr8_vgpr9
                                        ; implicit-def: $vgpr10_vgpr11
	s_cbranch_execz .LBB71_13
.LBB71_16:
	s_load_dwordx2 s[0:1], s[4:5], 0x0
	s_waitcnt lgkmcnt(0)
	v_cmp_gt_i64_e32 vcc_lo, s[0:1], v[1:2]
	s_and_saveexec_b32 s0, vcc_lo
; %bb.17:
	s_mov_b32 s9, 0
	s_or_b32 s10, s10, exec_lo
; %bb.18:
	s_or_b32 exec_lo, exec_lo, s0
	v_mov_b32_e32 v11, s9
	v_mov_b32_e32 v9, v2
	;; [unrolled: 1-line block ×4, first 2 shown]
	s_and_saveexec_b32 s0, s10
	s_cbranch_execz .LBB71_14
.LBB71_19:
	s_load_dwordx8 s[8:15], s[4:5], 0x28
	v_lshlrev_b64 v[1:2], 3, v[8:9]
	v_and_b32_e32 v26, 7, v0
	s_clause 0x1
	s_load_dword s1, s[4:5], 0x8
	s_load_dwordx2 s[2:3], s[4:5], 0x48
	s_waitcnt lgkmcnt(0)
	v_add_co_u32 v3, vcc_lo, s8, v1
	v_add_co_ci_u32_e64 v4, null, s9, v2, vcc_lo
	v_add_co_u32 v1, vcc_lo, s10, v1
	v_add_co_ci_u32_e64 v2, null, s11, v2, vcc_lo
	v_add_co_u32 v5, vcc_lo, v3, 8
	global_load_dwordx2 v[16:17], v[3:4], off
	v_add_co_ci_u32_e64 v6, null, 0, v4, vcc_lo
	s_cmp_eq_u64 s[10:11], 0
	v_mov_b32_e32 v4, 0
	s_cselect_b32 vcc_lo, -1, 0
	s_cmp_eq_u32 s1, 1
	v_cndmask_b32_e32 v2, v2, v6, vcc_lo
	v_cndmask_b32_e32 v1, v1, v5, vcc_lo
	global_load_dwordx2 v[1:2], v[1:2], off
	s_waitcnt vmcnt(1)
	v_sub_co_u32 v0, vcc_lo, v16, v10
	v_sub_co_ci_u32_e64 v3, null, v17, v11, vcc_lo
	v_add_co_u32 v14, vcc_lo, v0, v26
	v_add_co_ci_u32_e64 v15, null, 0, v3, vcc_lo
	s_waitcnt vmcnt(0)
	v_sub_co_u32 v18, vcc_lo, v1, v10
	v_lshlrev_b64 v[0:1], 4, v[14:15]
	v_sub_co_ci_u32_e64 v19, null, v2, v11, vcc_lo
	v_add_co_u32 v12, vcc_lo, s14, v0
	v_cmp_lt_i64_e64 s0, v[14:15], v[18:19]
	v_add_co_ci_u32_e64 v13, null, s15, v1, vcc_lo
	s_cbranch_scc1 .LBB71_31
; %bb.20:
	v_mov_b32_e32 v2, 0
	v_mov_b32_e32 v1, 0
	;; [unrolled: 1-line block ×3, first 2 shown]
	s_and_saveexec_b32 s6, s0
	s_cbranch_execz .LBB71_30
; %bb.21:
	v_or_b32_e32 v0, 8, v26
	v_not_b32_e32 v3, v16
	v_sub_co_u32 v4, s1, v10, v26
	v_not_b32_e32 v2, v17
	v_sub_co_u32 v0, vcc_lo, v0, v10
	v_sub_co_ci_u32_e64 v1, null, 0, v11, vcc_lo
	v_subrev_co_ci_u32_e64 v5, null, 0, v11, s1
	v_add_co_u32 v0, vcc_lo, v0, v16
	v_add_co_ci_u32_e64 v1, null, v1, v17, vcc_lo
	v_mov_b32_e32 v21, v15
	v_mov_b32_e32 v20, v14
	s_mov_b32 s9, 0
	v_cmp_gt_i64_e32 vcc_lo, v[0:1], v[18:19]
	v_cndmask_b32_e32 v1, v19, v1, vcc_lo
	v_cndmask_b32_e32 v0, v18, v0, vcc_lo
	v_add_co_u32 v3, vcc_lo, v4, v3
	v_add_co_ci_u32_e64 v2, null, v5, v2, vcc_lo
	v_mov_b32_e32 v4, 0
	v_add_co_u32 v22, vcc_lo, v3, v0
	v_add_co_ci_u32_e64 v23, null, v2, v1, vcc_lo
	v_mov_b32_e32 v5, v4
	v_mov_b32_e32 v6, v4
	;; [unrolled: 1-line block ×3, first 2 shown]
	v_lshrrev_b64 v[24:25], 3, v[22:23]
	v_mov_b32_e32 v0, v4
	v_mov_b32_e32 v1, v5
	;; [unrolled: 1-line block ×4, first 2 shown]
	v_cmp_lt_u64_e32 vcc_lo, 23, v[22:23]
	v_add_co_u32 v7, s1, v24, 1
	v_mov_b32_e32 v5, v12
	v_add_co_ci_u32_e64 v23, null, 0, v25, s1
	v_mov_b32_e32 v6, v13
	s_and_saveexec_b32 s8, vcc_lo
	s_cbranch_execz .LBB71_25
; %bb.22:
	v_lshlrev_b64 v[0:1], 3, v[14:15]
	v_mov_b32_e32 v5, v12
	v_mov_b32_e32 v21, v15
	v_and_b32_e32 v22, -4, v7
	v_mov_b32_e32 v2, 0
	v_mov_b32_e32 v6, v13
	v_add_co_u32 v0, vcc_lo, s12, v0
	v_add_co_ci_u32_e64 v3, null, s13, v1, vcc_lo
	v_mov_b32_e32 v1, 0
	v_add_co_u32 v24, vcc_lo, 0x80, v0
	v_add_co_ci_u32_e64 v25, null, 0, v3, vcc_lo
	v_mov_b32_e32 v0, 0
	v_mov_b32_e32 v20, v14
.LBB71_23:                              ; =>This Inner Loop Header: Depth=1
	s_clause 0x3
	global_load_dwordx2 v[39:40], v[24:25], off offset:-128
	global_load_dwordx2 v[41:42], v[24:25], off offset:-64
	global_load_dwordx2 v[43:44], v[24:25], off
	global_load_dwordx2 v[45:46], v[24:25], off offset:64
	s_clause 0x2
	global_load_dwordx4 v[27:30], v[5:6], off
	global_load_dwordx4 v[31:34], v[5:6], off offset:128
	global_load_dwordx4 v[35:38], v[5:6], off offset:256
	s_waitcnt vmcnt(6)
	v_sub_co_u32 v39, vcc_lo, v39, v10
	v_sub_co_ci_u32_e64 v40, null, v40, v11, vcc_lo
	s_waitcnt vmcnt(5)
	v_sub_co_u32 v41, vcc_lo, v41, v10
	v_sub_co_ci_u32_e64 v42, null, v42, v11, vcc_lo
	;; [unrolled: 3-line block ×3, first 2 shown]
	v_lshlrev_b64 v[39:40], 2, v[39:40]
	v_lshlrev_b64 v[41:42], 2, v[41:42]
	s_waitcnt vmcnt(3)
	v_sub_co_u32 v45, vcc_lo, v45, v10
	v_lshlrev_b64 v[43:44], 2, v[43:44]
	v_sub_co_ci_u32_e64 v46, null, v46, v11, vcc_lo
	v_add_co_u32 v39, s1, s2, v39
	v_add_co_ci_u32_e64 v40, null, s3, v40, s1
	v_add_co_u32 v41, s1, s2, v41
	v_add_co_ci_u32_e64 v42, null, s3, v42, s1
	;; [unrolled: 2-line block ×3, first 2 shown]
	s_clause 0x2
	global_load_dword v3, v[39:40], off
	global_load_dword v47, v[41:42], off
	;; [unrolled: 1-line block ×3, first 2 shown]
	v_lshlrev_b64 v[39:40], 2, v[45:46]
	s_waitcnt vmcnt(5)
	v_ashrrev_i32_e32 v45, 24, v30
	s_waitcnt vmcnt(4)
	v_lshrrev_b16 v49, 8, v34
	v_bfe_i32 v46, v30, 0, 8
	s_waitcnt vmcnt(3)
	v_bfe_i32 v50, v38, 8, 8
	v_add_co_u32 v43, vcc_lo, s2, v39
	v_add_co_ci_u32_e64 v44, null, s3, v40, vcc_lo
	global_load_dwordx4 v[39:42], v[5:6], off offset:384
	global_load_dword v43, v[43:44], off
	v_lshrrev_b16 v44, 8, v30
	v_bfe_i32 v30, v30, 16, 8
	v_add_co_u32 v5, vcc_lo, 0x200, v5
	v_add_co_ci_u32_e64 v6, null, 0, v6, vcc_lo
	v_add_co_u32 v20, vcc_lo, v20, 32
	v_add_co_ci_u32_e64 v21, null, 0, v21, vcc_lo
	v_add_co_u32 v22, vcc_lo, v22, -4
	v_add_co_ci_u32_e64 v23, null, -1, v23, vcc_lo
	v_add_co_u32 v24, vcc_lo, 0x100, v24
	v_add_co_ci_u32_e64 v25, null, 0, v25, vcc_lo
	v_cmp_eq_u64_e32 vcc_lo, 0, v[22:23]
	s_or_b32 s9, vcc_lo, s9
	s_waitcnt vmcnt(4)
	v_lshrrev_b16 v51, 8, v3
	v_ashrrev_i32_e32 v52, 24, v3
	v_bfe_i32 v53, v3, 0, 8
	v_bfe_i32 v54, v3, 16, 8
	v_dot4c_i32_i8 v0, v3, v27
	v_dot4c_i32_i8 v1, v3, v28
	;; [unrolled: 1-line block ×3, first 2 shown]
	s_waitcnt vmcnt(3)
	v_lshrrev_b16 v3, 8, v47
	v_mul_i32_i24_sdwa v28, sext(v34), sext(v47) dst_sel:DWORD dst_unused:UNUSED_PAD src0_sel:BYTE_3 src1_sel:BYTE_3
	v_mul_i32_i24_sdwa v27, sext(v34), sext(v47) dst_sel:DWORD dst_unused:UNUSED_PAD src0_sel:BYTE_0 src1_sel:BYTE_0
	v_mul_i32_i24_sdwa v29, sext(v34), sext(v47) dst_sel:DWORD dst_unused:UNUSED_PAD src0_sel:BYTE_2 src1_sel:BYTE_2
	v_mul_i32_i24_sdwa v44, sext(v44), sext(v51) dst_sel:DWORD dst_unused:UNUSED_PAD src0_sel:BYTE_0 src1_sel:BYTE_0
	v_mul_i32_i24_sdwa v3, sext(v49), sext(v3) dst_sel:DWORD dst_unused:UNUSED_PAD src0_sel:BYTE_0 src1_sel:BYTE_0
	v_mad_i32_i24 v28, v45, v52, v28
	s_waitcnt vmcnt(2)
	v_bfe_i32 v34, v48, 8, 8
	v_mul_i32_i24_sdwa v45, sext(v38), sext(v48) dst_sel:DWORD dst_unused:UNUSED_PAD src0_sel:BYTE_2 src1_sel:BYTE_2
	v_mad_i32_i24 v29, v30, v54, v29
	v_mad_i32_i24 v27, v46, v53, v27
	v_add3_u32 v3, v44, v3, v28
	v_mul_i32_i24_sdwa v28, sext(v48), sext(v38) dst_sel:DWORD dst_unused:UNUSED_PAD src0_sel:BYTE_0 src1_sel:BYTE_0
	v_mad_i32_i24 v34, v34, v50, v45
	v_mul_i32_i24_sdwa v30, sext(v38), sext(v48) dst_sel:DWORD dst_unused:UNUSED_PAD src0_sel:BYTE_3 src1_sel:BYTE_3
	v_dot4c_i32_i8 v0, v47, v31
	v_add3_u32 v3, v27, v29, v3
	v_dot4c_i32_i8 v2, v47, v33
	v_dot4c_i32_i8 v1, v47, v32
	;; [unrolled: 1-line block ×3, first 2 shown]
	v_add3_u32 v3, v3, v28, v34
	v_dot4c_i32_i8 v2, v37, v48
	v_dot4c_i32_i8 v1, v36, v48
	s_waitcnt vmcnt(0)
	v_dot4c_i32_i8 v0, v43, v39
	v_add3_u32 v4, v3, v4, v30
	v_dot4c_i32_i8 v2, v43, v41
	v_dot4c_i32_i8 v1, v43, v40
	;; [unrolled: 1-line block ×3, first 2 shown]
	s_andn2_b32 exec_lo, exec_lo, s9
	s_cbranch_execnz .LBB71_23
; %bb.24:
	s_or_b32 exec_lo, exec_lo, s9
	v_mov_b32_e32 v3, v4
.LBB71_25:
	s_or_b32 exec_lo, exec_lo, s8
	v_and_b32_e32 v22, 3, v7
	v_mov_b32_e32 v23, 0
	s_mov_b32 s1, exec_lo
	v_cmpx_ne_u64_e32 0, v[22:23]
	s_cbranch_execz .LBB71_29
; %bb.26:
	v_lshlrev_b64 v[20:21], 3, v[20:21]
	v_lshlrev_b32_e32 v22, 1, v22
	s_mov_b32 s8, 0
	v_add_co_u32 v20, vcc_lo, s12, v20
	v_add_co_ci_u32_e64 v21, null, s13, v21, vcc_lo
	s_inst_prefetch 0x1
	.p2align	6
.LBB71_27:                              ; =>This Inner Loop Header: Depth=1
	global_load_dwordx2 v[24:25], v[20:21], off
	s_waitcnt vmcnt(0)
	v_sub_co_u32 v24, vcc_lo, v24, v10
	v_sub_co_ci_u32_e64 v25, null, v25, v11, vcc_lo
	v_lshlrev_b64 v[24:25], 2, v[24:25]
	v_add_co_u32 v24, vcc_lo, s2, v24
	v_add_co_ci_u32_e64 v25, null, s3, v25, vcc_lo
	global_load_dwordx4 v[27:30], v[5:6], off
	global_load_dword v4, v[24:25], off
	v_add_co_u32 v5, vcc_lo, 0x80, v5
	v_add_co_ci_u32_e64 v6, null, 0, v6, vcc_lo
	v_add_co_u32 v22, vcc_lo, v22, -2
	v_add_co_ci_u32_e64 v23, null, -1, v23, vcc_lo
	v_add_co_u32 v20, vcc_lo, v20, 64
	v_add_co_ci_u32_e64 v21, null, 0, v21, vcc_lo
	v_cmp_eq_u64_e32 vcc_lo, 0, v[22:23]
	s_or_b32 s8, vcc_lo, s8
	s_waitcnt vmcnt(0)
	v_dot4c_i32_i8 v3, v4, v30
	v_dot4c_i32_i8 v2, v4, v29
	;; [unrolled: 1-line block ×4, first 2 shown]
	s_andn2_b32 exec_lo, exec_lo, s8
	s_cbranch_execnz .LBB71_27
; %bb.28:
	s_inst_prefetch 0x2
	s_or_b32 exec_lo, exec_lo, s8
	v_mov_b32_e32 v4, v3
.LBB71_29:
	s_or_b32 exec_lo, exec_lo, s1
.LBB71_30:
	s_or_b32 exec_lo, exec_lo, s6
	s_cbranch_execz .LBB71_32
	s_branch .LBB71_43
.LBB71_31:
                                        ; implicit-def: $vgpr4
                                        ; implicit-def: $vgpr2
.LBB71_32:
	v_mov_b32_e32 v4, 0
	v_mov_b32_e32 v2, 0
	;; [unrolled: 1-line block ×4, first 2 shown]
	s_and_saveexec_b32 s1, s0
	s_cbranch_execz .LBB71_42
; %bb.33:
	v_or_b32_e32 v0, 8, v26
	v_not_b32_e32 v3, v16
	v_sub_co_u32 v4, s0, v10, v26
	v_not_b32_e32 v2, v17
	v_sub_co_u32 v0, vcc_lo, v0, v10
	v_sub_co_ci_u32_e64 v1, null, 0, v11, vcc_lo
	v_subrev_co_ci_u32_e64 v5, null, 0, v11, s0
	v_add_co_u32 v0, vcc_lo, v0, v16
	v_add_co_ci_u32_e64 v1, null, v1, v17, vcc_lo
	s_mov_b32 s8, 0
	v_cmp_gt_i64_e32 vcc_lo, v[0:1], v[18:19]
	v_cndmask_b32_e32 v1, v19, v1, vcc_lo
	v_cndmask_b32_e32 v0, v18, v0, vcc_lo
	v_add_co_u32 v3, vcc_lo, v4, v3
	v_add_co_ci_u32_e64 v2, null, v5, v2, vcc_lo
	v_mov_b32_e32 v4, 0
	v_add_co_u32 v0, vcc_lo, v3, v0
	v_add_co_ci_u32_e64 v1, null, v2, v1, vcc_lo
	v_mov_b32_e32 v5, v4
	v_mov_b32_e32 v6, v4
	;; [unrolled: 1-line block ×3, first 2 shown]
	v_lshrrev_b64 v[2:3], 3, v[0:1]
	v_cmp_lt_u64_e32 vcc_lo, 23, v[0:1]
	v_add_co_u32 v18, s0, v2, 1
	v_add_co_ci_u32_e64 v17, null, 0, v3, s0
	v_mov_b32_e32 v0, v4
	v_mov_b32_e32 v1, v5
	;; [unrolled: 1-line block ×4, first 2 shown]
	s_and_saveexec_b32 s6, vcc_lo
	s_cbranch_execz .LBB71_37
; %bb.34:
	v_lshlrev_b64 v[0:1], 3, v[14:15]
	v_and_b32_e32 v16, -4, v18
	v_mov_b32_e32 v2, 0
	v_add_co_u32 v0, vcc_lo, s12, v0
	v_add_co_ci_u32_e64 v3, null, s13, v1, vcc_lo
	v_mov_b32_e32 v1, 0
	v_add_co_u32 v5, vcc_lo, 0x80, v0
	v_add_co_ci_u32_e64 v6, null, 0, v3, vcc_lo
	v_mov_b32_e32 v0, 0
.LBB71_35:                              ; =>This Inner Loop Header: Depth=1
	s_clause 0x3
	global_load_dwordx2 v[23:24], v[5:6], off offset:-128
	global_load_dwordx2 v[39:40], v[5:6], off offset:-64
	global_load_dwordx2 v[41:42], v[5:6], off
	global_load_dwordx2 v[43:44], v[5:6], off offset:64
	s_clause 0x3
	global_load_dwordx4 v[19:22], v[12:13], off
	global_load_dwordx4 v[27:30], v[12:13], off offset:128
	global_load_dwordx4 v[31:34], v[12:13], off offset:256
	;; [unrolled: 1-line block ×3, first 2 shown]
	s_waitcnt vmcnt(7)
	v_sub_co_u32 v23, vcc_lo, v23, v10
	v_sub_co_ci_u32_e64 v24, null, v24, v11, vcc_lo
	s_waitcnt vmcnt(6)
	v_sub_co_u32 v39, vcc_lo, v39, v10
	v_sub_co_ci_u32_e64 v40, null, v40, v11, vcc_lo
	;; [unrolled: 3-line block ×3, first 2 shown]
	v_lshlrev_b64 v[23:24], 2, v[23:24]
	v_lshlrev_b64 v[39:40], 2, v[39:40]
	s_waitcnt vmcnt(4)
	v_sub_co_u32 v43, vcc_lo, v43, v10
	v_lshlrev_b64 v[41:42], 2, v[41:42]
	v_sub_co_ci_u32_e64 v44, null, v44, v11, vcc_lo
	v_add_co_u32 v23, s0, s2, v23
	v_add_co_ci_u32_e64 v24, null, s3, v24, s0
	v_add_co_u32 v39, s0, s2, v39
	v_add_co_ci_u32_e64 v40, null, s3, v40, s0
	;; [unrolled: 2-line block ×3, first 2 shown]
	s_clause 0x2
	global_load_dword v3, v[23:24], off
	global_load_dword v7, v[39:40], off
	;; [unrolled: 1-line block ×3, first 2 shown]
	v_lshlrev_b64 v[23:24], 2, v[43:44]
	s_waitcnt vmcnt(6)
	v_perm_b32 v40, v21, v20, 0xc05010c
	v_perm_b32 v42, v21, v20, 0xc06020c
	s_waitcnt vmcnt(5)
	v_perm_b32 v44, v29, v28, 0x4000c0c
	v_perm_b32 v45, v27, v22, 0xc0c0501
	v_perm_b32 v46, v29, v28, 0x5010c0c
	v_add_co_u32 v23, vcc_lo, s2, v23
	v_add_co_ci_u32_e64 v24, null, s3, v24, vcc_lo
	v_perm_b32 v47, v27, v22, 0xc0c0602
	v_perm_b32 v48, v29, v28, 0x6020c0c
	s_waitcnt vmcnt(4)
	v_perm_b32 v50, v31, v30, 0xc0c0501
	global_load_dword v23, v[23:24], off
	v_perm_b32 v24, v21, v20, 0xc04000c
	v_perm_b32 v20, v21, v20, 0xc07030c
	;; [unrolled: 1-line block ×5, first 2 shown]
	v_lshrrev_b32_e32 v28, 16, v34
	v_perm_b32 v29, v31, v30, 0xc0c0400
	v_perm_b32 v52, v31, v30, 0xc0c0602
	;; [unrolled: 1-line block ×8, first 2 shown]
	v_or_b32_e32 v30, v31, v30
	v_ashrrev_i16 v31, 8, v28
	v_bfe_i32 v28, v28, 0, 8
	v_perm_b32 v49, v33, v32, 0x4000c0c
	v_perm_b32 v51, v33, v32, 0x5010c0c
	;; [unrolled: 1-line block ×3, first 2 shown]
	v_ashrrev_i16 v32, 8, v34
	v_bfe_i32 v33, v34, 0, 8
	s_waitcnt vmcnt(4)
	v_perm_b32 v34, v36, v35, 0xc0c0703
	v_perm_b32 v54, v38, v37, 0x7030c0c
	;; [unrolled: 1-line block ×8, first 2 shown]
	v_or_b32_e32 v24, v24, v39
	v_or_b32_e32 v37, v40, v41
	v_or_b32_e32 v38, v42, v43
	v_or_b32_e32 v19, v20, v19
	v_perm_b32 v28, v31, v28, 0x5040100
	v_or_b32_e32 v20, v44, v21
	v_or_b32_e32 v21, v46, v45
	;; [unrolled: 1-line block ×7, first 2 shown]
	v_perm_b32 v32, v32, v33, 0x5040100
	v_add_co_u32 v12, vcc_lo, 0x200, v12
	v_add_co_ci_u32_e64 v13, null, 0, v13, vcc_lo
	v_add_co_u32 v14, vcc_lo, v14, 32
	v_add_co_ci_u32_e64 v15, null, 0, v15, vcc_lo
	v_add_co_u32 v16, vcc_lo, v16, -4
	v_add_co_ci_u32_e64 v17, null, -1, v17, vcc_lo
	v_add_co_u32 v5, vcc_lo, 0x100, v5
	v_or_b32_e32 v33, v54, v34
	v_or_b32_e32 v34, v56, v55
	;; [unrolled: 1-line block ×3, first 2 shown]
	v_add_co_ci_u32_e64 v6, null, 0, v6, vcc_lo
	v_cmp_eq_u64_e32 vcc_lo, 0, v[16:17]
	s_or_b32 s8, vcc_lo, s8
	s_waitcnt vmcnt(3)
	v_perm_b32 v31, v3, v3, 0xc020100
	s_waitcnt vmcnt(2)
	v_perm_b32 v3, v7, v3, 0x6050403
	s_waitcnt vmcnt(1)
	v_lshrrev_b32_e32 v42, 24, v25
	v_perm_b32 v7, v25, v7, 0x6050403
	v_dot4c_i32_i8 v0, v31, v24
	v_dot4c_i32_i8 v4, v19, v31
	;; [unrolled: 1-line block ×4, first 2 shown]
	v_bfe_i32 v19, v42, 0, 8
	v_dot4c_i32_i8 v0, v3, v20
	v_dot4c_i32_i8 v4, v22, v3
	;; [unrolled: 1-line block ×4, first 2 shown]
	v_pk_mul_lo_u16 v3, v19, v32 op_sel_hi:[0,1]
	v_pk_mul_lo_u16 v19, v19, v28 op_sel_hi:[0,1]
	v_dot4c_i32_i8 v4, v30, v7
	v_dot4c_i32_i8 v2, v40, v7
	;; [unrolled: 1-line block ×4, first 2 shown]
	v_or_b32_e32 v7, v36, v35
	v_add_nc_u32_sdwa v4, v4, sext(v19) dst_sel:DWORD dst_unused:UNUSED_PAD src0_sel:DWORD src1_sel:WORD_1
	v_add_nc_u32_sdwa v2, v2, sext(v19) dst_sel:DWORD dst_unused:UNUSED_PAD src0_sel:DWORD src1_sel:WORD_0
	v_add_nc_u32_sdwa v1, v1, sext(v3) dst_sel:DWORD dst_unused:UNUSED_PAD src0_sel:DWORD src1_sel:WORD_1
	v_add_nc_u32_sdwa v0, v0, sext(v3) dst_sel:DWORD dst_unused:UNUSED_PAD src0_sel:DWORD src1_sel:WORD_0
	s_waitcnt vmcnt(0)
	v_dot4c_i32_i8 v4, v23, v33
	v_dot4c_i32_i8 v2, v23, v34
	;; [unrolled: 1-line block ×4, first 2 shown]
	s_andn2_b32 exec_lo, exec_lo, s8
	s_cbranch_execnz .LBB71_35
; %bb.36:
	s_or_b32 exec_lo, exec_lo, s8
	v_mov_b32_e32 v3, v4
.LBB71_37:
	s_or_b32 exec_lo, exec_lo, s6
	v_and_b32_e32 v5, 3, v18
	v_mov_b32_e32 v6, 0
	s_mov_b32 s0, exec_lo
	v_cmpx_ne_u64_e32 0, v[5:6]
	s_cbranch_execz .LBB71_41
; %bb.38:
	v_lshlrev_b64 v[14:15], 3, v[14:15]
	v_lshlrev_b32_e32 v5, 1, v5
	s_mov_b32 s6, 0
	v_add_co_u32 v14, vcc_lo, s12, v14
	v_add_co_ci_u32_e64 v15, null, s13, v15, vcc_lo
.LBB71_39:                              ; =>This Inner Loop Header: Depth=1
	global_load_dwordx2 v[20:21], v[14:15], off
	global_load_dwordx4 v[16:19], v[12:13], off
	s_waitcnt vmcnt(1)
	v_sub_co_u32 v20, vcc_lo, v20, v10
	v_sub_co_ci_u32_e64 v21, null, v21, v11, vcc_lo
	s_waitcnt vmcnt(0)
	v_perm_b32 v7, v17, v16, 0xc0c0703
	v_perm_b32 v22, v19, v18, 0x6020c0c
	;; [unrolled: 1-line block ×3, first 2 shown]
	v_lshlrev_b64 v[20:21], 2, v[20:21]
	v_perm_b32 v24, v19, v18, 0x5010c0c
	v_add_co_u32 v20, vcc_lo, s2, v20
	v_add_co_ci_u32_e64 v21, null, s3, v21, vcc_lo
	v_add_co_u32 v12, vcc_lo, 0x80, v12
	v_add_co_ci_u32_e64 v13, null, 0, v13, vcc_lo
	global_load_dword v4, v[20:21], off
	v_add_co_u32 v14, vcc_lo, v14, 64
	v_add_co_ci_u32_e64 v15, null, 0, v15, vcc_lo
	v_add_co_u32 v5, vcc_lo, v5, -2
	v_perm_b32 v20, v19, v18, 0x7030c0c
	v_perm_b32 v21, v17, v16, 0xc0c0602
	;; [unrolled: 1-line block ×4, first 2 shown]
	v_add_co_ci_u32_e64 v6, null, -1, v6, vcc_lo
	v_or_b32_e32 v7, v20, v7
	v_or_b32_e32 v18, v22, v21
	;; [unrolled: 1-line block ×4, first 2 shown]
	v_cmp_eq_u64_e32 vcc_lo, 0, v[5:6]
	s_or_b32 s6, vcc_lo, s6
	s_waitcnt vmcnt(0)
	v_dot4c_i32_i8 v3, v4, v7
	v_dot4c_i32_i8 v2, v4, v18
	;; [unrolled: 1-line block ×4, first 2 shown]
	s_andn2_b32 exec_lo, exec_lo, s6
	s_cbranch_execnz .LBB71_39
; %bb.40:
	s_or_b32 exec_lo, exec_lo, s6
	v_mov_b32_e32 v4, v3
.LBB71_41:
	s_or_b32 exec_lo, exec_lo, s0
.LBB71_42:
	s_or_b32 exec_lo, exec_lo, s1
.LBB71_43:
	v_mbcnt_lo_u32_b32 v3, -1, 0
	s_mov_b32 s2, -1
	v_xor_b32_e32 v5, 4, v3
	v_xor_b32_e32 v11, 2, v3
	v_cmp_gt_i32_e32 vcc_lo, 32, v5
	v_cndmask_b32_e32 v5, v3, v5, vcc_lo
	v_cmp_gt_i32_e32 vcc_lo, 32, v11
	v_lshlrev_b32_e32 v5, 2, v5
	v_cndmask_b32_e32 v11, v3, v11, vcc_lo
	ds_bpermute_b32 v6, v5, v0
	ds_bpermute_b32 v7, v5, v1
	;; [unrolled: 1-line block ×4, first 2 shown]
	v_lshlrev_b32_e32 v11, 2, v11
	s_waitcnt lgkmcnt(3)
	v_add_nc_u32_e32 v0, v6, v0
	s_waitcnt lgkmcnt(2)
	v_add_nc_u32_e32 v1, v7, v1
	;; [unrolled: 2-line block ×4, first 2 shown]
	ds_bpermute_b32 v5, v11, v0
	ds_bpermute_b32 v6, v11, v1
	;; [unrolled: 1-line block ×4, first 2 shown]
	v_xor_b32_e32 v11, 1, v3
	v_cmp_gt_i32_e32 vcc_lo, 32, v11
	v_cndmask_b32_e32 v3, v3, v11, vcc_lo
	v_cmp_eq_u32_e32 vcc_lo, 7, v26
	v_lshlrev_b32_e32 v11, 2, v3
	s_waitcnt lgkmcnt(3)
	v_add_nc_u32_e32 v0, v5, v0
	s_waitcnt lgkmcnt(2)
	v_add_nc_u32_e32 v1, v6, v1
	;; [unrolled: 2-line block ×4, first 2 shown]
	ds_bpermute_b32 v4, v11, v0
	ds_bpermute_b32 v5, v11, v1
	;; [unrolled: 1-line block ×4, first 2 shown]
	s_and_b32 exec_lo, exec_lo, vcc_lo
	s_cbranch_execz .LBB71_14
; %bb.44:
	s_load_dwordx2 s[0:1], s[4:5], 0x58
	s_waitcnt lgkmcnt(0)
	v_add_nc_u32_e32 v0, v4, v0
	v_add_nc_u32_e32 v1, v5, v1
	;; [unrolled: 1-line block ×4, first 2 shown]
	v_lshlrev_b64 v[4:5], 4, v[8:9]
	v_mul_lo_u32 v0, v0, s7
	v_mul_lo_u32 v1, v1, s7
	;; [unrolled: 1-line block ×4, first 2 shown]
	s_cmp_eq_u32 s16, 0
	s_cbranch_scc1 .LBB71_46
; %bb.45:
	v_add_co_u32 v13, vcc_lo, s0, v4
	v_add_co_ci_u32_e64 v14, null, s1, v5, vcc_lo
	s_mov_b32 s2, 0
	global_load_dwordx4 v[6:9], v[13:14], off
	s_waitcnt vmcnt(0)
	v_mad_u64_u32 v[15:16], null, v9, s16, v[3:4]
	v_mad_u64_u32 v[9:10], null, v6, s16, v[0:1]
	v_mad_u64_u32 v[10:11], null, v7, s16, v[1:2]
	v_mad_u64_u32 v[11:12], null, v8, s16, v[2:3]
	v_mov_b32_e32 v12, v15
	global_store_dwordx4 v[13:14], v[9:12], off
.LBB71_46:
	s_andn2_b32 vcc_lo, exec_lo, s2
	s_cbranch_vccnz .LBB71_14
; %bb.47:
	v_add_co_u32 v4, vcc_lo, s0, v4
	v_add_co_ci_u32_e64 v5, null, s1, v5, vcc_lo
	global_store_dwordx4 v[4:5], v[0:3], off
	s_endpgm
	.section	.rodata,"a",@progbits
	.p2align	6, 0x0
	.amdhsa_kernel _ZN9rocsparseL18bsrxmvn_4x4_kernelILj128ELj8EillaaiEEvT3_20rocsparse_direction_NS_24const_host_device_scalarIT1_EES1_PKS1_PKT2_SA_S7_PKT4_PKT5_S5_PT6_21rocsparse_index_base_b
		.amdhsa_group_segment_fixed_size 0
		.amdhsa_private_segment_fixed_size 0
		.amdhsa_kernarg_size 104
		.amdhsa_user_sgpr_count 6
		.amdhsa_user_sgpr_private_segment_buffer 1
		.amdhsa_user_sgpr_dispatch_ptr 0
		.amdhsa_user_sgpr_queue_ptr 0
		.amdhsa_user_sgpr_kernarg_segment_ptr 1
		.amdhsa_user_sgpr_dispatch_id 0
		.amdhsa_user_sgpr_flat_scratch_init 0
		.amdhsa_user_sgpr_private_segment_size 0
		.amdhsa_wavefront_size32 1
		.amdhsa_uses_dynamic_stack 0
		.amdhsa_system_sgpr_private_segment_wavefront_offset 0
		.amdhsa_system_sgpr_workgroup_id_x 1
		.amdhsa_system_sgpr_workgroup_id_y 0
		.amdhsa_system_sgpr_workgroup_id_z 0
		.amdhsa_system_sgpr_workgroup_info 0
		.amdhsa_system_vgpr_workitem_id 0
		.amdhsa_next_free_vgpr 59
		.amdhsa_next_free_sgpr 17
		.amdhsa_reserve_vcc 1
		.amdhsa_reserve_flat_scratch 0
		.amdhsa_float_round_mode_32 0
		.amdhsa_float_round_mode_16_64 0
		.amdhsa_float_denorm_mode_32 3
		.amdhsa_float_denorm_mode_16_64 3
		.amdhsa_dx10_clamp 1
		.amdhsa_ieee_mode 1
		.amdhsa_fp16_overflow 0
		.amdhsa_workgroup_processor_mode 1
		.amdhsa_memory_ordered 1
		.amdhsa_forward_progress 1
		.amdhsa_shared_vgpr_count 0
		.amdhsa_exception_fp_ieee_invalid_op 0
		.amdhsa_exception_fp_denorm_src 0
		.amdhsa_exception_fp_ieee_div_zero 0
		.amdhsa_exception_fp_ieee_overflow 0
		.amdhsa_exception_fp_ieee_underflow 0
		.amdhsa_exception_fp_ieee_inexact 0
		.amdhsa_exception_int_div_zero 0
	.end_amdhsa_kernel
	.section	.text._ZN9rocsparseL18bsrxmvn_4x4_kernelILj128ELj8EillaaiEEvT3_20rocsparse_direction_NS_24const_host_device_scalarIT1_EES1_PKS1_PKT2_SA_S7_PKT4_PKT5_S5_PT6_21rocsparse_index_base_b,"axG",@progbits,_ZN9rocsparseL18bsrxmvn_4x4_kernelILj128ELj8EillaaiEEvT3_20rocsparse_direction_NS_24const_host_device_scalarIT1_EES1_PKS1_PKT2_SA_S7_PKT4_PKT5_S5_PT6_21rocsparse_index_base_b,comdat
.Lfunc_end71:
	.size	_ZN9rocsparseL18bsrxmvn_4x4_kernelILj128ELj8EillaaiEEvT3_20rocsparse_direction_NS_24const_host_device_scalarIT1_EES1_PKS1_PKT2_SA_S7_PKT4_PKT5_S5_PT6_21rocsparse_index_base_b, .Lfunc_end71-_ZN9rocsparseL18bsrxmvn_4x4_kernelILj128ELj8EillaaiEEvT3_20rocsparse_direction_NS_24const_host_device_scalarIT1_EES1_PKS1_PKT2_SA_S7_PKT4_PKT5_S5_PT6_21rocsparse_index_base_b
                                        ; -- End function
	.set _ZN9rocsparseL18bsrxmvn_4x4_kernelILj128ELj8EillaaiEEvT3_20rocsparse_direction_NS_24const_host_device_scalarIT1_EES1_PKS1_PKT2_SA_S7_PKT4_PKT5_S5_PT6_21rocsparse_index_base_b.num_vgpr, 59
	.set _ZN9rocsparseL18bsrxmvn_4x4_kernelILj128ELj8EillaaiEEvT3_20rocsparse_direction_NS_24const_host_device_scalarIT1_EES1_PKS1_PKT2_SA_S7_PKT4_PKT5_S5_PT6_21rocsparse_index_base_b.num_agpr, 0
	.set _ZN9rocsparseL18bsrxmvn_4x4_kernelILj128ELj8EillaaiEEvT3_20rocsparse_direction_NS_24const_host_device_scalarIT1_EES1_PKS1_PKT2_SA_S7_PKT4_PKT5_S5_PT6_21rocsparse_index_base_b.numbered_sgpr, 17
	.set _ZN9rocsparseL18bsrxmvn_4x4_kernelILj128ELj8EillaaiEEvT3_20rocsparse_direction_NS_24const_host_device_scalarIT1_EES1_PKS1_PKT2_SA_S7_PKT4_PKT5_S5_PT6_21rocsparse_index_base_b.num_named_barrier, 0
	.set _ZN9rocsparseL18bsrxmvn_4x4_kernelILj128ELj8EillaaiEEvT3_20rocsparse_direction_NS_24const_host_device_scalarIT1_EES1_PKS1_PKT2_SA_S7_PKT4_PKT5_S5_PT6_21rocsparse_index_base_b.private_seg_size, 0
	.set _ZN9rocsparseL18bsrxmvn_4x4_kernelILj128ELj8EillaaiEEvT3_20rocsparse_direction_NS_24const_host_device_scalarIT1_EES1_PKS1_PKT2_SA_S7_PKT4_PKT5_S5_PT6_21rocsparse_index_base_b.uses_vcc, 1
	.set _ZN9rocsparseL18bsrxmvn_4x4_kernelILj128ELj8EillaaiEEvT3_20rocsparse_direction_NS_24const_host_device_scalarIT1_EES1_PKS1_PKT2_SA_S7_PKT4_PKT5_S5_PT6_21rocsparse_index_base_b.uses_flat_scratch, 0
	.set _ZN9rocsparseL18bsrxmvn_4x4_kernelILj128ELj8EillaaiEEvT3_20rocsparse_direction_NS_24const_host_device_scalarIT1_EES1_PKS1_PKT2_SA_S7_PKT4_PKT5_S5_PT6_21rocsparse_index_base_b.has_dyn_sized_stack, 0
	.set _ZN9rocsparseL18bsrxmvn_4x4_kernelILj128ELj8EillaaiEEvT3_20rocsparse_direction_NS_24const_host_device_scalarIT1_EES1_PKS1_PKT2_SA_S7_PKT4_PKT5_S5_PT6_21rocsparse_index_base_b.has_recursion, 0
	.set _ZN9rocsparseL18bsrxmvn_4x4_kernelILj128ELj8EillaaiEEvT3_20rocsparse_direction_NS_24const_host_device_scalarIT1_EES1_PKS1_PKT2_SA_S7_PKT4_PKT5_S5_PT6_21rocsparse_index_base_b.has_indirect_call, 0
	.section	.AMDGPU.csdata,"",@progbits
; Kernel info:
; codeLenInByte = 3952
; TotalNumSgprs: 19
; NumVgprs: 59
; ScratchSize: 0
; MemoryBound: 0
; FloatMode: 240
; IeeeMode: 1
; LDSByteSize: 0 bytes/workgroup (compile time only)
; SGPRBlocks: 0
; VGPRBlocks: 7
; NumSGPRsForWavesPerEU: 19
; NumVGPRsForWavesPerEU: 59
; Occupancy: 16
; WaveLimiterHint : 1
; COMPUTE_PGM_RSRC2:SCRATCH_EN: 0
; COMPUTE_PGM_RSRC2:USER_SGPR: 6
; COMPUTE_PGM_RSRC2:TRAP_HANDLER: 0
; COMPUTE_PGM_RSRC2:TGID_X_EN: 1
; COMPUTE_PGM_RSRC2:TGID_Y_EN: 0
; COMPUTE_PGM_RSRC2:TGID_Z_EN: 0
; COMPUTE_PGM_RSRC2:TIDIG_COMP_CNT: 0
	.section	.text._ZN9rocsparseL18bsrxmvn_4x4_kernelILj128ELj16EillaaiEEvT3_20rocsparse_direction_NS_24const_host_device_scalarIT1_EES1_PKS1_PKT2_SA_S7_PKT4_PKT5_S5_PT6_21rocsparse_index_base_b,"axG",@progbits,_ZN9rocsparseL18bsrxmvn_4x4_kernelILj128ELj16EillaaiEEvT3_20rocsparse_direction_NS_24const_host_device_scalarIT1_EES1_PKS1_PKT2_SA_S7_PKT4_PKT5_S5_PT6_21rocsparse_index_base_b,comdat
	.globl	_ZN9rocsparseL18bsrxmvn_4x4_kernelILj128ELj16EillaaiEEvT3_20rocsparse_direction_NS_24const_host_device_scalarIT1_EES1_PKS1_PKT2_SA_S7_PKT4_PKT5_S5_PT6_21rocsparse_index_base_b ; -- Begin function _ZN9rocsparseL18bsrxmvn_4x4_kernelILj128ELj16EillaaiEEvT3_20rocsparse_direction_NS_24const_host_device_scalarIT1_EES1_PKS1_PKT2_SA_S7_PKT4_PKT5_S5_PT6_21rocsparse_index_base_b
	.p2align	8
	.type	_ZN9rocsparseL18bsrxmvn_4x4_kernelILj128ELj16EillaaiEEvT3_20rocsparse_direction_NS_24const_host_device_scalarIT1_EES1_PKS1_PKT2_SA_S7_PKT4_PKT5_S5_PT6_21rocsparse_index_base_b,@function
_ZN9rocsparseL18bsrxmvn_4x4_kernelILj128ELj16EillaaiEEvT3_20rocsparse_direction_NS_24const_host_device_scalarIT1_EES1_PKS1_PKT2_SA_S7_PKT4_PKT5_S5_PT6_21rocsparse_index_base_b: ; @_ZN9rocsparseL18bsrxmvn_4x4_kernelILj128ELj16EillaaiEEvT3_20rocsparse_direction_NS_24const_host_device_scalarIT1_EES1_PKS1_PKT2_SA_S7_PKT4_PKT5_S5_PT6_21rocsparse_index_base_b
; %bb.0:
	s_clause 0x1
	s_load_dwordx2 s[8:9], s[4:5], 0x60
	s_load_dwordx4 s[0:3], s[4:5], 0x10
	s_mov_b32 s12, -1
	s_waitcnt lgkmcnt(0)
	s_bitcmp1_b32 s9, 0
	s_cselect_b32 s7, -1, 0
	s_xor_b32 s9, s7, -1
                                        ; implicit-def: $sgpr7
	s_and_b32 vcc_lo, exec_lo, s9
	s_cbranch_vccnz .LBB72_4
; %bb.1:
	s_load_dwordx2 s[10:11], s[4:5], 0x50
	s_andn2_b32 vcc_lo, exec_lo, s12
	s_cbranch_vccz .LBB72_5
.LBB72_2:
	s_and_b32 vcc_lo, exec_lo, s9
	s_cbranch_vccz .LBB72_6
.LBB72_3:
	s_waitcnt lgkmcnt(0)
	s_load_dword s16, s[10:11], 0x0
	s_cbranch_execz .LBB72_7
	s_branch .LBB72_8
.LBB72_4:
	s_load_dword s7, s[0:1], 0x0
	s_load_dwordx2 s[10:11], s[4:5], 0x50
	s_cbranch_execnz .LBB72_2
.LBB72_5:
	s_waitcnt lgkmcnt(0)
	s_mov_b32 s7, s0
	s_and_b32 vcc_lo, exec_lo, s9
	s_cbranch_vccnz .LBB72_3
.LBB72_6:
                                        ; implicit-def: $sgpr16
.LBB72_7:
	s_waitcnt lgkmcnt(0)
	s_mov_b32 s16, s10
.LBB72_8:
	s_waitcnt lgkmcnt(0)
	s_cmp_lg_u32 s7, 0
	s_mov_b32 s10, 0
	s_cselect_b32 s0, -1, 0
	s_cmp_lg_u32 s16, 1
	s_cselect_b32 s1, -1, 0
	s_or_b32 s0, s0, s1
	s_andn2_b32 vcc_lo, exec_lo, s0
	s_cbranch_vccnz .LBB72_14
; %bb.9:
	s_load_dwordx2 s[0:1], s[4:5], 0x20
	v_lshrrev_b32_e32 v1, 4, v0
	v_mov_b32_e32 v2, 0
	v_lshl_or_b32 v1, s6, 3, v1
	s_waitcnt lgkmcnt(0)
	s_cmp_lg_u64 s[0:1], 0
	s_cbranch_scc0 .LBB72_15
; %bb.10:
	v_cmp_gt_i64_e32 vcc_lo, s[2:3], v[1:2]
	s_mov_b32 s2, 0
                                        ; implicit-def: $vgpr8_vgpr9
                                        ; implicit-def: $vgpr10_vgpr11
	s_and_saveexec_b32 s3, vcc_lo
	s_xor_b32 s3, exec_lo, s3
	s_cbranch_execz .LBB72_12
; %bb.11:
	v_lshlrev_b64 v[3:4], 3, v[1:2]
	s_mov_b32 s9, 0
	s_mov_b32 s10, exec_lo
	v_mov_b32_e32 v11, s9
	v_mov_b32_e32 v10, s8
	v_add_co_u32 v3, vcc_lo, s0, v3
	v_add_co_ci_u32_e64 v4, null, s1, v4, vcc_lo
	global_load_dwordx2 v[3:4], v[3:4], off
	s_waitcnt vmcnt(0)
	v_sub_co_u32 v8, vcc_lo, v3, s8
	v_subrev_co_ci_u32_e64 v9, null, 0, v4, vcc_lo
.LBB72_12:
	s_or_b32 exec_lo, exec_lo, s3
	s_and_b32 vcc_lo, exec_lo, s2
	s_cbranch_vccnz .LBB72_16
.LBB72_13:
	s_and_saveexec_b32 s0, s10
	s_cbranch_execnz .LBB72_19
.LBB72_14:
	s_endpgm
.LBB72_15:
                                        ; implicit-def: $vgpr8_vgpr9
                                        ; implicit-def: $vgpr10_vgpr11
	s_cbranch_execz .LBB72_13
.LBB72_16:
	s_load_dwordx2 s[0:1], s[4:5], 0x0
	s_waitcnt lgkmcnt(0)
	v_cmp_gt_i64_e32 vcc_lo, s[0:1], v[1:2]
	s_and_saveexec_b32 s0, vcc_lo
; %bb.17:
	s_mov_b32 s9, 0
	s_or_b32 s10, s10, exec_lo
; %bb.18:
	s_or_b32 exec_lo, exec_lo, s0
	v_mov_b32_e32 v11, s9
	v_mov_b32_e32 v9, v2
	;; [unrolled: 1-line block ×4, first 2 shown]
	s_and_saveexec_b32 s0, s10
	s_cbranch_execz .LBB72_14
.LBB72_19:
	s_load_dwordx8 s[8:15], s[4:5], 0x28
	v_lshlrev_b64 v[1:2], 3, v[8:9]
	v_and_b32_e32 v26, 15, v0
	s_clause 0x1
	s_load_dword s1, s[4:5], 0x8
	s_load_dwordx2 s[2:3], s[4:5], 0x48
	s_waitcnt lgkmcnt(0)
	v_add_co_u32 v3, vcc_lo, s8, v1
	v_add_co_ci_u32_e64 v4, null, s9, v2, vcc_lo
	v_add_co_u32 v1, vcc_lo, s10, v1
	v_add_co_ci_u32_e64 v2, null, s11, v2, vcc_lo
	v_add_co_u32 v5, vcc_lo, v3, 8
	global_load_dwordx2 v[16:17], v[3:4], off
	v_add_co_ci_u32_e64 v6, null, 0, v4, vcc_lo
	s_cmp_eq_u64 s[10:11], 0
	v_mov_b32_e32 v4, 0
	s_cselect_b32 vcc_lo, -1, 0
	s_cmp_eq_u32 s1, 1
	v_cndmask_b32_e32 v2, v2, v6, vcc_lo
	v_cndmask_b32_e32 v1, v1, v5, vcc_lo
	global_load_dwordx2 v[1:2], v[1:2], off
	s_waitcnt vmcnt(1)
	v_sub_co_u32 v0, vcc_lo, v16, v10
	v_sub_co_ci_u32_e64 v3, null, v17, v11, vcc_lo
	v_add_co_u32 v14, vcc_lo, v0, v26
	v_add_co_ci_u32_e64 v15, null, 0, v3, vcc_lo
	s_waitcnt vmcnt(0)
	v_sub_co_u32 v18, vcc_lo, v1, v10
	v_lshlrev_b64 v[0:1], 4, v[14:15]
	v_sub_co_ci_u32_e64 v19, null, v2, v11, vcc_lo
	v_add_co_u32 v12, vcc_lo, s14, v0
	v_cmp_lt_i64_e64 s0, v[14:15], v[18:19]
	v_add_co_ci_u32_e64 v13, null, s15, v1, vcc_lo
	s_cbranch_scc1 .LBB72_31
; %bb.20:
	v_mov_b32_e32 v2, 0
	v_mov_b32_e32 v1, 0
	;; [unrolled: 1-line block ×3, first 2 shown]
	s_and_saveexec_b32 s6, s0
	s_cbranch_execz .LBB72_30
; %bb.21:
	v_or_b32_e32 v0, 16, v26
	v_not_b32_e32 v3, v16
	v_sub_co_u32 v4, s1, v10, v26
	v_not_b32_e32 v2, v17
	v_sub_co_u32 v0, vcc_lo, v0, v10
	v_sub_co_ci_u32_e64 v1, null, 0, v11, vcc_lo
	v_subrev_co_ci_u32_e64 v5, null, 0, v11, s1
	v_add_co_u32 v0, vcc_lo, v0, v16
	v_add_co_ci_u32_e64 v1, null, v1, v17, vcc_lo
	v_mov_b32_e32 v21, v15
	v_mov_b32_e32 v20, v14
	s_mov_b32 s9, 0
	v_cmp_gt_i64_e32 vcc_lo, v[0:1], v[18:19]
	v_cndmask_b32_e32 v1, v19, v1, vcc_lo
	v_cndmask_b32_e32 v0, v18, v0, vcc_lo
	v_add_co_u32 v3, vcc_lo, v4, v3
	v_add_co_ci_u32_e64 v2, null, v5, v2, vcc_lo
	v_mov_b32_e32 v4, 0
	v_add_co_u32 v22, vcc_lo, v3, v0
	v_add_co_ci_u32_e64 v23, null, v2, v1, vcc_lo
	v_mov_b32_e32 v5, v4
	v_mov_b32_e32 v6, v4
	;; [unrolled: 1-line block ×3, first 2 shown]
	v_lshrrev_b64 v[24:25], 4, v[22:23]
	v_mov_b32_e32 v0, v4
	v_mov_b32_e32 v1, v5
	;; [unrolled: 1-line block ×4, first 2 shown]
	v_cmp_lt_u64_e32 vcc_lo, 47, v[22:23]
	v_add_co_u32 v7, s1, v24, 1
	v_mov_b32_e32 v5, v12
	v_add_co_ci_u32_e64 v23, null, 0, v25, s1
	v_mov_b32_e32 v6, v13
	s_and_saveexec_b32 s8, vcc_lo
	s_cbranch_execz .LBB72_25
; %bb.22:
	v_lshlrev_b64 v[0:1], 3, v[14:15]
	v_mov_b32_e32 v5, v12
	v_mov_b32_e32 v21, v15
	v_and_b32_e32 v22, -4, v7
	v_mov_b32_e32 v2, 0
	v_mov_b32_e32 v6, v13
	v_add_co_u32 v0, vcc_lo, s12, v0
	v_add_co_ci_u32_e64 v3, null, s13, v1, vcc_lo
	v_mov_b32_e32 v1, 0
	v_add_co_u32 v24, vcc_lo, 0x100, v0
	v_add_co_ci_u32_e64 v25, null, 0, v3, vcc_lo
	v_mov_b32_e32 v0, 0
	v_mov_b32_e32 v20, v14
.LBB72_23:                              ; =>This Inner Loop Header: Depth=1
	s_clause 0x3
	global_load_dwordx2 v[39:40], v[24:25], off offset:-256
	global_load_dwordx2 v[41:42], v[24:25], off offset:-128
	global_load_dwordx2 v[43:44], v[24:25], off
	global_load_dwordx2 v[45:46], v[24:25], off offset:128
	s_clause 0x2
	global_load_dwordx4 v[27:30], v[5:6], off
	global_load_dwordx4 v[31:34], v[5:6], off offset:256
	global_load_dwordx4 v[35:38], v[5:6], off offset:512
	s_waitcnt vmcnt(6)
	v_sub_co_u32 v39, vcc_lo, v39, v10
	v_sub_co_ci_u32_e64 v40, null, v40, v11, vcc_lo
	s_waitcnt vmcnt(5)
	v_sub_co_u32 v41, vcc_lo, v41, v10
	v_sub_co_ci_u32_e64 v42, null, v42, v11, vcc_lo
	;; [unrolled: 3-line block ×3, first 2 shown]
	v_lshlrev_b64 v[39:40], 2, v[39:40]
	v_lshlrev_b64 v[41:42], 2, v[41:42]
	s_waitcnt vmcnt(3)
	v_sub_co_u32 v45, vcc_lo, v45, v10
	v_lshlrev_b64 v[43:44], 2, v[43:44]
	v_sub_co_ci_u32_e64 v46, null, v46, v11, vcc_lo
	v_add_co_u32 v39, s1, s2, v39
	v_add_co_ci_u32_e64 v40, null, s3, v40, s1
	v_add_co_u32 v41, s1, s2, v41
	v_add_co_ci_u32_e64 v42, null, s3, v42, s1
	;; [unrolled: 2-line block ×3, first 2 shown]
	s_clause 0x2
	global_load_dword v3, v[39:40], off
	global_load_dword v47, v[41:42], off
	;; [unrolled: 1-line block ×3, first 2 shown]
	v_lshlrev_b64 v[39:40], 2, v[45:46]
	s_waitcnt vmcnt(5)
	v_ashrrev_i32_e32 v45, 24, v30
	s_waitcnt vmcnt(4)
	v_lshrrev_b16 v49, 8, v34
	v_bfe_i32 v46, v30, 0, 8
	s_waitcnt vmcnt(3)
	v_bfe_i32 v50, v38, 8, 8
	v_add_co_u32 v43, vcc_lo, s2, v39
	v_add_co_ci_u32_e64 v44, null, s3, v40, vcc_lo
	global_load_dwordx4 v[39:42], v[5:6], off offset:768
	global_load_dword v43, v[43:44], off
	v_lshrrev_b16 v44, 8, v30
	v_bfe_i32 v30, v30, 16, 8
	v_add_co_u32 v5, vcc_lo, 0x400, v5
	v_add_co_ci_u32_e64 v6, null, 0, v6, vcc_lo
	v_add_co_u32 v20, vcc_lo, v20, 64
	v_add_co_ci_u32_e64 v21, null, 0, v21, vcc_lo
	v_add_co_u32 v22, vcc_lo, v22, -4
	v_add_co_ci_u32_e64 v23, null, -1, v23, vcc_lo
	v_add_co_u32 v24, vcc_lo, 0x200, v24
	v_add_co_ci_u32_e64 v25, null, 0, v25, vcc_lo
	v_cmp_eq_u64_e32 vcc_lo, 0, v[22:23]
	s_or_b32 s9, vcc_lo, s9
	s_waitcnt vmcnt(4)
	v_lshrrev_b16 v51, 8, v3
	v_ashrrev_i32_e32 v52, 24, v3
	v_bfe_i32 v53, v3, 0, 8
	v_bfe_i32 v54, v3, 16, 8
	v_dot4c_i32_i8 v0, v3, v27
	v_dot4c_i32_i8 v1, v3, v28
	;; [unrolled: 1-line block ×3, first 2 shown]
	s_waitcnt vmcnt(3)
	v_lshrrev_b16 v3, 8, v47
	v_mul_i32_i24_sdwa v28, sext(v34), sext(v47) dst_sel:DWORD dst_unused:UNUSED_PAD src0_sel:BYTE_3 src1_sel:BYTE_3
	v_mul_i32_i24_sdwa v27, sext(v34), sext(v47) dst_sel:DWORD dst_unused:UNUSED_PAD src0_sel:BYTE_0 src1_sel:BYTE_0
	v_mul_i32_i24_sdwa v29, sext(v34), sext(v47) dst_sel:DWORD dst_unused:UNUSED_PAD src0_sel:BYTE_2 src1_sel:BYTE_2
	v_mul_i32_i24_sdwa v44, sext(v44), sext(v51) dst_sel:DWORD dst_unused:UNUSED_PAD src0_sel:BYTE_0 src1_sel:BYTE_0
	v_mul_i32_i24_sdwa v3, sext(v49), sext(v3) dst_sel:DWORD dst_unused:UNUSED_PAD src0_sel:BYTE_0 src1_sel:BYTE_0
	v_mad_i32_i24 v28, v45, v52, v28
	s_waitcnt vmcnt(2)
	v_bfe_i32 v34, v48, 8, 8
	v_mul_i32_i24_sdwa v45, sext(v38), sext(v48) dst_sel:DWORD dst_unused:UNUSED_PAD src0_sel:BYTE_2 src1_sel:BYTE_2
	v_mad_i32_i24 v29, v30, v54, v29
	v_mad_i32_i24 v27, v46, v53, v27
	v_add3_u32 v3, v44, v3, v28
	v_mul_i32_i24_sdwa v28, sext(v48), sext(v38) dst_sel:DWORD dst_unused:UNUSED_PAD src0_sel:BYTE_0 src1_sel:BYTE_0
	v_mad_i32_i24 v34, v34, v50, v45
	v_mul_i32_i24_sdwa v30, sext(v38), sext(v48) dst_sel:DWORD dst_unused:UNUSED_PAD src0_sel:BYTE_3 src1_sel:BYTE_3
	v_dot4c_i32_i8 v0, v47, v31
	v_add3_u32 v3, v27, v29, v3
	v_dot4c_i32_i8 v2, v47, v33
	v_dot4c_i32_i8 v1, v47, v32
	;; [unrolled: 1-line block ×3, first 2 shown]
	v_add3_u32 v3, v3, v28, v34
	v_dot4c_i32_i8 v2, v37, v48
	v_dot4c_i32_i8 v1, v36, v48
	s_waitcnt vmcnt(0)
	v_dot4c_i32_i8 v0, v43, v39
	v_add3_u32 v4, v3, v4, v30
	v_dot4c_i32_i8 v2, v43, v41
	v_dot4c_i32_i8 v1, v43, v40
	;; [unrolled: 1-line block ×3, first 2 shown]
	s_andn2_b32 exec_lo, exec_lo, s9
	s_cbranch_execnz .LBB72_23
; %bb.24:
	s_or_b32 exec_lo, exec_lo, s9
	v_mov_b32_e32 v3, v4
.LBB72_25:
	s_or_b32 exec_lo, exec_lo, s8
	v_and_b32_e32 v22, 3, v7
	v_mov_b32_e32 v23, 0
	s_mov_b32 s1, exec_lo
	v_cmpx_ne_u64_e32 0, v[22:23]
	s_cbranch_execz .LBB72_29
; %bb.26:
	v_lshlrev_b64 v[20:21], 3, v[20:21]
	v_lshlrev_b32_e32 v22, 1, v22
	s_mov_b32 s8, 0
	v_add_co_u32 v20, vcc_lo, s12, v20
	v_add_co_ci_u32_e64 v21, null, s13, v21, vcc_lo
	s_inst_prefetch 0x1
	.p2align	6
.LBB72_27:                              ; =>This Inner Loop Header: Depth=1
	global_load_dwordx2 v[24:25], v[20:21], off
	s_waitcnt vmcnt(0)
	v_sub_co_u32 v24, vcc_lo, v24, v10
	v_sub_co_ci_u32_e64 v25, null, v25, v11, vcc_lo
	v_lshlrev_b64 v[24:25], 2, v[24:25]
	v_add_co_u32 v24, vcc_lo, s2, v24
	v_add_co_ci_u32_e64 v25, null, s3, v25, vcc_lo
	global_load_dwordx4 v[27:30], v[5:6], off
	global_load_dword v4, v[24:25], off
	v_add_co_u32 v5, vcc_lo, 0x100, v5
	v_add_co_ci_u32_e64 v6, null, 0, v6, vcc_lo
	v_add_co_u32 v22, vcc_lo, v22, -2
	v_add_co_ci_u32_e64 v23, null, -1, v23, vcc_lo
	v_add_co_u32 v20, vcc_lo, 0x80, v20
	v_add_co_ci_u32_e64 v21, null, 0, v21, vcc_lo
	v_cmp_eq_u64_e32 vcc_lo, 0, v[22:23]
	s_or_b32 s8, vcc_lo, s8
	s_waitcnt vmcnt(0)
	v_dot4c_i32_i8 v3, v4, v30
	v_dot4c_i32_i8 v2, v4, v29
	;; [unrolled: 1-line block ×4, first 2 shown]
	s_andn2_b32 exec_lo, exec_lo, s8
	s_cbranch_execnz .LBB72_27
; %bb.28:
	s_inst_prefetch 0x2
	s_or_b32 exec_lo, exec_lo, s8
	v_mov_b32_e32 v4, v3
.LBB72_29:
	s_or_b32 exec_lo, exec_lo, s1
.LBB72_30:
	s_or_b32 exec_lo, exec_lo, s6
	s_cbranch_execz .LBB72_32
	s_branch .LBB72_43
.LBB72_31:
                                        ; implicit-def: $vgpr4
                                        ; implicit-def: $vgpr2
.LBB72_32:
	v_mov_b32_e32 v4, 0
	v_mov_b32_e32 v2, 0
	v_mov_b32_e32 v1, 0
	v_mov_b32_e32 v0, 0
	s_and_saveexec_b32 s1, s0
	s_cbranch_execz .LBB72_42
; %bb.33:
	v_or_b32_e32 v0, 16, v26
	v_not_b32_e32 v3, v16
	v_sub_co_u32 v4, s0, v10, v26
	v_not_b32_e32 v2, v17
	v_sub_co_u32 v0, vcc_lo, v0, v10
	v_sub_co_ci_u32_e64 v1, null, 0, v11, vcc_lo
	v_subrev_co_ci_u32_e64 v5, null, 0, v11, s0
	v_add_co_u32 v0, vcc_lo, v0, v16
	v_add_co_ci_u32_e64 v1, null, v1, v17, vcc_lo
	s_mov_b32 s8, 0
	v_cmp_gt_i64_e32 vcc_lo, v[0:1], v[18:19]
	v_cndmask_b32_e32 v1, v19, v1, vcc_lo
	v_cndmask_b32_e32 v0, v18, v0, vcc_lo
	v_add_co_u32 v3, vcc_lo, v4, v3
	v_add_co_ci_u32_e64 v2, null, v5, v2, vcc_lo
	v_mov_b32_e32 v4, 0
	v_add_co_u32 v0, vcc_lo, v3, v0
	v_add_co_ci_u32_e64 v1, null, v2, v1, vcc_lo
	v_mov_b32_e32 v5, v4
	v_mov_b32_e32 v6, v4
	;; [unrolled: 1-line block ×3, first 2 shown]
	v_lshrrev_b64 v[2:3], 4, v[0:1]
	v_cmp_lt_u64_e32 vcc_lo, 47, v[0:1]
	v_add_co_u32 v18, s0, v2, 1
	v_add_co_ci_u32_e64 v17, null, 0, v3, s0
	v_mov_b32_e32 v0, v4
	v_mov_b32_e32 v1, v5
	;; [unrolled: 1-line block ×4, first 2 shown]
	s_and_saveexec_b32 s6, vcc_lo
	s_cbranch_execz .LBB72_37
; %bb.34:
	v_lshlrev_b64 v[0:1], 3, v[14:15]
	v_and_b32_e32 v16, -4, v18
	v_mov_b32_e32 v2, 0
	v_add_co_u32 v0, vcc_lo, s12, v0
	v_add_co_ci_u32_e64 v3, null, s13, v1, vcc_lo
	v_mov_b32_e32 v1, 0
	v_add_co_u32 v5, vcc_lo, 0x100, v0
	v_add_co_ci_u32_e64 v6, null, 0, v3, vcc_lo
	v_mov_b32_e32 v0, 0
.LBB72_35:                              ; =>This Inner Loop Header: Depth=1
	s_clause 0x3
	global_load_dwordx2 v[23:24], v[5:6], off offset:-256
	global_load_dwordx2 v[39:40], v[5:6], off offset:-128
	global_load_dwordx2 v[41:42], v[5:6], off
	global_load_dwordx2 v[43:44], v[5:6], off offset:128
	s_clause 0x3
	global_load_dwordx4 v[19:22], v[12:13], off
	global_load_dwordx4 v[27:30], v[12:13], off offset:256
	global_load_dwordx4 v[31:34], v[12:13], off offset:512
	;; [unrolled: 1-line block ×3, first 2 shown]
	s_waitcnt vmcnt(7)
	v_sub_co_u32 v23, vcc_lo, v23, v10
	v_sub_co_ci_u32_e64 v24, null, v24, v11, vcc_lo
	s_waitcnt vmcnt(6)
	v_sub_co_u32 v39, vcc_lo, v39, v10
	v_sub_co_ci_u32_e64 v40, null, v40, v11, vcc_lo
	;; [unrolled: 3-line block ×3, first 2 shown]
	v_lshlrev_b64 v[23:24], 2, v[23:24]
	v_lshlrev_b64 v[39:40], 2, v[39:40]
	s_waitcnt vmcnt(4)
	v_sub_co_u32 v43, vcc_lo, v43, v10
	v_lshlrev_b64 v[41:42], 2, v[41:42]
	v_sub_co_ci_u32_e64 v44, null, v44, v11, vcc_lo
	v_add_co_u32 v23, s0, s2, v23
	v_add_co_ci_u32_e64 v24, null, s3, v24, s0
	v_add_co_u32 v39, s0, s2, v39
	v_add_co_ci_u32_e64 v40, null, s3, v40, s0
	;; [unrolled: 2-line block ×3, first 2 shown]
	s_clause 0x2
	global_load_dword v3, v[23:24], off
	global_load_dword v7, v[39:40], off
	global_load_dword v25, v[41:42], off
	v_lshlrev_b64 v[23:24], 2, v[43:44]
	s_waitcnt vmcnt(6)
	v_perm_b32 v40, v21, v20, 0xc05010c
	v_perm_b32 v42, v21, v20, 0xc06020c
	s_waitcnt vmcnt(5)
	v_perm_b32 v44, v29, v28, 0x4000c0c
	v_perm_b32 v45, v27, v22, 0xc0c0501
	;; [unrolled: 1-line block ×3, first 2 shown]
	v_add_co_u32 v23, vcc_lo, s2, v23
	v_add_co_ci_u32_e64 v24, null, s3, v24, vcc_lo
	v_perm_b32 v47, v27, v22, 0xc0c0602
	v_perm_b32 v48, v29, v28, 0x6020c0c
	s_waitcnt vmcnt(4)
	v_perm_b32 v50, v31, v30, 0xc0c0501
	global_load_dword v23, v[23:24], off
	v_perm_b32 v24, v21, v20, 0xc04000c
	v_perm_b32 v20, v21, v20, 0xc07030c
	;; [unrolled: 1-line block ×5, first 2 shown]
	v_lshrrev_b32_e32 v28, 16, v34
	v_perm_b32 v29, v31, v30, 0xc0c0400
	v_perm_b32 v52, v31, v30, 0xc0c0602
	;; [unrolled: 1-line block ×8, first 2 shown]
	v_or_b32_e32 v30, v31, v30
	v_ashrrev_i16 v31, 8, v28
	v_bfe_i32 v28, v28, 0, 8
	v_perm_b32 v49, v33, v32, 0x4000c0c
	v_perm_b32 v51, v33, v32, 0x5010c0c
	;; [unrolled: 1-line block ×3, first 2 shown]
	v_ashrrev_i16 v32, 8, v34
	v_bfe_i32 v33, v34, 0, 8
	s_waitcnt vmcnt(4)
	v_perm_b32 v34, v36, v35, 0xc0c0703
	v_perm_b32 v54, v38, v37, 0x7030c0c
	;; [unrolled: 1-line block ×8, first 2 shown]
	v_or_b32_e32 v24, v24, v39
	v_or_b32_e32 v37, v40, v41
	;; [unrolled: 1-line block ×4, first 2 shown]
	v_perm_b32 v28, v31, v28, 0x5040100
	v_or_b32_e32 v20, v44, v21
	v_or_b32_e32 v21, v46, v45
	;; [unrolled: 1-line block ×7, first 2 shown]
	v_perm_b32 v32, v32, v33, 0x5040100
	v_add_co_u32 v12, vcc_lo, 0x400, v12
	v_add_co_ci_u32_e64 v13, null, 0, v13, vcc_lo
	v_add_co_u32 v14, vcc_lo, v14, 64
	v_add_co_ci_u32_e64 v15, null, 0, v15, vcc_lo
	v_add_co_u32 v16, vcc_lo, v16, -4
	v_add_co_ci_u32_e64 v17, null, -1, v17, vcc_lo
	v_add_co_u32 v5, vcc_lo, 0x200, v5
	v_or_b32_e32 v33, v54, v34
	v_or_b32_e32 v34, v56, v55
	;; [unrolled: 1-line block ×3, first 2 shown]
	v_add_co_ci_u32_e64 v6, null, 0, v6, vcc_lo
	v_cmp_eq_u64_e32 vcc_lo, 0, v[16:17]
	s_or_b32 s8, vcc_lo, s8
	s_waitcnt vmcnt(3)
	v_perm_b32 v31, v3, v3, 0xc020100
	s_waitcnt vmcnt(2)
	v_perm_b32 v3, v7, v3, 0x6050403
	s_waitcnt vmcnt(1)
	v_lshrrev_b32_e32 v42, 24, v25
	v_perm_b32 v7, v25, v7, 0x6050403
	v_dot4c_i32_i8 v0, v31, v24
	v_dot4c_i32_i8 v4, v19, v31
	v_dot4c_i32_i8 v2, v38, v31
	v_dot4c_i32_i8 v1, v37, v31
	v_bfe_i32 v19, v42, 0, 8
	v_dot4c_i32_i8 v0, v3, v20
	v_dot4c_i32_i8 v4, v22, v3
	;; [unrolled: 1-line block ×4, first 2 shown]
	v_pk_mul_lo_u16 v3, v19, v32 op_sel_hi:[0,1]
	v_pk_mul_lo_u16 v19, v19, v28 op_sel_hi:[0,1]
	v_dot4c_i32_i8 v4, v30, v7
	v_dot4c_i32_i8 v2, v40, v7
	v_dot4c_i32_i8 v1, v29, v7
	v_dot4c_i32_i8 v0, v7, v27
	v_or_b32_e32 v7, v36, v35
	v_add_nc_u32_sdwa v4, v4, sext(v19) dst_sel:DWORD dst_unused:UNUSED_PAD src0_sel:DWORD src1_sel:WORD_1
	v_add_nc_u32_sdwa v2, v2, sext(v19) dst_sel:DWORD dst_unused:UNUSED_PAD src0_sel:DWORD src1_sel:WORD_0
	v_add_nc_u32_sdwa v1, v1, sext(v3) dst_sel:DWORD dst_unused:UNUSED_PAD src0_sel:DWORD src1_sel:WORD_1
	v_add_nc_u32_sdwa v0, v0, sext(v3) dst_sel:DWORD dst_unused:UNUSED_PAD src0_sel:DWORD src1_sel:WORD_0
	s_waitcnt vmcnt(0)
	v_dot4c_i32_i8 v4, v23, v33
	v_dot4c_i32_i8 v2, v23, v34
	;; [unrolled: 1-line block ×4, first 2 shown]
	s_andn2_b32 exec_lo, exec_lo, s8
	s_cbranch_execnz .LBB72_35
; %bb.36:
	s_or_b32 exec_lo, exec_lo, s8
	v_mov_b32_e32 v3, v4
.LBB72_37:
	s_or_b32 exec_lo, exec_lo, s6
	v_and_b32_e32 v5, 3, v18
	v_mov_b32_e32 v6, 0
	s_mov_b32 s0, exec_lo
	v_cmpx_ne_u64_e32 0, v[5:6]
	s_cbranch_execz .LBB72_41
; %bb.38:
	v_lshlrev_b64 v[14:15], 3, v[14:15]
	v_lshlrev_b32_e32 v5, 1, v5
	s_mov_b32 s6, 0
	v_add_co_u32 v14, vcc_lo, s12, v14
	v_add_co_ci_u32_e64 v15, null, s13, v15, vcc_lo
.LBB72_39:                              ; =>This Inner Loop Header: Depth=1
	global_load_dwordx2 v[20:21], v[14:15], off
	global_load_dwordx4 v[16:19], v[12:13], off
	s_waitcnt vmcnt(1)
	v_sub_co_u32 v20, vcc_lo, v20, v10
	v_sub_co_ci_u32_e64 v21, null, v21, v11, vcc_lo
	s_waitcnt vmcnt(0)
	v_perm_b32 v7, v17, v16, 0xc0c0703
	v_perm_b32 v22, v19, v18, 0x6020c0c
	;; [unrolled: 1-line block ×3, first 2 shown]
	v_lshlrev_b64 v[20:21], 2, v[20:21]
	v_perm_b32 v24, v19, v18, 0x5010c0c
	v_add_co_u32 v20, vcc_lo, s2, v20
	v_add_co_ci_u32_e64 v21, null, s3, v21, vcc_lo
	v_add_co_u32 v12, vcc_lo, 0x100, v12
	v_add_co_ci_u32_e64 v13, null, 0, v13, vcc_lo
	global_load_dword v4, v[20:21], off
	v_add_co_u32 v14, vcc_lo, 0x80, v14
	v_add_co_ci_u32_e64 v15, null, 0, v15, vcc_lo
	v_add_co_u32 v5, vcc_lo, v5, -2
	v_perm_b32 v20, v19, v18, 0x7030c0c
	v_perm_b32 v21, v17, v16, 0xc0c0602
	;; [unrolled: 1-line block ×4, first 2 shown]
	v_add_co_ci_u32_e64 v6, null, -1, v6, vcc_lo
	v_or_b32_e32 v7, v20, v7
	v_or_b32_e32 v18, v22, v21
	;; [unrolled: 1-line block ×4, first 2 shown]
	v_cmp_eq_u64_e32 vcc_lo, 0, v[5:6]
	s_or_b32 s6, vcc_lo, s6
	s_waitcnt vmcnt(0)
	v_dot4c_i32_i8 v3, v4, v7
	v_dot4c_i32_i8 v2, v4, v18
	;; [unrolled: 1-line block ×4, first 2 shown]
	s_andn2_b32 exec_lo, exec_lo, s6
	s_cbranch_execnz .LBB72_39
; %bb.40:
	s_or_b32 exec_lo, exec_lo, s6
	v_mov_b32_e32 v4, v3
.LBB72_41:
	s_or_b32 exec_lo, exec_lo, s0
.LBB72_42:
	s_or_b32 exec_lo, exec_lo, s1
.LBB72_43:
	v_mbcnt_lo_u32_b32 v3, -1, 0
	s_mov_b32 s2, -1
	v_xor_b32_e32 v5, 8, v3
	v_xor_b32_e32 v11, 4, v3
	v_cmp_gt_i32_e32 vcc_lo, 32, v5
	v_cndmask_b32_e32 v5, v3, v5, vcc_lo
	v_cmp_gt_i32_e32 vcc_lo, 32, v11
	v_lshlrev_b32_e32 v5, 2, v5
	v_cndmask_b32_e32 v11, v3, v11, vcc_lo
	ds_bpermute_b32 v6, v5, v0
	ds_bpermute_b32 v7, v5, v1
	;; [unrolled: 1-line block ×4, first 2 shown]
	v_lshlrev_b32_e32 v11, 2, v11
	s_waitcnt lgkmcnt(3)
	v_add_nc_u32_e32 v0, v6, v0
	s_waitcnt lgkmcnt(2)
	v_add_nc_u32_e32 v1, v7, v1
	;; [unrolled: 2-line block ×4, first 2 shown]
	ds_bpermute_b32 v5, v11, v0
	ds_bpermute_b32 v6, v11, v1
	;; [unrolled: 1-line block ×4, first 2 shown]
	v_xor_b32_e32 v11, 2, v3
	v_cmp_gt_i32_e32 vcc_lo, 32, v11
	v_cndmask_b32_e32 v11, v3, v11, vcc_lo
	v_lshlrev_b32_e32 v11, 2, v11
	s_waitcnt lgkmcnt(3)
	v_add_nc_u32_e32 v0, v5, v0
	s_waitcnt lgkmcnt(2)
	v_add_nc_u32_e32 v1, v6, v1
	;; [unrolled: 2-line block ×4, first 2 shown]
	ds_bpermute_b32 v5, v11, v0
	ds_bpermute_b32 v6, v11, v1
	ds_bpermute_b32 v7, v11, v2
	ds_bpermute_b32 v10, v11, v4
	v_xor_b32_e32 v11, 1, v3
	v_cmp_gt_i32_e32 vcc_lo, 32, v11
	v_cndmask_b32_e32 v3, v3, v11, vcc_lo
	v_cmp_eq_u32_e32 vcc_lo, 15, v26
	v_lshlrev_b32_e32 v11, 2, v3
	s_waitcnt lgkmcnt(3)
	v_add_nc_u32_e32 v0, v5, v0
	s_waitcnt lgkmcnt(2)
	v_add_nc_u32_e32 v1, v6, v1
	;; [unrolled: 2-line block ×4, first 2 shown]
	ds_bpermute_b32 v4, v11, v0
	ds_bpermute_b32 v5, v11, v1
	;; [unrolled: 1-line block ×4, first 2 shown]
	s_and_b32 exec_lo, exec_lo, vcc_lo
	s_cbranch_execz .LBB72_14
; %bb.44:
	s_load_dwordx2 s[0:1], s[4:5], 0x58
	s_waitcnt lgkmcnt(0)
	v_add_nc_u32_e32 v0, v4, v0
	v_add_nc_u32_e32 v1, v5, v1
	;; [unrolled: 1-line block ×4, first 2 shown]
	v_lshlrev_b64 v[4:5], 4, v[8:9]
	v_mul_lo_u32 v0, v0, s7
	v_mul_lo_u32 v1, v1, s7
	;; [unrolled: 1-line block ×4, first 2 shown]
	s_cmp_eq_u32 s16, 0
	s_cbranch_scc1 .LBB72_46
; %bb.45:
	v_add_co_u32 v13, vcc_lo, s0, v4
	v_add_co_ci_u32_e64 v14, null, s1, v5, vcc_lo
	s_mov_b32 s2, 0
	global_load_dwordx4 v[6:9], v[13:14], off
	s_waitcnt vmcnt(0)
	v_mad_u64_u32 v[15:16], null, v9, s16, v[3:4]
	v_mad_u64_u32 v[9:10], null, v6, s16, v[0:1]
	v_mad_u64_u32 v[10:11], null, v7, s16, v[1:2]
	v_mad_u64_u32 v[11:12], null, v8, s16, v[2:3]
	v_mov_b32_e32 v12, v15
	global_store_dwordx4 v[13:14], v[9:12], off
.LBB72_46:
	s_andn2_b32 vcc_lo, exec_lo, s2
	s_cbranch_vccnz .LBB72_14
; %bb.47:
	v_add_co_u32 v4, vcc_lo, s0, v4
	v_add_co_ci_u32_e64 v5, null, s1, v5, vcc_lo
	global_store_dwordx4 v[4:5], v[0:3], off
	s_endpgm
	.section	.rodata,"a",@progbits
	.p2align	6, 0x0
	.amdhsa_kernel _ZN9rocsparseL18bsrxmvn_4x4_kernelILj128ELj16EillaaiEEvT3_20rocsparse_direction_NS_24const_host_device_scalarIT1_EES1_PKS1_PKT2_SA_S7_PKT4_PKT5_S5_PT6_21rocsparse_index_base_b
		.amdhsa_group_segment_fixed_size 0
		.amdhsa_private_segment_fixed_size 0
		.amdhsa_kernarg_size 104
		.amdhsa_user_sgpr_count 6
		.amdhsa_user_sgpr_private_segment_buffer 1
		.amdhsa_user_sgpr_dispatch_ptr 0
		.amdhsa_user_sgpr_queue_ptr 0
		.amdhsa_user_sgpr_kernarg_segment_ptr 1
		.amdhsa_user_sgpr_dispatch_id 0
		.amdhsa_user_sgpr_flat_scratch_init 0
		.amdhsa_user_sgpr_private_segment_size 0
		.amdhsa_wavefront_size32 1
		.amdhsa_uses_dynamic_stack 0
		.amdhsa_system_sgpr_private_segment_wavefront_offset 0
		.amdhsa_system_sgpr_workgroup_id_x 1
		.amdhsa_system_sgpr_workgroup_id_y 0
		.amdhsa_system_sgpr_workgroup_id_z 0
		.amdhsa_system_sgpr_workgroup_info 0
		.amdhsa_system_vgpr_workitem_id 0
		.amdhsa_next_free_vgpr 59
		.amdhsa_next_free_sgpr 17
		.amdhsa_reserve_vcc 1
		.amdhsa_reserve_flat_scratch 0
		.amdhsa_float_round_mode_32 0
		.amdhsa_float_round_mode_16_64 0
		.amdhsa_float_denorm_mode_32 3
		.amdhsa_float_denorm_mode_16_64 3
		.amdhsa_dx10_clamp 1
		.amdhsa_ieee_mode 1
		.amdhsa_fp16_overflow 0
		.amdhsa_workgroup_processor_mode 1
		.amdhsa_memory_ordered 1
		.amdhsa_forward_progress 1
		.amdhsa_shared_vgpr_count 0
		.amdhsa_exception_fp_ieee_invalid_op 0
		.amdhsa_exception_fp_denorm_src 0
		.amdhsa_exception_fp_ieee_div_zero 0
		.amdhsa_exception_fp_ieee_overflow 0
		.amdhsa_exception_fp_ieee_underflow 0
		.amdhsa_exception_fp_ieee_inexact 0
		.amdhsa_exception_int_div_zero 0
	.end_amdhsa_kernel
	.section	.text._ZN9rocsparseL18bsrxmvn_4x4_kernelILj128ELj16EillaaiEEvT3_20rocsparse_direction_NS_24const_host_device_scalarIT1_EES1_PKS1_PKT2_SA_S7_PKT4_PKT5_S5_PT6_21rocsparse_index_base_b,"axG",@progbits,_ZN9rocsparseL18bsrxmvn_4x4_kernelILj128ELj16EillaaiEEvT3_20rocsparse_direction_NS_24const_host_device_scalarIT1_EES1_PKS1_PKT2_SA_S7_PKT4_PKT5_S5_PT6_21rocsparse_index_base_b,comdat
.Lfunc_end72:
	.size	_ZN9rocsparseL18bsrxmvn_4x4_kernelILj128ELj16EillaaiEEvT3_20rocsparse_direction_NS_24const_host_device_scalarIT1_EES1_PKS1_PKT2_SA_S7_PKT4_PKT5_S5_PT6_21rocsparse_index_base_b, .Lfunc_end72-_ZN9rocsparseL18bsrxmvn_4x4_kernelILj128ELj16EillaaiEEvT3_20rocsparse_direction_NS_24const_host_device_scalarIT1_EES1_PKS1_PKT2_SA_S7_PKT4_PKT5_S5_PT6_21rocsparse_index_base_b
                                        ; -- End function
	.set _ZN9rocsparseL18bsrxmvn_4x4_kernelILj128ELj16EillaaiEEvT3_20rocsparse_direction_NS_24const_host_device_scalarIT1_EES1_PKS1_PKT2_SA_S7_PKT4_PKT5_S5_PT6_21rocsparse_index_base_b.num_vgpr, 59
	.set _ZN9rocsparseL18bsrxmvn_4x4_kernelILj128ELj16EillaaiEEvT3_20rocsparse_direction_NS_24const_host_device_scalarIT1_EES1_PKS1_PKT2_SA_S7_PKT4_PKT5_S5_PT6_21rocsparse_index_base_b.num_agpr, 0
	.set _ZN9rocsparseL18bsrxmvn_4x4_kernelILj128ELj16EillaaiEEvT3_20rocsparse_direction_NS_24const_host_device_scalarIT1_EES1_PKS1_PKT2_SA_S7_PKT4_PKT5_S5_PT6_21rocsparse_index_base_b.numbered_sgpr, 17
	.set _ZN9rocsparseL18bsrxmvn_4x4_kernelILj128ELj16EillaaiEEvT3_20rocsparse_direction_NS_24const_host_device_scalarIT1_EES1_PKS1_PKT2_SA_S7_PKT4_PKT5_S5_PT6_21rocsparse_index_base_b.num_named_barrier, 0
	.set _ZN9rocsparseL18bsrxmvn_4x4_kernelILj128ELj16EillaaiEEvT3_20rocsparse_direction_NS_24const_host_device_scalarIT1_EES1_PKS1_PKT2_SA_S7_PKT4_PKT5_S5_PT6_21rocsparse_index_base_b.private_seg_size, 0
	.set _ZN9rocsparseL18bsrxmvn_4x4_kernelILj128ELj16EillaaiEEvT3_20rocsparse_direction_NS_24const_host_device_scalarIT1_EES1_PKS1_PKT2_SA_S7_PKT4_PKT5_S5_PT6_21rocsparse_index_base_b.uses_vcc, 1
	.set _ZN9rocsparseL18bsrxmvn_4x4_kernelILj128ELj16EillaaiEEvT3_20rocsparse_direction_NS_24const_host_device_scalarIT1_EES1_PKS1_PKT2_SA_S7_PKT4_PKT5_S5_PT6_21rocsparse_index_base_b.uses_flat_scratch, 0
	.set _ZN9rocsparseL18bsrxmvn_4x4_kernelILj128ELj16EillaaiEEvT3_20rocsparse_direction_NS_24const_host_device_scalarIT1_EES1_PKS1_PKT2_SA_S7_PKT4_PKT5_S5_PT6_21rocsparse_index_base_b.has_dyn_sized_stack, 0
	.set _ZN9rocsparseL18bsrxmvn_4x4_kernelILj128ELj16EillaaiEEvT3_20rocsparse_direction_NS_24const_host_device_scalarIT1_EES1_PKS1_PKT2_SA_S7_PKT4_PKT5_S5_PT6_21rocsparse_index_base_b.has_recursion, 0
	.set _ZN9rocsparseL18bsrxmvn_4x4_kernelILj128ELj16EillaaiEEvT3_20rocsparse_direction_NS_24const_host_device_scalarIT1_EES1_PKS1_PKT2_SA_S7_PKT4_PKT5_S5_PT6_21rocsparse_index_base_b.has_indirect_call, 0
	.section	.AMDGPU.csdata,"",@progbits
; Kernel info:
; codeLenInByte = 4040
; TotalNumSgprs: 19
; NumVgprs: 59
; ScratchSize: 0
; MemoryBound: 0
; FloatMode: 240
; IeeeMode: 1
; LDSByteSize: 0 bytes/workgroup (compile time only)
; SGPRBlocks: 0
; VGPRBlocks: 7
; NumSGPRsForWavesPerEU: 19
; NumVGPRsForWavesPerEU: 59
; Occupancy: 16
; WaveLimiterHint : 1
; COMPUTE_PGM_RSRC2:SCRATCH_EN: 0
; COMPUTE_PGM_RSRC2:USER_SGPR: 6
; COMPUTE_PGM_RSRC2:TRAP_HANDLER: 0
; COMPUTE_PGM_RSRC2:TGID_X_EN: 1
; COMPUTE_PGM_RSRC2:TGID_Y_EN: 0
; COMPUTE_PGM_RSRC2:TGID_Z_EN: 0
; COMPUTE_PGM_RSRC2:TIDIG_COMP_CNT: 0
	.section	.text._ZN9rocsparseL18bsrxmvn_4x4_kernelILj128ELj32EillaaiEEvT3_20rocsparse_direction_NS_24const_host_device_scalarIT1_EES1_PKS1_PKT2_SA_S7_PKT4_PKT5_S5_PT6_21rocsparse_index_base_b,"axG",@progbits,_ZN9rocsparseL18bsrxmvn_4x4_kernelILj128ELj32EillaaiEEvT3_20rocsparse_direction_NS_24const_host_device_scalarIT1_EES1_PKS1_PKT2_SA_S7_PKT4_PKT5_S5_PT6_21rocsparse_index_base_b,comdat
	.globl	_ZN9rocsparseL18bsrxmvn_4x4_kernelILj128ELj32EillaaiEEvT3_20rocsparse_direction_NS_24const_host_device_scalarIT1_EES1_PKS1_PKT2_SA_S7_PKT4_PKT5_S5_PT6_21rocsparse_index_base_b ; -- Begin function _ZN9rocsparseL18bsrxmvn_4x4_kernelILj128ELj32EillaaiEEvT3_20rocsparse_direction_NS_24const_host_device_scalarIT1_EES1_PKS1_PKT2_SA_S7_PKT4_PKT5_S5_PT6_21rocsparse_index_base_b
	.p2align	8
	.type	_ZN9rocsparseL18bsrxmvn_4x4_kernelILj128ELj32EillaaiEEvT3_20rocsparse_direction_NS_24const_host_device_scalarIT1_EES1_PKS1_PKT2_SA_S7_PKT4_PKT5_S5_PT6_21rocsparse_index_base_b,@function
_ZN9rocsparseL18bsrxmvn_4x4_kernelILj128ELj32EillaaiEEvT3_20rocsparse_direction_NS_24const_host_device_scalarIT1_EES1_PKS1_PKT2_SA_S7_PKT4_PKT5_S5_PT6_21rocsparse_index_base_b: ; @_ZN9rocsparseL18bsrxmvn_4x4_kernelILj128ELj32EillaaiEEvT3_20rocsparse_direction_NS_24const_host_device_scalarIT1_EES1_PKS1_PKT2_SA_S7_PKT4_PKT5_S5_PT6_21rocsparse_index_base_b
; %bb.0:
	s_clause 0x1
	s_load_dwordx2 s[8:9], s[4:5], 0x60
	s_load_dwordx4 s[0:3], s[4:5], 0x10
	s_mov_b32 s12, -1
	s_waitcnt lgkmcnt(0)
	s_bitcmp1_b32 s9, 0
	s_cselect_b32 s7, -1, 0
	s_xor_b32 s9, s7, -1
                                        ; implicit-def: $sgpr7
	s_and_b32 vcc_lo, exec_lo, s9
	s_cbranch_vccnz .LBB73_4
; %bb.1:
	s_load_dwordx2 s[10:11], s[4:5], 0x50
	s_andn2_b32 vcc_lo, exec_lo, s12
	s_cbranch_vccz .LBB73_5
.LBB73_2:
	s_and_b32 vcc_lo, exec_lo, s9
	s_cbranch_vccz .LBB73_6
.LBB73_3:
	s_waitcnt lgkmcnt(0)
	s_load_dword s16, s[10:11], 0x0
	s_cbranch_execz .LBB73_7
	s_branch .LBB73_8
.LBB73_4:
	s_load_dword s7, s[0:1], 0x0
	s_load_dwordx2 s[10:11], s[4:5], 0x50
	s_cbranch_execnz .LBB73_2
.LBB73_5:
	s_waitcnt lgkmcnt(0)
	s_mov_b32 s7, s0
	s_and_b32 vcc_lo, exec_lo, s9
	s_cbranch_vccnz .LBB73_3
.LBB73_6:
                                        ; implicit-def: $sgpr16
.LBB73_7:
	s_waitcnt lgkmcnt(0)
	s_mov_b32 s16, s10
.LBB73_8:
	s_waitcnt lgkmcnt(0)
	s_cmp_lg_u32 s7, 0
	s_mov_b32 s10, 0
	s_cselect_b32 s0, -1, 0
	s_cmp_lg_u32 s16, 1
	s_cselect_b32 s1, -1, 0
	s_or_b32 s0, s0, s1
	s_andn2_b32 vcc_lo, exec_lo, s0
	s_cbranch_vccnz .LBB73_14
; %bb.9:
	s_load_dwordx2 s[0:1], s[4:5], 0x20
	v_lshrrev_b32_e32 v1, 5, v0
	v_mov_b32_e32 v2, 0
	v_lshl_or_b32 v1, s6, 2, v1
	s_waitcnt lgkmcnt(0)
	s_cmp_lg_u64 s[0:1], 0
	s_cbranch_scc0 .LBB73_15
; %bb.10:
	v_cmp_gt_i64_e32 vcc_lo, s[2:3], v[1:2]
	s_mov_b32 s2, 0
                                        ; implicit-def: $vgpr8_vgpr9
                                        ; implicit-def: $vgpr10_vgpr11
	s_and_saveexec_b32 s3, vcc_lo
	s_xor_b32 s3, exec_lo, s3
	s_cbranch_execz .LBB73_12
; %bb.11:
	v_lshlrev_b64 v[3:4], 3, v[1:2]
	s_mov_b32 s9, 0
	s_mov_b32 s10, exec_lo
	v_mov_b32_e32 v11, s9
	v_mov_b32_e32 v10, s8
	v_add_co_u32 v3, vcc_lo, s0, v3
	v_add_co_ci_u32_e64 v4, null, s1, v4, vcc_lo
	global_load_dwordx2 v[3:4], v[3:4], off
	s_waitcnt vmcnt(0)
	v_sub_co_u32 v8, vcc_lo, v3, s8
	v_subrev_co_ci_u32_e64 v9, null, 0, v4, vcc_lo
.LBB73_12:
	s_or_b32 exec_lo, exec_lo, s3
	s_and_b32 vcc_lo, exec_lo, s2
	s_cbranch_vccnz .LBB73_16
.LBB73_13:
	s_and_saveexec_b32 s0, s10
	s_cbranch_execnz .LBB73_19
.LBB73_14:
	s_endpgm
.LBB73_15:
                                        ; implicit-def: $vgpr8_vgpr9
                                        ; implicit-def: $vgpr10_vgpr11
	s_cbranch_execz .LBB73_13
.LBB73_16:
	s_load_dwordx2 s[0:1], s[4:5], 0x0
	s_waitcnt lgkmcnt(0)
	v_cmp_gt_i64_e32 vcc_lo, s[0:1], v[1:2]
	s_and_saveexec_b32 s0, vcc_lo
; %bb.17:
	s_mov_b32 s9, 0
	s_or_b32 s10, s10, exec_lo
; %bb.18:
	s_or_b32 exec_lo, exec_lo, s0
	v_mov_b32_e32 v11, s9
	v_mov_b32_e32 v9, v2
	v_mov_b32_e32 v10, s8
	v_mov_b32_e32 v8, v1
	s_and_saveexec_b32 s0, s10
	s_cbranch_execz .LBB73_14
.LBB73_19:
	s_load_dwordx8 s[8:15], s[4:5], 0x28
	v_lshlrev_b64 v[1:2], 3, v[8:9]
	v_and_b32_e32 v26, 31, v0
	s_clause 0x1
	s_load_dword s1, s[4:5], 0x8
	s_load_dwordx2 s[2:3], s[4:5], 0x48
	s_waitcnt lgkmcnt(0)
	v_add_co_u32 v3, vcc_lo, s8, v1
	v_add_co_ci_u32_e64 v4, null, s9, v2, vcc_lo
	v_add_co_u32 v1, vcc_lo, s10, v1
	v_add_co_ci_u32_e64 v2, null, s11, v2, vcc_lo
	v_add_co_u32 v5, vcc_lo, v3, 8
	global_load_dwordx2 v[16:17], v[3:4], off
	v_add_co_ci_u32_e64 v6, null, 0, v4, vcc_lo
	s_cmp_eq_u64 s[10:11], 0
	v_mov_b32_e32 v4, 0
	s_cselect_b32 vcc_lo, -1, 0
	s_cmp_eq_u32 s1, 1
	v_cndmask_b32_e32 v2, v2, v6, vcc_lo
	v_cndmask_b32_e32 v1, v1, v5, vcc_lo
	global_load_dwordx2 v[1:2], v[1:2], off
	s_waitcnt vmcnt(1)
	v_sub_co_u32 v0, vcc_lo, v16, v10
	v_sub_co_ci_u32_e64 v3, null, v17, v11, vcc_lo
	v_add_co_u32 v14, vcc_lo, v0, v26
	v_add_co_ci_u32_e64 v15, null, 0, v3, vcc_lo
	s_waitcnt vmcnt(0)
	v_sub_co_u32 v18, vcc_lo, v1, v10
	v_lshlrev_b64 v[0:1], 4, v[14:15]
	v_sub_co_ci_u32_e64 v19, null, v2, v11, vcc_lo
	v_add_co_u32 v12, vcc_lo, s14, v0
	v_cmp_lt_i64_e64 s0, v[14:15], v[18:19]
	v_add_co_ci_u32_e64 v13, null, s15, v1, vcc_lo
	s_cbranch_scc1 .LBB73_31
; %bb.20:
	v_mov_b32_e32 v2, 0
	v_mov_b32_e32 v1, 0
	;; [unrolled: 1-line block ×3, first 2 shown]
	s_and_saveexec_b32 s6, s0
	s_cbranch_execz .LBB73_30
; %bb.21:
	v_or_b32_e32 v0, 32, v26
	v_not_b32_e32 v3, v16
	v_sub_co_u32 v4, s1, v10, v26
	v_not_b32_e32 v2, v17
	v_sub_co_u32 v0, vcc_lo, v0, v10
	v_sub_co_ci_u32_e64 v1, null, 0, v11, vcc_lo
	v_subrev_co_ci_u32_e64 v5, null, 0, v11, s1
	v_add_co_u32 v0, vcc_lo, v0, v16
	v_add_co_ci_u32_e64 v1, null, v1, v17, vcc_lo
	v_mov_b32_e32 v21, v15
	v_mov_b32_e32 v20, v14
	s_mov_b32 s9, 0
	v_cmp_gt_i64_e32 vcc_lo, v[0:1], v[18:19]
	v_cndmask_b32_e32 v1, v19, v1, vcc_lo
	v_cndmask_b32_e32 v0, v18, v0, vcc_lo
	v_add_co_u32 v3, vcc_lo, v4, v3
	v_add_co_ci_u32_e64 v2, null, v5, v2, vcc_lo
	v_mov_b32_e32 v4, 0
	v_add_co_u32 v22, vcc_lo, v3, v0
	v_add_co_ci_u32_e64 v23, null, v2, v1, vcc_lo
	v_mov_b32_e32 v5, v4
	v_mov_b32_e32 v6, v4
	;; [unrolled: 1-line block ×3, first 2 shown]
	v_lshrrev_b64 v[24:25], 5, v[22:23]
	v_mov_b32_e32 v0, v4
	v_mov_b32_e32 v1, v5
	;; [unrolled: 1-line block ×4, first 2 shown]
	v_cmp_lt_u64_e32 vcc_lo, 0x5f, v[22:23]
	v_add_co_u32 v7, s1, v24, 1
	v_mov_b32_e32 v5, v12
	v_add_co_ci_u32_e64 v23, null, 0, v25, s1
	v_mov_b32_e32 v6, v13
	s_and_saveexec_b32 s8, vcc_lo
	s_cbranch_execz .LBB73_25
; %bb.22:
	v_lshlrev_b64 v[0:1], 3, v[14:15]
	v_mov_b32_e32 v5, v12
	v_mov_b32_e32 v21, v15
	v_and_b32_e32 v22, -4, v7
	v_mov_b32_e32 v2, 0
	v_mov_b32_e32 v6, v13
	v_add_co_u32 v0, vcc_lo, s12, v0
	v_add_co_ci_u32_e64 v3, null, s13, v1, vcc_lo
	v_mov_b32_e32 v1, 0
	v_add_co_u32 v24, vcc_lo, 0x200, v0
	v_add_co_ci_u32_e64 v25, null, 0, v3, vcc_lo
	v_mov_b32_e32 v0, 0
	v_mov_b32_e32 v20, v14
.LBB73_23:                              ; =>This Inner Loop Header: Depth=1
	s_clause 0x3
	global_load_dwordx2 v[39:40], v[24:25], off offset:-512
	global_load_dwordx2 v[41:42], v[24:25], off offset:-256
	global_load_dwordx2 v[43:44], v[24:25], off
	global_load_dwordx2 v[45:46], v[24:25], off offset:256
	s_clause 0x2
	global_load_dwordx4 v[27:30], v[5:6], off
	global_load_dwordx4 v[31:34], v[5:6], off offset:512
	global_load_dwordx4 v[35:38], v[5:6], off offset:1024
	s_waitcnt vmcnt(6)
	v_sub_co_u32 v39, vcc_lo, v39, v10
	v_sub_co_ci_u32_e64 v40, null, v40, v11, vcc_lo
	s_waitcnt vmcnt(5)
	v_sub_co_u32 v41, vcc_lo, v41, v10
	v_sub_co_ci_u32_e64 v42, null, v42, v11, vcc_lo
	;; [unrolled: 3-line block ×3, first 2 shown]
	v_lshlrev_b64 v[39:40], 2, v[39:40]
	v_lshlrev_b64 v[41:42], 2, v[41:42]
	s_waitcnt vmcnt(3)
	v_sub_co_u32 v45, vcc_lo, v45, v10
	v_lshlrev_b64 v[43:44], 2, v[43:44]
	v_sub_co_ci_u32_e64 v46, null, v46, v11, vcc_lo
	v_add_co_u32 v39, s1, s2, v39
	v_add_co_ci_u32_e64 v40, null, s3, v40, s1
	v_add_co_u32 v41, s1, s2, v41
	v_add_co_ci_u32_e64 v42, null, s3, v42, s1
	;; [unrolled: 2-line block ×3, first 2 shown]
	s_clause 0x2
	global_load_dword v3, v[39:40], off
	global_load_dword v47, v[41:42], off
	;; [unrolled: 1-line block ×3, first 2 shown]
	v_lshlrev_b64 v[39:40], 2, v[45:46]
	s_waitcnt vmcnt(5)
	v_ashrrev_i32_e32 v45, 24, v30
	s_waitcnt vmcnt(4)
	v_lshrrev_b16 v49, 8, v34
	v_bfe_i32 v46, v30, 0, 8
	s_waitcnt vmcnt(3)
	v_bfe_i32 v50, v38, 8, 8
	v_add_co_u32 v43, vcc_lo, s2, v39
	v_add_co_ci_u32_e64 v44, null, s3, v40, vcc_lo
	global_load_dwordx4 v[39:42], v[5:6], off offset:1536
	global_load_dword v43, v[43:44], off
	v_lshrrev_b16 v44, 8, v30
	v_bfe_i32 v30, v30, 16, 8
	v_add_co_u32 v5, vcc_lo, 0x800, v5
	v_add_co_ci_u32_e64 v6, null, 0, v6, vcc_lo
	v_add_co_u32 v20, vcc_lo, 0x80, v20
	v_add_co_ci_u32_e64 v21, null, 0, v21, vcc_lo
	v_add_co_u32 v22, vcc_lo, v22, -4
	v_add_co_ci_u32_e64 v23, null, -1, v23, vcc_lo
	v_add_co_u32 v24, vcc_lo, 0x400, v24
	v_add_co_ci_u32_e64 v25, null, 0, v25, vcc_lo
	v_cmp_eq_u64_e32 vcc_lo, 0, v[22:23]
	s_or_b32 s9, vcc_lo, s9
	s_waitcnt vmcnt(4)
	v_lshrrev_b16 v51, 8, v3
	v_ashrrev_i32_e32 v52, 24, v3
	v_bfe_i32 v53, v3, 0, 8
	v_bfe_i32 v54, v3, 16, 8
	v_dot4c_i32_i8 v0, v3, v27
	v_dot4c_i32_i8 v1, v3, v28
	;; [unrolled: 1-line block ×3, first 2 shown]
	s_waitcnt vmcnt(3)
	v_lshrrev_b16 v3, 8, v47
	v_mul_i32_i24_sdwa v28, sext(v34), sext(v47) dst_sel:DWORD dst_unused:UNUSED_PAD src0_sel:BYTE_3 src1_sel:BYTE_3
	v_mul_i32_i24_sdwa v27, sext(v34), sext(v47) dst_sel:DWORD dst_unused:UNUSED_PAD src0_sel:BYTE_0 src1_sel:BYTE_0
	v_mul_i32_i24_sdwa v29, sext(v34), sext(v47) dst_sel:DWORD dst_unused:UNUSED_PAD src0_sel:BYTE_2 src1_sel:BYTE_2
	v_mul_i32_i24_sdwa v44, sext(v44), sext(v51) dst_sel:DWORD dst_unused:UNUSED_PAD src0_sel:BYTE_0 src1_sel:BYTE_0
	v_mul_i32_i24_sdwa v3, sext(v49), sext(v3) dst_sel:DWORD dst_unused:UNUSED_PAD src0_sel:BYTE_0 src1_sel:BYTE_0
	v_mad_i32_i24 v28, v45, v52, v28
	s_waitcnt vmcnt(2)
	v_bfe_i32 v34, v48, 8, 8
	v_mul_i32_i24_sdwa v45, sext(v38), sext(v48) dst_sel:DWORD dst_unused:UNUSED_PAD src0_sel:BYTE_2 src1_sel:BYTE_2
	v_mad_i32_i24 v29, v30, v54, v29
	v_mad_i32_i24 v27, v46, v53, v27
	v_add3_u32 v3, v44, v3, v28
	v_mul_i32_i24_sdwa v28, sext(v48), sext(v38) dst_sel:DWORD dst_unused:UNUSED_PAD src0_sel:BYTE_0 src1_sel:BYTE_0
	v_mad_i32_i24 v34, v34, v50, v45
	v_mul_i32_i24_sdwa v30, sext(v38), sext(v48) dst_sel:DWORD dst_unused:UNUSED_PAD src0_sel:BYTE_3 src1_sel:BYTE_3
	v_dot4c_i32_i8 v0, v47, v31
	v_add3_u32 v3, v27, v29, v3
	v_dot4c_i32_i8 v2, v47, v33
	v_dot4c_i32_i8 v1, v47, v32
	;; [unrolled: 1-line block ×3, first 2 shown]
	v_add3_u32 v3, v3, v28, v34
	v_dot4c_i32_i8 v2, v37, v48
	v_dot4c_i32_i8 v1, v36, v48
	s_waitcnt vmcnt(0)
	v_dot4c_i32_i8 v0, v43, v39
	v_add3_u32 v4, v3, v4, v30
	v_dot4c_i32_i8 v2, v43, v41
	v_dot4c_i32_i8 v1, v43, v40
	;; [unrolled: 1-line block ×3, first 2 shown]
	s_andn2_b32 exec_lo, exec_lo, s9
	s_cbranch_execnz .LBB73_23
; %bb.24:
	s_or_b32 exec_lo, exec_lo, s9
	v_mov_b32_e32 v3, v4
.LBB73_25:
	s_or_b32 exec_lo, exec_lo, s8
	v_and_b32_e32 v22, 3, v7
	v_mov_b32_e32 v23, 0
	s_mov_b32 s1, exec_lo
	v_cmpx_ne_u64_e32 0, v[22:23]
	s_cbranch_execz .LBB73_29
; %bb.26:
	v_lshlrev_b64 v[20:21], 3, v[20:21]
	v_lshlrev_b32_e32 v22, 1, v22
	s_mov_b32 s8, 0
	v_add_co_u32 v20, vcc_lo, s12, v20
	v_add_co_ci_u32_e64 v21, null, s13, v21, vcc_lo
	s_inst_prefetch 0x1
	.p2align	6
.LBB73_27:                              ; =>This Inner Loop Header: Depth=1
	global_load_dwordx2 v[24:25], v[20:21], off
	s_waitcnt vmcnt(0)
	v_sub_co_u32 v24, vcc_lo, v24, v10
	v_sub_co_ci_u32_e64 v25, null, v25, v11, vcc_lo
	v_lshlrev_b64 v[24:25], 2, v[24:25]
	v_add_co_u32 v24, vcc_lo, s2, v24
	v_add_co_ci_u32_e64 v25, null, s3, v25, vcc_lo
	global_load_dwordx4 v[27:30], v[5:6], off
	global_load_dword v4, v[24:25], off
	v_add_co_u32 v5, vcc_lo, 0x200, v5
	v_add_co_ci_u32_e64 v6, null, 0, v6, vcc_lo
	v_add_co_u32 v22, vcc_lo, v22, -2
	v_add_co_ci_u32_e64 v23, null, -1, v23, vcc_lo
	v_add_co_u32 v20, vcc_lo, 0x100, v20
	v_add_co_ci_u32_e64 v21, null, 0, v21, vcc_lo
	v_cmp_eq_u64_e32 vcc_lo, 0, v[22:23]
	s_or_b32 s8, vcc_lo, s8
	s_waitcnt vmcnt(0)
	v_dot4c_i32_i8 v3, v4, v30
	v_dot4c_i32_i8 v2, v4, v29
	;; [unrolled: 1-line block ×4, first 2 shown]
	s_andn2_b32 exec_lo, exec_lo, s8
	s_cbranch_execnz .LBB73_27
; %bb.28:
	s_inst_prefetch 0x2
	s_or_b32 exec_lo, exec_lo, s8
	v_mov_b32_e32 v4, v3
.LBB73_29:
	s_or_b32 exec_lo, exec_lo, s1
.LBB73_30:
	s_or_b32 exec_lo, exec_lo, s6
	s_cbranch_execz .LBB73_32
	s_branch .LBB73_43
.LBB73_31:
                                        ; implicit-def: $vgpr4
                                        ; implicit-def: $vgpr2
.LBB73_32:
	v_mov_b32_e32 v4, 0
	v_mov_b32_e32 v2, 0
	;; [unrolled: 1-line block ×4, first 2 shown]
	s_and_saveexec_b32 s1, s0
	s_cbranch_execz .LBB73_42
; %bb.33:
	v_or_b32_e32 v0, 32, v26
	v_not_b32_e32 v3, v16
	v_sub_co_u32 v4, s0, v10, v26
	v_not_b32_e32 v2, v17
	v_sub_co_u32 v0, vcc_lo, v0, v10
	v_sub_co_ci_u32_e64 v1, null, 0, v11, vcc_lo
	v_subrev_co_ci_u32_e64 v5, null, 0, v11, s0
	v_add_co_u32 v0, vcc_lo, v0, v16
	v_add_co_ci_u32_e64 v1, null, v1, v17, vcc_lo
	s_mov_b32 s8, 0
	v_cmp_gt_i64_e32 vcc_lo, v[0:1], v[18:19]
	v_cndmask_b32_e32 v1, v19, v1, vcc_lo
	v_cndmask_b32_e32 v0, v18, v0, vcc_lo
	v_add_co_u32 v3, vcc_lo, v4, v3
	v_add_co_ci_u32_e64 v2, null, v5, v2, vcc_lo
	v_mov_b32_e32 v4, 0
	v_add_co_u32 v0, vcc_lo, v3, v0
	v_add_co_ci_u32_e64 v1, null, v2, v1, vcc_lo
	v_mov_b32_e32 v5, v4
	v_mov_b32_e32 v6, v4
	;; [unrolled: 1-line block ×3, first 2 shown]
	v_lshrrev_b64 v[2:3], 5, v[0:1]
	v_cmp_lt_u64_e32 vcc_lo, 0x5f, v[0:1]
	v_add_co_u32 v18, s0, v2, 1
	v_add_co_ci_u32_e64 v17, null, 0, v3, s0
	v_mov_b32_e32 v0, v4
	v_mov_b32_e32 v1, v5
	;; [unrolled: 1-line block ×4, first 2 shown]
	s_and_saveexec_b32 s6, vcc_lo
	s_cbranch_execz .LBB73_37
; %bb.34:
	v_lshlrev_b64 v[0:1], 3, v[14:15]
	v_and_b32_e32 v16, -4, v18
	v_mov_b32_e32 v2, 0
	v_add_co_u32 v0, vcc_lo, s12, v0
	v_add_co_ci_u32_e64 v3, null, s13, v1, vcc_lo
	v_mov_b32_e32 v1, 0
	v_add_co_u32 v5, vcc_lo, 0x200, v0
	v_add_co_ci_u32_e64 v6, null, 0, v3, vcc_lo
	v_mov_b32_e32 v0, 0
.LBB73_35:                              ; =>This Inner Loop Header: Depth=1
	s_clause 0x3
	global_load_dwordx2 v[23:24], v[5:6], off offset:-512
	global_load_dwordx2 v[39:40], v[5:6], off offset:-256
	global_load_dwordx2 v[41:42], v[5:6], off
	global_load_dwordx2 v[43:44], v[5:6], off offset:256
	s_clause 0x3
	global_load_dwordx4 v[19:22], v[12:13], off
	global_load_dwordx4 v[27:30], v[12:13], off offset:512
	global_load_dwordx4 v[31:34], v[12:13], off offset:1024
	;; [unrolled: 1-line block ×3, first 2 shown]
	s_waitcnt vmcnt(7)
	v_sub_co_u32 v23, vcc_lo, v23, v10
	v_sub_co_ci_u32_e64 v24, null, v24, v11, vcc_lo
	s_waitcnt vmcnt(6)
	v_sub_co_u32 v39, vcc_lo, v39, v10
	v_sub_co_ci_u32_e64 v40, null, v40, v11, vcc_lo
	;; [unrolled: 3-line block ×3, first 2 shown]
	v_lshlrev_b64 v[23:24], 2, v[23:24]
	v_lshlrev_b64 v[39:40], 2, v[39:40]
	s_waitcnt vmcnt(4)
	v_sub_co_u32 v43, vcc_lo, v43, v10
	v_lshlrev_b64 v[41:42], 2, v[41:42]
	v_sub_co_ci_u32_e64 v44, null, v44, v11, vcc_lo
	v_add_co_u32 v23, s0, s2, v23
	v_add_co_ci_u32_e64 v24, null, s3, v24, s0
	v_add_co_u32 v39, s0, s2, v39
	v_add_co_ci_u32_e64 v40, null, s3, v40, s0
	;; [unrolled: 2-line block ×3, first 2 shown]
	s_clause 0x2
	global_load_dword v3, v[23:24], off
	global_load_dword v7, v[39:40], off
	;; [unrolled: 1-line block ×3, first 2 shown]
	v_lshlrev_b64 v[23:24], 2, v[43:44]
	s_waitcnt vmcnt(6)
	v_perm_b32 v40, v21, v20, 0xc05010c
	v_perm_b32 v42, v21, v20, 0xc06020c
	s_waitcnt vmcnt(5)
	v_perm_b32 v44, v29, v28, 0x4000c0c
	v_perm_b32 v45, v27, v22, 0xc0c0501
	;; [unrolled: 1-line block ×3, first 2 shown]
	v_add_co_u32 v23, vcc_lo, s2, v23
	v_add_co_ci_u32_e64 v24, null, s3, v24, vcc_lo
	v_perm_b32 v47, v27, v22, 0xc0c0602
	v_perm_b32 v48, v29, v28, 0x6020c0c
	s_waitcnt vmcnt(4)
	v_perm_b32 v50, v31, v30, 0xc0c0501
	global_load_dword v23, v[23:24], off
	v_perm_b32 v24, v21, v20, 0xc04000c
	v_perm_b32 v20, v21, v20, 0xc07030c
	;; [unrolled: 1-line block ×5, first 2 shown]
	v_lshrrev_b32_e32 v28, 16, v34
	v_perm_b32 v29, v31, v30, 0xc0c0400
	v_perm_b32 v52, v31, v30, 0xc0c0602
	;; [unrolled: 1-line block ×8, first 2 shown]
	v_or_b32_e32 v30, v31, v30
	v_ashrrev_i16 v31, 8, v28
	v_bfe_i32 v28, v28, 0, 8
	v_perm_b32 v49, v33, v32, 0x4000c0c
	v_perm_b32 v51, v33, v32, 0x5010c0c
	;; [unrolled: 1-line block ×3, first 2 shown]
	v_ashrrev_i16 v32, 8, v34
	v_bfe_i32 v33, v34, 0, 8
	s_waitcnt vmcnt(4)
	v_perm_b32 v34, v36, v35, 0xc0c0703
	v_perm_b32 v54, v38, v37, 0x7030c0c
	;; [unrolled: 1-line block ×8, first 2 shown]
	v_or_b32_e32 v24, v24, v39
	v_or_b32_e32 v37, v40, v41
	;; [unrolled: 1-line block ×4, first 2 shown]
	v_perm_b32 v28, v31, v28, 0x5040100
	v_or_b32_e32 v20, v44, v21
	v_or_b32_e32 v21, v46, v45
	;; [unrolled: 1-line block ×7, first 2 shown]
	v_perm_b32 v32, v32, v33, 0x5040100
	v_add_co_u32 v12, vcc_lo, 0x800, v12
	v_add_co_ci_u32_e64 v13, null, 0, v13, vcc_lo
	v_add_co_u32 v14, vcc_lo, 0x80, v14
	v_add_co_ci_u32_e64 v15, null, 0, v15, vcc_lo
	v_add_co_u32 v16, vcc_lo, v16, -4
	v_add_co_ci_u32_e64 v17, null, -1, v17, vcc_lo
	v_add_co_u32 v5, vcc_lo, 0x400, v5
	v_or_b32_e32 v33, v54, v34
	v_or_b32_e32 v34, v56, v55
	;; [unrolled: 1-line block ×3, first 2 shown]
	v_add_co_ci_u32_e64 v6, null, 0, v6, vcc_lo
	v_cmp_eq_u64_e32 vcc_lo, 0, v[16:17]
	s_or_b32 s8, vcc_lo, s8
	s_waitcnt vmcnt(3)
	v_perm_b32 v31, v3, v3, 0xc020100
	s_waitcnt vmcnt(2)
	v_perm_b32 v3, v7, v3, 0x6050403
	s_waitcnt vmcnt(1)
	v_lshrrev_b32_e32 v42, 24, v25
	v_perm_b32 v7, v25, v7, 0x6050403
	v_dot4c_i32_i8 v0, v31, v24
	v_dot4c_i32_i8 v4, v19, v31
	;; [unrolled: 1-line block ×4, first 2 shown]
	v_bfe_i32 v19, v42, 0, 8
	v_dot4c_i32_i8 v0, v3, v20
	v_dot4c_i32_i8 v4, v22, v3
	;; [unrolled: 1-line block ×4, first 2 shown]
	v_pk_mul_lo_u16 v3, v19, v32 op_sel_hi:[0,1]
	v_pk_mul_lo_u16 v19, v19, v28 op_sel_hi:[0,1]
	v_dot4c_i32_i8 v4, v30, v7
	v_dot4c_i32_i8 v2, v40, v7
	;; [unrolled: 1-line block ×4, first 2 shown]
	v_or_b32_e32 v7, v36, v35
	v_add_nc_u32_sdwa v4, v4, sext(v19) dst_sel:DWORD dst_unused:UNUSED_PAD src0_sel:DWORD src1_sel:WORD_1
	v_add_nc_u32_sdwa v2, v2, sext(v19) dst_sel:DWORD dst_unused:UNUSED_PAD src0_sel:DWORD src1_sel:WORD_0
	v_add_nc_u32_sdwa v1, v1, sext(v3) dst_sel:DWORD dst_unused:UNUSED_PAD src0_sel:DWORD src1_sel:WORD_1
	v_add_nc_u32_sdwa v0, v0, sext(v3) dst_sel:DWORD dst_unused:UNUSED_PAD src0_sel:DWORD src1_sel:WORD_0
	s_waitcnt vmcnt(0)
	v_dot4c_i32_i8 v4, v23, v33
	v_dot4c_i32_i8 v2, v23, v34
	;; [unrolled: 1-line block ×4, first 2 shown]
	s_andn2_b32 exec_lo, exec_lo, s8
	s_cbranch_execnz .LBB73_35
; %bb.36:
	s_or_b32 exec_lo, exec_lo, s8
	v_mov_b32_e32 v3, v4
.LBB73_37:
	s_or_b32 exec_lo, exec_lo, s6
	v_and_b32_e32 v5, 3, v18
	v_mov_b32_e32 v6, 0
	s_mov_b32 s0, exec_lo
	v_cmpx_ne_u64_e32 0, v[5:6]
	s_cbranch_execz .LBB73_41
; %bb.38:
	v_lshlrev_b64 v[14:15], 3, v[14:15]
	v_lshlrev_b32_e32 v5, 1, v5
	s_mov_b32 s6, 0
	v_add_co_u32 v14, vcc_lo, s12, v14
	v_add_co_ci_u32_e64 v15, null, s13, v15, vcc_lo
.LBB73_39:                              ; =>This Inner Loop Header: Depth=1
	global_load_dwordx2 v[20:21], v[14:15], off
	global_load_dwordx4 v[16:19], v[12:13], off
	s_waitcnt vmcnt(1)
	v_sub_co_u32 v20, vcc_lo, v20, v10
	v_sub_co_ci_u32_e64 v21, null, v21, v11, vcc_lo
	s_waitcnt vmcnt(0)
	v_perm_b32 v7, v17, v16, 0xc0c0703
	v_perm_b32 v22, v19, v18, 0x6020c0c
	;; [unrolled: 1-line block ×3, first 2 shown]
	v_lshlrev_b64 v[20:21], 2, v[20:21]
	v_perm_b32 v24, v19, v18, 0x5010c0c
	v_add_co_u32 v20, vcc_lo, s2, v20
	v_add_co_ci_u32_e64 v21, null, s3, v21, vcc_lo
	v_add_co_u32 v12, vcc_lo, 0x200, v12
	v_add_co_ci_u32_e64 v13, null, 0, v13, vcc_lo
	global_load_dword v4, v[20:21], off
	v_add_co_u32 v14, vcc_lo, 0x100, v14
	v_add_co_ci_u32_e64 v15, null, 0, v15, vcc_lo
	v_add_co_u32 v5, vcc_lo, v5, -2
	v_perm_b32 v20, v19, v18, 0x7030c0c
	v_perm_b32 v21, v17, v16, 0xc0c0602
	;; [unrolled: 1-line block ×4, first 2 shown]
	v_add_co_ci_u32_e64 v6, null, -1, v6, vcc_lo
	v_or_b32_e32 v7, v20, v7
	v_or_b32_e32 v18, v22, v21
	;; [unrolled: 1-line block ×4, first 2 shown]
	v_cmp_eq_u64_e32 vcc_lo, 0, v[5:6]
	s_or_b32 s6, vcc_lo, s6
	s_waitcnt vmcnt(0)
	v_dot4c_i32_i8 v3, v4, v7
	v_dot4c_i32_i8 v2, v4, v18
	;; [unrolled: 1-line block ×4, first 2 shown]
	s_andn2_b32 exec_lo, exec_lo, s6
	s_cbranch_execnz .LBB73_39
; %bb.40:
	s_or_b32 exec_lo, exec_lo, s6
	v_mov_b32_e32 v4, v3
.LBB73_41:
	s_or_b32 exec_lo, exec_lo, s0
.LBB73_42:
	s_or_b32 exec_lo, exec_lo, s1
.LBB73_43:
	v_mbcnt_lo_u32_b32 v3, -1, 0
	s_mov_b32 s2, -1
	v_xor_b32_e32 v5, 16, v3
	v_xor_b32_e32 v11, 8, v3
	v_cmp_gt_i32_e32 vcc_lo, 32, v5
	v_cndmask_b32_e32 v5, v3, v5, vcc_lo
	v_cmp_gt_i32_e32 vcc_lo, 32, v11
	v_lshlrev_b32_e32 v5, 2, v5
	v_cndmask_b32_e32 v11, v3, v11, vcc_lo
	ds_bpermute_b32 v6, v5, v0
	ds_bpermute_b32 v7, v5, v1
	;; [unrolled: 1-line block ×4, first 2 shown]
	v_lshlrev_b32_e32 v11, 2, v11
	s_waitcnt lgkmcnt(3)
	v_add_nc_u32_e32 v0, v6, v0
	s_waitcnt lgkmcnt(2)
	v_add_nc_u32_e32 v1, v7, v1
	s_waitcnt lgkmcnt(1)
	v_add_nc_u32_e32 v2, v10, v2
	s_waitcnt lgkmcnt(0)
	v_add_nc_u32_e32 v4, v5, v4
	ds_bpermute_b32 v5, v11, v0
	ds_bpermute_b32 v6, v11, v1
	ds_bpermute_b32 v7, v11, v2
	ds_bpermute_b32 v10, v11, v4
	v_xor_b32_e32 v11, 4, v3
	v_cmp_gt_i32_e32 vcc_lo, 32, v11
	v_cndmask_b32_e32 v11, v3, v11, vcc_lo
	v_lshlrev_b32_e32 v11, 2, v11
	s_waitcnt lgkmcnt(3)
	v_add_nc_u32_e32 v0, v5, v0
	s_waitcnt lgkmcnt(2)
	v_add_nc_u32_e32 v1, v6, v1
	s_waitcnt lgkmcnt(1)
	v_add_nc_u32_e32 v2, v7, v2
	s_waitcnt lgkmcnt(0)
	v_add_nc_u32_e32 v4, v10, v4
	ds_bpermute_b32 v5, v11, v0
	ds_bpermute_b32 v6, v11, v1
	ds_bpermute_b32 v7, v11, v2
	ds_bpermute_b32 v10, v11, v4
	v_xor_b32_e32 v11, 2, v3
	v_cmp_gt_i32_e32 vcc_lo, 32, v11
	v_cndmask_b32_e32 v11, v3, v11, vcc_lo
	;; [unrolled: 16-line block ×3, first 2 shown]
	v_cmp_eq_u32_e32 vcc_lo, 31, v26
	v_lshlrev_b32_e32 v11, 2, v3
	s_waitcnt lgkmcnt(3)
	v_add_nc_u32_e32 v0, v5, v0
	s_waitcnt lgkmcnt(2)
	v_add_nc_u32_e32 v1, v6, v1
	;; [unrolled: 2-line block ×4, first 2 shown]
	ds_bpermute_b32 v4, v11, v0
	ds_bpermute_b32 v5, v11, v1
	;; [unrolled: 1-line block ×4, first 2 shown]
	s_and_b32 exec_lo, exec_lo, vcc_lo
	s_cbranch_execz .LBB73_14
; %bb.44:
	s_load_dwordx2 s[0:1], s[4:5], 0x58
	s_waitcnt lgkmcnt(0)
	v_add_nc_u32_e32 v0, v4, v0
	v_add_nc_u32_e32 v1, v5, v1
	;; [unrolled: 1-line block ×4, first 2 shown]
	v_lshlrev_b64 v[4:5], 4, v[8:9]
	v_mul_lo_u32 v0, v0, s7
	v_mul_lo_u32 v1, v1, s7
	;; [unrolled: 1-line block ×4, first 2 shown]
	s_cmp_eq_u32 s16, 0
	s_cbranch_scc1 .LBB73_46
; %bb.45:
	v_add_co_u32 v13, vcc_lo, s0, v4
	v_add_co_ci_u32_e64 v14, null, s1, v5, vcc_lo
	s_mov_b32 s2, 0
	global_load_dwordx4 v[6:9], v[13:14], off
	s_waitcnt vmcnt(0)
	v_mad_u64_u32 v[15:16], null, v9, s16, v[3:4]
	v_mad_u64_u32 v[9:10], null, v6, s16, v[0:1]
	;; [unrolled: 1-line block ×4, first 2 shown]
	v_mov_b32_e32 v12, v15
	global_store_dwordx4 v[13:14], v[9:12], off
.LBB73_46:
	s_andn2_b32 vcc_lo, exec_lo, s2
	s_cbranch_vccnz .LBB73_14
; %bb.47:
	v_add_co_u32 v4, vcc_lo, s0, v4
	v_add_co_ci_u32_e64 v5, null, s1, v5, vcc_lo
	global_store_dwordx4 v[4:5], v[0:3], off
	s_endpgm
	.section	.rodata,"a",@progbits
	.p2align	6, 0x0
	.amdhsa_kernel _ZN9rocsparseL18bsrxmvn_4x4_kernelILj128ELj32EillaaiEEvT3_20rocsparse_direction_NS_24const_host_device_scalarIT1_EES1_PKS1_PKT2_SA_S7_PKT4_PKT5_S5_PT6_21rocsparse_index_base_b
		.amdhsa_group_segment_fixed_size 0
		.amdhsa_private_segment_fixed_size 0
		.amdhsa_kernarg_size 104
		.amdhsa_user_sgpr_count 6
		.amdhsa_user_sgpr_private_segment_buffer 1
		.amdhsa_user_sgpr_dispatch_ptr 0
		.amdhsa_user_sgpr_queue_ptr 0
		.amdhsa_user_sgpr_kernarg_segment_ptr 1
		.amdhsa_user_sgpr_dispatch_id 0
		.amdhsa_user_sgpr_flat_scratch_init 0
		.amdhsa_user_sgpr_private_segment_size 0
		.amdhsa_wavefront_size32 1
		.amdhsa_uses_dynamic_stack 0
		.amdhsa_system_sgpr_private_segment_wavefront_offset 0
		.amdhsa_system_sgpr_workgroup_id_x 1
		.amdhsa_system_sgpr_workgroup_id_y 0
		.amdhsa_system_sgpr_workgroup_id_z 0
		.amdhsa_system_sgpr_workgroup_info 0
		.amdhsa_system_vgpr_workitem_id 0
		.amdhsa_next_free_vgpr 59
		.amdhsa_next_free_sgpr 17
		.amdhsa_reserve_vcc 1
		.amdhsa_reserve_flat_scratch 0
		.amdhsa_float_round_mode_32 0
		.amdhsa_float_round_mode_16_64 0
		.amdhsa_float_denorm_mode_32 3
		.amdhsa_float_denorm_mode_16_64 3
		.amdhsa_dx10_clamp 1
		.amdhsa_ieee_mode 1
		.amdhsa_fp16_overflow 0
		.amdhsa_workgroup_processor_mode 1
		.amdhsa_memory_ordered 1
		.amdhsa_forward_progress 1
		.amdhsa_shared_vgpr_count 0
		.amdhsa_exception_fp_ieee_invalid_op 0
		.amdhsa_exception_fp_denorm_src 0
		.amdhsa_exception_fp_ieee_div_zero 0
		.amdhsa_exception_fp_ieee_overflow 0
		.amdhsa_exception_fp_ieee_underflow 0
		.amdhsa_exception_fp_ieee_inexact 0
		.amdhsa_exception_int_div_zero 0
	.end_amdhsa_kernel
	.section	.text._ZN9rocsparseL18bsrxmvn_4x4_kernelILj128ELj32EillaaiEEvT3_20rocsparse_direction_NS_24const_host_device_scalarIT1_EES1_PKS1_PKT2_SA_S7_PKT4_PKT5_S5_PT6_21rocsparse_index_base_b,"axG",@progbits,_ZN9rocsparseL18bsrxmvn_4x4_kernelILj128ELj32EillaaiEEvT3_20rocsparse_direction_NS_24const_host_device_scalarIT1_EES1_PKS1_PKT2_SA_S7_PKT4_PKT5_S5_PT6_21rocsparse_index_base_b,comdat
.Lfunc_end73:
	.size	_ZN9rocsparseL18bsrxmvn_4x4_kernelILj128ELj32EillaaiEEvT3_20rocsparse_direction_NS_24const_host_device_scalarIT1_EES1_PKS1_PKT2_SA_S7_PKT4_PKT5_S5_PT6_21rocsparse_index_base_b, .Lfunc_end73-_ZN9rocsparseL18bsrxmvn_4x4_kernelILj128ELj32EillaaiEEvT3_20rocsparse_direction_NS_24const_host_device_scalarIT1_EES1_PKS1_PKT2_SA_S7_PKT4_PKT5_S5_PT6_21rocsparse_index_base_b
                                        ; -- End function
	.set _ZN9rocsparseL18bsrxmvn_4x4_kernelILj128ELj32EillaaiEEvT3_20rocsparse_direction_NS_24const_host_device_scalarIT1_EES1_PKS1_PKT2_SA_S7_PKT4_PKT5_S5_PT6_21rocsparse_index_base_b.num_vgpr, 59
	.set _ZN9rocsparseL18bsrxmvn_4x4_kernelILj128ELj32EillaaiEEvT3_20rocsparse_direction_NS_24const_host_device_scalarIT1_EES1_PKS1_PKT2_SA_S7_PKT4_PKT5_S5_PT6_21rocsparse_index_base_b.num_agpr, 0
	.set _ZN9rocsparseL18bsrxmvn_4x4_kernelILj128ELj32EillaaiEEvT3_20rocsparse_direction_NS_24const_host_device_scalarIT1_EES1_PKS1_PKT2_SA_S7_PKT4_PKT5_S5_PT6_21rocsparse_index_base_b.numbered_sgpr, 17
	.set _ZN9rocsparseL18bsrxmvn_4x4_kernelILj128ELj32EillaaiEEvT3_20rocsparse_direction_NS_24const_host_device_scalarIT1_EES1_PKS1_PKT2_SA_S7_PKT4_PKT5_S5_PT6_21rocsparse_index_base_b.num_named_barrier, 0
	.set _ZN9rocsparseL18bsrxmvn_4x4_kernelILj128ELj32EillaaiEEvT3_20rocsparse_direction_NS_24const_host_device_scalarIT1_EES1_PKS1_PKT2_SA_S7_PKT4_PKT5_S5_PT6_21rocsparse_index_base_b.private_seg_size, 0
	.set _ZN9rocsparseL18bsrxmvn_4x4_kernelILj128ELj32EillaaiEEvT3_20rocsparse_direction_NS_24const_host_device_scalarIT1_EES1_PKS1_PKT2_SA_S7_PKT4_PKT5_S5_PT6_21rocsparse_index_base_b.uses_vcc, 1
	.set _ZN9rocsparseL18bsrxmvn_4x4_kernelILj128ELj32EillaaiEEvT3_20rocsparse_direction_NS_24const_host_device_scalarIT1_EES1_PKS1_PKT2_SA_S7_PKT4_PKT5_S5_PT6_21rocsparse_index_base_b.uses_flat_scratch, 0
	.set _ZN9rocsparseL18bsrxmvn_4x4_kernelILj128ELj32EillaaiEEvT3_20rocsparse_direction_NS_24const_host_device_scalarIT1_EES1_PKS1_PKT2_SA_S7_PKT4_PKT5_S5_PT6_21rocsparse_index_base_b.has_dyn_sized_stack, 0
	.set _ZN9rocsparseL18bsrxmvn_4x4_kernelILj128ELj32EillaaiEEvT3_20rocsparse_direction_NS_24const_host_device_scalarIT1_EES1_PKS1_PKT2_SA_S7_PKT4_PKT5_S5_PT6_21rocsparse_index_base_b.has_recursion, 0
	.set _ZN9rocsparseL18bsrxmvn_4x4_kernelILj128ELj32EillaaiEEvT3_20rocsparse_direction_NS_24const_host_device_scalarIT1_EES1_PKS1_PKT2_SA_S7_PKT4_PKT5_S5_PT6_21rocsparse_index_base_b.has_indirect_call, 0
	.section	.AMDGPU.csdata,"",@progbits
; Kernel info:
; codeLenInByte = 4128
; TotalNumSgprs: 19
; NumVgprs: 59
; ScratchSize: 0
; MemoryBound: 0
; FloatMode: 240
; IeeeMode: 1
; LDSByteSize: 0 bytes/workgroup (compile time only)
; SGPRBlocks: 0
; VGPRBlocks: 7
; NumSGPRsForWavesPerEU: 19
; NumVGPRsForWavesPerEU: 59
; Occupancy: 16
; WaveLimiterHint : 1
; COMPUTE_PGM_RSRC2:SCRATCH_EN: 0
; COMPUTE_PGM_RSRC2:USER_SGPR: 6
; COMPUTE_PGM_RSRC2:TRAP_HANDLER: 0
; COMPUTE_PGM_RSRC2:TGID_X_EN: 1
; COMPUTE_PGM_RSRC2:TGID_Y_EN: 0
; COMPUTE_PGM_RSRC2:TGID_Z_EN: 0
; COMPUTE_PGM_RSRC2:TIDIG_COMP_CNT: 0
	.section	.text._ZN9rocsparseL18bsrxmvn_4x4_kernelILj128ELj64EillaaiEEvT3_20rocsparse_direction_NS_24const_host_device_scalarIT1_EES1_PKS1_PKT2_SA_S7_PKT4_PKT5_S5_PT6_21rocsparse_index_base_b,"axG",@progbits,_ZN9rocsparseL18bsrxmvn_4x4_kernelILj128ELj64EillaaiEEvT3_20rocsparse_direction_NS_24const_host_device_scalarIT1_EES1_PKS1_PKT2_SA_S7_PKT4_PKT5_S5_PT6_21rocsparse_index_base_b,comdat
	.globl	_ZN9rocsparseL18bsrxmvn_4x4_kernelILj128ELj64EillaaiEEvT3_20rocsparse_direction_NS_24const_host_device_scalarIT1_EES1_PKS1_PKT2_SA_S7_PKT4_PKT5_S5_PT6_21rocsparse_index_base_b ; -- Begin function _ZN9rocsparseL18bsrxmvn_4x4_kernelILj128ELj64EillaaiEEvT3_20rocsparse_direction_NS_24const_host_device_scalarIT1_EES1_PKS1_PKT2_SA_S7_PKT4_PKT5_S5_PT6_21rocsparse_index_base_b
	.p2align	8
	.type	_ZN9rocsparseL18bsrxmvn_4x4_kernelILj128ELj64EillaaiEEvT3_20rocsparse_direction_NS_24const_host_device_scalarIT1_EES1_PKS1_PKT2_SA_S7_PKT4_PKT5_S5_PT6_21rocsparse_index_base_b,@function
_ZN9rocsparseL18bsrxmvn_4x4_kernelILj128ELj64EillaaiEEvT3_20rocsparse_direction_NS_24const_host_device_scalarIT1_EES1_PKS1_PKT2_SA_S7_PKT4_PKT5_S5_PT6_21rocsparse_index_base_b: ; @_ZN9rocsparseL18bsrxmvn_4x4_kernelILj128ELj64EillaaiEEvT3_20rocsparse_direction_NS_24const_host_device_scalarIT1_EES1_PKS1_PKT2_SA_S7_PKT4_PKT5_S5_PT6_21rocsparse_index_base_b
; %bb.0:
	s_clause 0x1
	s_load_dwordx2 s[8:9], s[4:5], 0x60
	s_load_dwordx4 s[0:3], s[4:5], 0x10
	s_mov_b32 s12, -1
	s_waitcnt lgkmcnt(0)
	s_bitcmp1_b32 s9, 0
	s_cselect_b32 s7, -1, 0
	s_xor_b32 s9, s7, -1
                                        ; implicit-def: $sgpr7
	s_and_b32 vcc_lo, exec_lo, s9
	s_cbranch_vccnz .LBB74_4
; %bb.1:
	s_load_dwordx2 s[10:11], s[4:5], 0x50
	s_andn2_b32 vcc_lo, exec_lo, s12
	s_cbranch_vccz .LBB74_5
.LBB74_2:
	s_and_b32 vcc_lo, exec_lo, s9
	s_cbranch_vccz .LBB74_6
.LBB74_3:
	s_waitcnt lgkmcnt(0)
	s_load_dword s16, s[10:11], 0x0
	s_cbranch_execz .LBB74_7
	s_branch .LBB74_8
.LBB74_4:
	s_load_dword s7, s[0:1], 0x0
	s_load_dwordx2 s[10:11], s[4:5], 0x50
	s_cbranch_execnz .LBB74_2
.LBB74_5:
	s_waitcnt lgkmcnt(0)
	s_mov_b32 s7, s0
	s_and_b32 vcc_lo, exec_lo, s9
	s_cbranch_vccnz .LBB74_3
.LBB74_6:
                                        ; implicit-def: $sgpr16
.LBB74_7:
	s_waitcnt lgkmcnt(0)
	s_mov_b32 s16, s10
.LBB74_8:
	s_waitcnt lgkmcnt(0)
	s_cmp_lg_u32 s7, 0
	s_mov_b32 s10, 0
	s_cselect_b32 s0, -1, 0
	s_cmp_lg_u32 s16, 1
	s_cselect_b32 s1, -1, 0
	s_or_b32 s0, s0, s1
	s_andn2_b32 vcc_lo, exec_lo, s0
	s_cbranch_vccnz .LBB74_14
; %bb.9:
	s_load_dwordx2 s[0:1], s[4:5], 0x20
	v_lshrrev_b32_e32 v1, 6, v0
	v_mov_b32_e32 v2, 0
	v_lshl_or_b32 v1, s6, 1, v1
	s_waitcnt lgkmcnt(0)
	s_cmp_lg_u64 s[0:1], 0
	s_cbranch_scc0 .LBB74_15
; %bb.10:
	v_cmp_gt_i64_e32 vcc_lo, s[2:3], v[1:2]
	s_mov_b32 s2, 0
                                        ; implicit-def: $vgpr8_vgpr9
                                        ; implicit-def: $vgpr10_vgpr11
	s_and_saveexec_b32 s3, vcc_lo
	s_xor_b32 s3, exec_lo, s3
	s_cbranch_execz .LBB74_12
; %bb.11:
	v_lshlrev_b64 v[3:4], 3, v[1:2]
	s_mov_b32 s9, 0
	s_mov_b32 s10, exec_lo
	v_mov_b32_e32 v11, s9
	v_mov_b32_e32 v10, s8
	v_add_co_u32 v3, vcc_lo, s0, v3
	v_add_co_ci_u32_e64 v4, null, s1, v4, vcc_lo
	global_load_dwordx2 v[3:4], v[3:4], off
	s_waitcnt vmcnt(0)
	v_sub_co_u32 v8, vcc_lo, v3, s8
	v_subrev_co_ci_u32_e64 v9, null, 0, v4, vcc_lo
.LBB74_12:
	s_or_b32 exec_lo, exec_lo, s3
	s_and_b32 vcc_lo, exec_lo, s2
	s_cbranch_vccnz .LBB74_16
.LBB74_13:
	s_and_saveexec_b32 s0, s10
	s_cbranch_execnz .LBB74_19
.LBB74_14:
	s_endpgm
.LBB74_15:
                                        ; implicit-def: $vgpr8_vgpr9
                                        ; implicit-def: $vgpr10_vgpr11
	s_cbranch_execz .LBB74_13
.LBB74_16:
	s_load_dwordx2 s[0:1], s[4:5], 0x0
	s_waitcnt lgkmcnt(0)
	v_cmp_gt_i64_e32 vcc_lo, s[0:1], v[1:2]
	s_and_saveexec_b32 s0, vcc_lo
; %bb.17:
	s_mov_b32 s9, 0
	s_or_b32 s10, s10, exec_lo
; %bb.18:
	s_or_b32 exec_lo, exec_lo, s0
	v_mov_b32_e32 v11, s9
	v_mov_b32_e32 v9, v2
	;; [unrolled: 1-line block ×4, first 2 shown]
	s_and_saveexec_b32 s0, s10
	s_cbranch_execz .LBB74_14
.LBB74_19:
	s_load_dwordx8 s[8:15], s[4:5], 0x28
	v_lshlrev_b64 v[1:2], 3, v[8:9]
	v_and_b32_e32 v26, 63, v0
	s_clause 0x1
	s_load_dword s1, s[4:5], 0x8
	s_load_dwordx2 s[2:3], s[4:5], 0x48
	s_waitcnt lgkmcnt(0)
	v_add_co_u32 v3, vcc_lo, s8, v1
	v_add_co_ci_u32_e64 v4, null, s9, v2, vcc_lo
	v_add_co_u32 v1, vcc_lo, s10, v1
	v_add_co_ci_u32_e64 v2, null, s11, v2, vcc_lo
	v_add_co_u32 v5, vcc_lo, v3, 8
	global_load_dwordx2 v[16:17], v[3:4], off
	v_add_co_ci_u32_e64 v6, null, 0, v4, vcc_lo
	s_cmp_eq_u64 s[10:11], 0
	v_mov_b32_e32 v4, 0
	s_cselect_b32 vcc_lo, -1, 0
	s_cmp_eq_u32 s1, 1
	v_cndmask_b32_e32 v2, v2, v6, vcc_lo
	v_cndmask_b32_e32 v1, v1, v5, vcc_lo
	global_load_dwordx2 v[1:2], v[1:2], off
	s_waitcnt vmcnt(1)
	v_sub_co_u32 v0, vcc_lo, v16, v10
	v_sub_co_ci_u32_e64 v3, null, v17, v11, vcc_lo
	v_add_co_u32 v14, vcc_lo, v0, v26
	v_add_co_ci_u32_e64 v15, null, 0, v3, vcc_lo
	s_waitcnt vmcnt(0)
	v_sub_co_u32 v18, vcc_lo, v1, v10
	v_lshlrev_b64 v[0:1], 4, v[14:15]
	v_sub_co_ci_u32_e64 v19, null, v2, v11, vcc_lo
	v_add_co_u32 v12, vcc_lo, s14, v0
	v_cmp_lt_i64_e64 s0, v[14:15], v[18:19]
	v_add_co_ci_u32_e64 v13, null, s15, v1, vcc_lo
	s_cbranch_scc1 .LBB74_31
; %bb.20:
	v_mov_b32_e32 v2, 0
	v_mov_b32_e32 v1, 0
	;; [unrolled: 1-line block ×3, first 2 shown]
	s_and_saveexec_b32 s6, s0
	s_cbranch_execz .LBB74_30
; %bb.21:
	v_or_b32_e32 v0, 64, v26
	v_not_b32_e32 v3, v16
	v_sub_co_u32 v4, s1, v10, v26
	v_not_b32_e32 v2, v17
	v_sub_co_u32 v0, vcc_lo, v0, v10
	v_sub_co_ci_u32_e64 v1, null, 0, v11, vcc_lo
	v_subrev_co_ci_u32_e64 v5, null, 0, v11, s1
	v_add_co_u32 v0, vcc_lo, v0, v16
	v_add_co_ci_u32_e64 v1, null, v1, v17, vcc_lo
	v_mov_b32_e32 v21, v15
	v_mov_b32_e32 v20, v14
	s_mov_b32 s9, 0
	v_cmp_gt_i64_e32 vcc_lo, v[0:1], v[18:19]
	v_cndmask_b32_e32 v1, v19, v1, vcc_lo
	v_cndmask_b32_e32 v0, v18, v0, vcc_lo
	v_add_co_u32 v3, vcc_lo, v4, v3
	v_add_co_ci_u32_e64 v2, null, v5, v2, vcc_lo
	v_mov_b32_e32 v4, 0
	v_add_co_u32 v22, vcc_lo, v3, v0
	v_add_co_ci_u32_e64 v23, null, v2, v1, vcc_lo
	v_mov_b32_e32 v5, v4
	v_mov_b32_e32 v6, v4
	;; [unrolled: 1-line block ×3, first 2 shown]
	v_lshrrev_b64 v[24:25], 6, v[22:23]
	v_mov_b32_e32 v0, v4
	v_mov_b32_e32 v1, v5
	;; [unrolled: 1-line block ×4, first 2 shown]
	v_cmp_lt_u64_e32 vcc_lo, 0xbf, v[22:23]
	v_add_co_u32 v7, s1, v24, 1
	v_mov_b32_e32 v5, v12
	v_add_co_ci_u32_e64 v23, null, 0, v25, s1
	v_mov_b32_e32 v6, v13
	s_and_saveexec_b32 s8, vcc_lo
	s_cbranch_execz .LBB74_25
; %bb.22:
	v_lshlrev_b64 v[0:1], 3, v[14:15]
	v_mov_b32_e32 v5, v12
	v_mov_b32_e32 v21, v15
	v_and_b32_e32 v22, -4, v7
	v_mov_b32_e32 v2, 0
	v_mov_b32_e32 v6, v13
	v_add_co_u32 v0, vcc_lo, s12, v0
	v_add_co_ci_u32_e64 v3, null, s13, v1, vcc_lo
	v_mov_b32_e32 v1, 0
	v_add_co_u32 v24, vcc_lo, 0x400, v0
	v_add_co_ci_u32_e64 v25, null, 0, v3, vcc_lo
	v_mov_b32_e32 v0, 0
	v_mov_b32_e32 v20, v14
.LBB74_23:                              ; =>This Inner Loop Header: Depth=1
	s_clause 0x3
	global_load_dwordx2 v[39:40], v[24:25], off offset:-1024
	global_load_dwordx2 v[41:42], v[24:25], off offset:-512
	global_load_dwordx2 v[43:44], v[24:25], off
	global_load_dwordx2 v[45:46], v[24:25], off offset:512
	v_add_co_u32 v47, vcc_lo, 0x800, v5
	v_add_co_ci_u32_e64 v48, null, 0, v6, vcc_lo
	s_clause 0x2
	global_load_dwordx4 v[27:30], v[5:6], off
	global_load_dwordx4 v[31:34], v[5:6], off offset:1024
	global_load_dwordx4 v[35:38], v[47:48], off
	s_waitcnt vmcnt(6)
	v_sub_co_u32 v39, vcc_lo, v39, v10
	v_sub_co_ci_u32_e64 v40, null, v40, v11, vcc_lo
	s_waitcnt vmcnt(5)
	v_sub_co_u32 v41, vcc_lo, v41, v10
	v_sub_co_ci_u32_e64 v42, null, v42, v11, vcc_lo
	;; [unrolled: 3-line block ×3, first 2 shown]
	v_lshlrev_b64 v[39:40], 2, v[39:40]
	v_lshlrev_b64 v[41:42], 2, v[41:42]
	s_waitcnt vmcnt(3)
	v_sub_co_u32 v45, vcc_lo, v45, v10
	v_lshlrev_b64 v[43:44], 2, v[43:44]
	v_sub_co_ci_u32_e64 v46, null, v46, v11, vcc_lo
	v_add_co_u32 v39, s1, s2, v39
	v_add_co_ci_u32_e64 v40, null, s3, v40, s1
	v_add_co_u32 v41, s1, s2, v41
	v_add_co_ci_u32_e64 v42, null, s3, v42, s1
	;; [unrolled: 2-line block ×3, first 2 shown]
	s_clause 0x2
	global_load_dword v3, v[39:40], off
	global_load_dword v49, v[41:42], off
	;; [unrolled: 1-line block ×3, first 2 shown]
	v_lshlrev_b64 v[39:40], 2, v[45:46]
	s_waitcnt vmcnt(5)
	v_ashrrev_i32_e32 v45, 24, v30
	v_bfe_i32 v46, v30, 0, 8
	v_add_co_u32 v43, vcc_lo, s2, v39
	v_add_co_ci_u32_e64 v44, null, s3, v40, vcc_lo
	global_load_dwordx4 v[39:42], v[47:48], off offset:1024
	global_load_dword v43, v[43:44], off
	v_lshrrev_b16 v44, 8, v30
	s_waitcnt vmcnt(6)
	v_lshrrev_b16 v47, 8, v34
	v_bfe_i32 v30, v30, 16, 8
	s_waitcnt vmcnt(5)
	v_bfe_i32 v48, v38, 8, 8
	v_add_co_u32 v5, vcc_lo, 0x1000, v5
	v_add_co_ci_u32_e64 v6, null, 0, v6, vcc_lo
	v_add_co_u32 v20, vcc_lo, 0x100, v20
	v_add_co_ci_u32_e64 v21, null, 0, v21, vcc_lo
	v_add_co_u32 v22, vcc_lo, v22, -4
	v_add_co_ci_u32_e64 v23, null, -1, v23, vcc_lo
	v_add_co_u32 v24, vcc_lo, 0x800, v24
	v_add_co_ci_u32_e64 v25, null, 0, v25, vcc_lo
	v_cmp_eq_u64_e32 vcc_lo, 0, v[22:23]
	s_or_b32 s9, vcc_lo, s9
	s_waitcnt vmcnt(4)
	v_lshrrev_b16 v51, 8, v3
	v_ashrrev_i32_e32 v52, 24, v3
	v_bfe_i32 v53, v3, 0, 8
	v_bfe_i32 v54, v3, 16, 8
	v_dot4c_i32_i8 v0, v3, v27
	v_dot4c_i32_i8 v1, v3, v28
	;; [unrolled: 1-line block ×3, first 2 shown]
	s_waitcnt vmcnt(3)
	v_lshrrev_b16 v3, 8, v49
	v_mul_i32_i24_sdwa v28, sext(v34), sext(v49) dst_sel:DWORD dst_unused:UNUSED_PAD src0_sel:BYTE_3 src1_sel:BYTE_3
	v_mul_i32_i24_sdwa v27, sext(v34), sext(v49) dst_sel:DWORD dst_unused:UNUSED_PAD src0_sel:BYTE_0 src1_sel:BYTE_0
	v_mul_i32_i24_sdwa v29, sext(v34), sext(v49) dst_sel:DWORD dst_unused:UNUSED_PAD src0_sel:BYTE_2 src1_sel:BYTE_2
	v_mul_i32_i24_sdwa v44, sext(v44), sext(v51) dst_sel:DWORD dst_unused:UNUSED_PAD src0_sel:BYTE_0 src1_sel:BYTE_0
	v_mul_i32_i24_sdwa v3, sext(v47), sext(v3) dst_sel:DWORD dst_unused:UNUSED_PAD src0_sel:BYTE_0 src1_sel:BYTE_0
	v_mad_i32_i24 v28, v45, v52, v28
	s_waitcnt vmcnt(2)
	v_bfe_i32 v34, v50, 8, 8
	v_mul_i32_i24_sdwa v45, sext(v38), sext(v50) dst_sel:DWORD dst_unused:UNUSED_PAD src0_sel:BYTE_2 src1_sel:BYTE_2
	v_mad_i32_i24 v29, v30, v54, v29
	v_mad_i32_i24 v27, v46, v53, v27
	v_add3_u32 v3, v44, v3, v28
	v_mul_i32_i24_sdwa v28, sext(v50), sext(v38) dst_sel:DWORD dst_unused:UNUSED_PAD src0_sel:BYTE_0 src1_sel:BYTE_0
	v_mad_i32_i24 v34, v34, v48, v45
	v_mul_i32_i24_sdwa v30, sext(v38), sext(v50) dst_sel:DWORD dst_unused:UNUSED_PAD src0_sel:BYTE_3 src1_sel:BYTE_3
	v_dot4c_i32_i8 v0, v49, v31
	v_add3_u32 v3, v27, v29, v3
	v_dot4c_i32_i8 v2, v49, v33
	v_dot4c_i32_i8 v1, v49, v32
	;; [unrolled: 1-line block ×3, first 2 shown]
	v_add3_u32 v3, v3, v28, v34
	v_dot4c_i32_i8 v2, v37, v50
	v_dot4c_i32_i8 v1, v36, v50
	s_waitcnt vmcnt(0)
	v_dot4c_i32_i8 v0, v43, v39
	v_add3_u32 v4, v3, v4, v30
	v_dot4c_i32_i8 v2, v43, v41
	v_dot4c_i32_i8 v1, v43, v40
	;; [unrolled: 1-line block ×3, first 2 shown]
	s_andn2_b32 exec_lo, exec_lo, s9
	s_cbranch_execnz .LBB74_23
; %bb.24:
	s_or_b32 exec_lo, exec_lo, s9
	v_mov_b32_e32 v3, v4
.LBB74_25:
	s_or_b32 exec_lo, exec_lo, s8
	v_and_b32_e32 v22, 3, v7
	v_mov_b32_e32 v23, 0
	s_mov_b32 s1, exec_lo
	v_cmpx_ne_u64_e32 0, v[22:23]
	s_cbranch_execz .LBB74_29
; %bb.26:
	v_lshlrev_b64 v[20:21], 3, v[20:21]
	v_lshlrev_b32_e32 v22, 1, v22
	s_mov_b32 s8, 0
	v_add_co_u32 v20, vcc_lo, s12, v20
	v_add_co_ci_u32_e64 v21, null, s13, v21, vcc_lo
	s_inst_prefetch 0x1
	.p2align	6
.LBB74_27:                              ; =>This Inner Loop Header: Depth=1
	global_load_dwordx2 v[24:25], v[20:21], off
	s_waitcnt vmcnt(0)
	v_sub_co_u32 v24, vcc_lo, v24, v10
	v_sub_co_ci_u32_e64 v25, null, v25, v11, vcc_lo
	v_lshlrev_b64 v[24:25], 2, v[24:25]
	v_add_co_u32 v24, vcc_lo, s2, v24
	v_add_co_ci_u32_e64 v25, null, s3, v25, vcc_lo
	global_load_dwordx4 v[27:30], v[5:6], off
	global_load_dword v4, v[24:25], off
	v_add_co_u32 v5, vcc_lo, 0x400, v5
	v_add_co_ci_u32_e64 v6, null, 0, v6, vcc_lo
	v_add_co_u32 v22, vcc_lo, v22, -2
	v_add_co_ci_u32_e64 v23, null, -1, v23, vcc_lo
	v_add_co_u32 v20, vcc_lo, 0x200, v20
	v_add_co_ci_u32_e64 v21, null, 0, v21, vcc_lo
	v_cmp_eq_u64_e32 vcc_lo, 0, v[22:23]
	s_or_b32 s8, vcc_lo, s8
	s_waitcnt vmcnt(0)
	v_dot4c_i32_i8 v3, v4, v30
	v_dot4c_i32_i8 v2, v4, v29
	;; [unrolled: 1-line block ×4, first 2 shown]
	s_andn2_b32 exec_lo, exec_lo, s8
	s_cbranch_execnz .LBB74_27
; %bb.28:
	s_inst_prefetch 0x2
	s_or_b32 exec_lo, exec_lo, s8
	v_mov_b32_e32 v4, v3
.LBB74_29:
	s_or_b32 exec_lo, exec_lo, s1
.LBB74_30:
	s_or_b32 exec_lo, exec_lo, s6
	s_cbranch_execz .LBB74_32
	s_branch .LBB74_43
.LBB74_31:
                                        ; implicit-def: $vgpr4
                                        ; implicit-def: $vgpr2
.LBB74_32:
	v_mov_b32_e32 v4, 0
	v_mov_b32_e32 v2, 0
	v_mov_b32_e32 v1, 0
	v_mov_b32_e32 v0, 0
	s_and_saveexec_b32 s1, s0
	s_cbranch_execz .LBB74_42
; %bb.33:
	v_or_b32_e32 v0, 64, v26
	v_not_b32_e32 v3, v16
	v_sub_co_u32 v4, s0, v10, v26
	v_not_b32_e32 v2, v17
	v_sub_co_u32 v0, vcc_lo, v0, v10
	v_sub_co_ci_u32_e64 v1, null, 0, v11, vcc_lo
	v_subrev_co_ci_u32_e64 v5, null, 0, v11, s0
	v_add_co_u32 v0, vcc_lo, v0, v16
	v_add_co_ci_u32_e64 v1, null, v1, v17, vcc_lo
	s_mov_b32 s8, 0
	v_cmp_gt_i64_e32 vcc_lo, v[0:1], v[18:19]
	v_cndmask_b32_e32 v1, v19, v1, vcc_lo
	v_cndmask_b32_e32 v0, v18, v0, vcc_lo
	v_add_co_u32 v3, vcc_lo, v4, v3
	v_add_co_ci_u32_e64 v2, null, v5, v2, vcc_lo
	v_mov_b32_e32 v4, 0
	v_add_co_u32 v0, vcc_lo, v3, v0
	v_add_co_ci_u32_e64 v1, null, v2, v1, vcc_lo
	v_mov_b32_e32 v5, v4
	v_mov_b32_e32 v6, v4
	;; [unrolled: 1-line block ×3, first 2 shown]
	v_lshrrev_b64 v[2:3], 6, v[0:1]
	v_cmp_lt_u64_e32 vcc_lo, 0xbf, v[0:1]
	v_add_co_u32 v18, s0, v2, 1
	v_add_co_ci_u32_e64 v17, null, 0, v3, s0
	v_mov_b32_e32 v0, v4
	v_mov_b32_e32 v1, v5
	;; [unrolled: 1-line block ×4, first 2 shown]
	s_and_saveexec_b32 s6, vcc_lo
	s_cbranch_execz .LBB74_37
; %bb.34:
	v_lshlrev_b64 v[0:1], 3, v[14:15]
	v_and_b32_e32 v16, -4, v18
	v_mov_b32_e32 v2, 0
	v_add_co_u32 v0, vcc_lo, s12, v0
	v_add_co_ci_u32_e64 v3, null, s13, v1, vcc_lo
	v_mov_b32_e32 v1, 0
	v_add_co_u32 v5, vcc_lo, 0x400, v0
	v_add_co_ci_u32_e64 v6, null, 0, v3, vcc_lo
	v_mov_b32_e32 v0, 0
.LBB74_35:                              ; =>This Inner Loop Header: Depth=1
	s_clause 0x3
	global_load_dwordx2 v[23:24], v[5:6], off offset:-1024
	global_load_dwordx2 v[39:40], v[5:6], off offset:-512
	global_load_dwordx2 v[41:42], v[5:6], off
	global_load_dwordx2 v[43:44], v[5:6], off offset:512
	s_clause 0x1
	global_load_dwordx4 v[19:22], v[12:13], off
	global_load_dwordx4 v[27:30], v[12:13], off offset:1024
	v_add_co_u32 v35, vcc_lo, 0x800, v12
	v_add_co_ci_u32_e64 v36, null, 0, v13, vcc_lo
	s_clause 0x1
	global_load_dwordx4 v[31:34], v[35:36], off
	global_load_dwordx4 v[35:38], v[35:36], off offset:1024
	s_waitcnt vmcnt(7)
	v_sub_co_u32 v23, vcc_lo, v23, v10
	v_sub_co_ci_u32_e64 v24, null, v24, v11, vcc_lo
	s_waitcnt vmcnt(6)
	v_sub_co_u32 v39, vcc_lo, v39, v10
	v_sub_co_ci_u32_e64 v40, null, v40, v11, vcc_lo
	;; [unrolled: 3-line block ×3, first 2 shown]
	v_lshlrev_b64 v[23:24], 2, v[23:24]
	v_lshlrev_b64 v[39:40], 2, v[39:40]
	s_waitcnt vmcnt(4)
	v_sub_co_u32 v43, vcc_lo, v43, v10
	v_lshlrev_b64 v[41:42], 2, v[41:42]
	v_sub_co_ci_u32_e64 v44, null, v44, v11, vcc_lo
	v_add_co_u32 v23, s0, s2, v23
	v_add_co_ci_u32_e64 v24, null, s3, v24, s0
	v_add_co_u32 v39, s0, s2, v39
	v_add_co_ci_u32_e64 v40, null, s3, v40, s0
	;; [unrolled: 2-line block ×3, first 2 shown]
	s_clause 0x2
	global_load_dword v3, v[23:24], off
	global_load_dword v7, v[39:40], off
	;; [unrolled: 1-line block ×3, first 2 shown]
	v_lshlrev_b64 v[23:24], 2, v[43:44]
	s_waitcnt vmcnt(6)
	v_perm_b32 v39, v19, v19, 0xc0c0c00
	v_perm_b32 v40, v21, v20, 0xc05010c
	;; [unrolled: 1-line block ×5, first 2 shown]
	v_add_co_u32 v23, vcc_lo, s2, v23
	v_add_co_ci_u32_e64 v24, null, s3, v24, vcc_lo
	v_perm_b32 v19, v19, v19, 0xc0c0c03
	s_waitcnt vmcnt(5)
	v_perm_b32 v44, v29, v28, 0x4000c0c
	v_perm_b32 v45, v27, v22, 0xc0c0501
	global_load_dword v23, v[23:24], off
	v_perm_b32 v24, v21, v20, 0xc04000c
	v_perm_b32 v20, v21, v20, 0xc07030c
	;; [unrolled: 1-line block ×8, first 2 shown]
	v_or_b32_e32 v28, v40, v41
	v_or_b32_e32 v29, v42, v43
	;; [unrolled: 1-line block ×6, first 2 shown]
	s_waitcnt vmcnt(5)
	v_lshrrev_b32_e32 v27, 16, v34
	v_perm_b32 v40, v33, v32, 0x4000c0c
	v_perm_b32 v41, v31, v30, 0xc0c0400
	;; [unrolled: 1-line block ×8, first 2 shown]
	v_or_b32_e32 v24, v24, v39
	v_or_b32_e32 v39, v48, v47
	v_ashrrev_i16 v31, 8, v34
	v_bfe_i32 v33, v34, 0, 8
	v_or_b32_e32 v30, v32, v30
	v_ashrrev_i16 v32, 8, v27
	v_bfe_i32 v27, v27, 0, 8
	s_waitcnt vmcnt(4)
	v_perm_b32 v34, v36, v35, 0xc0c0501
	v_perm_b32 v46, v38, v37, 0x5010c0c
	;; [unrolled: 1-line block ×9, first 2 shown]
	v_or_b32_e32 v38, v42, v43
	v_or_b32_e32 v37, v40, v41
	;; [unrolled: 1-line block ×3, first 2 shown]
	v_perm_b32 v31, v31, v33, 0x5040100
	v_add_co_u32 v12, vcc_lo, 0x1000, v12
	v_add_co_ci_u32_e64 v13, null, 0, v13, vcc_lo
	v_add_co_u32 v14, vcc_lo, 0x100, v14
	v_add_co_ci_u32_e64 v15, null, 0, v15, vcc_lo
	v_add_co_u32 v16, vcc_lo, v16, -4
	v_add_co_ci_u32_e64 v17, null, -1, v17, vcc_lo
	v_add_co_u32 v5, vcc_lo, 0x800, v5
	v_or_b32_e32 v33, v46, v34
	v_or_b32_e32 v34, v48, v47
	;; [unrolled: 1-line block ×3, first 2 shown]
	v_add_co_ci_u32_e64 v6, null, 0, v6, vcc_lo
	v_cmp_eq_u64_e32 vcc_lo, 0, v[16:17]
	s_or_b32 s8, vcc_lo, s8
	s_waitcnt vmcnt(3)
	v_perm_b32 v32, v3, v3, 0xc020100
	s_waitcnt vmcnt(2)
	v_perm_b32 v3, v7, v3, 0x6050403
	s_waitcnt vmcnt(1)
	v_lshrrev_b32_e32 v42, 24, v25
	v_perm_b32 v7, v25, v7, 0x6050403
	v_dot4c_i32_i8 v0, v32, v24
	v_dot4c_i32_i8 v1, v28, v32
	;; [unrolled: 1-line block ×4, first 2 shown]
	v_bfe_i32 v19, v42, 0, 8
	v_dot4c_i32_i8 v0, v3, v20
	v_dot4c_i32_i8 v1, v21, v3
	;; [unrolled: 1-line block ×4, first 2 shown]
	v_pk_mul_lo_u16 v3, v19, v27 op_sel_hi:[0,1]
	v_pk_mul_lo_u16 v19, v19, v31 op_sel_hi:[0,1]
	v_dot4c_i32_i8 v1, v38, v7
	v_dot4c_i32_i8 v0, v7, v37
	;; [unrolled: 1-line block ×4, first 2 shown]
	v_or_b32_e32 v7, v36, v35
	v_add_nc_u32_sdwa v1, v1, sext(v19) dst_sel:DWORD dst_unused:UNUSED_PAD src0_sel:DWORD src1_sel:WORD_1
	v_add_nc_u32_sdwa v0, v0, sext(v19) dst_sel:DWORD dst_unused:UNUSED_PAD src0_sel:DWORD src1_sel:WORD_0
	v_add_nc_u32_sdwa v4, v4, sext(v3) dst_sel:DWORD dst_unused:UNUSED_PAD src0_sel:DWORD src1_sel:WORD_1
	v_add_nc_u32_sdwa v2, v2, sext(v3) dst_sel:DWORD dst_unused:UNUSED_PAD src0_sel:DWORD src1_sel:WORD_0
	s_waitcnt vmcnt(0)
	v_dot4c_i32_i8 v1, v23, v33
	v_dot4c_i32_i8 v0, v23, v34
	v_dot4c_i32_i8 v4, v23, v41
	v_dot4c_i32_i8 v2, v23, v7
	s_andn2_b32 exec_lo, exec_lo, s8
	s_cbranch_execnz .LBB74_35
; %bb.36:
	s_or_b32 exec_lo, exec_lo, s8
	v_mov_b32_e32 v3, v4
.LBB74_37:
	s_or_b32 exec_lo, exec_lo, s6
	v_and_b32_e32 v5, 3, v18
	v_mov_b32_e32 v6, 0
	s_mov_b32 s0, exec_lo
	v_cmpx_ne_u64_e32 0, v[5:6]
	s_cbranch_execz .LBB74_41
; %bb.38:
	v_lshlrev_b64 v[14:15], 3, v[14:15]
	v_lshlrev_b32_e32 v5, 1, v5
	s_mov_b32 s6, 0
	v_add_co_u32 v14, vcc_lo, s12, v14
	v_add_co_ci_u32_e64 v15, null, s13, v15, vcc_lo
.LBB74_39:                              ; =>This Inner Loop Header: Depth=1
	global_load_dwordx2 v[20:21], v[14:15], off
	global_load_dwordx4 v[16:19], v[12:13], off
	s_waitcnt vmcnt(1)
	v_sub_co_u32 v20, vcc_lo, v20, v10
	v_sub_co_ci_u32_e64 v21, null, v21, v11, vcc_lo
	s_waitcnt vmcnt(0)
	v_perm_b32 v7, v17, v16, 0xc0c0703
	v_perm_b32 v22, v19, v18, 0x6020c0c
	;; [unrolled: 1-line block ×3, first 2 shown]
	v_lshlrev_b64 v[20:21], 2, v[20:21]
	v_perm_b32 v24, v19, v18, 0x5010c0c
	v_add_co_u32 v20, vcc_lo, s2, v20
	v_add_co_ci_u32_e64 v21, null, s3, v21, vcc_lo
	v_add_co_u32 v12, vcc_lo, 0x400, v12
	v_add_co_ci_u32_e64 v13, null, 0, v13, vcc_lo
	global_load_dword v4, v[20:21], off
	v_add_co_u32 v14, vcc_lo, 0x200, v14
	v_add_co_ci_u32_e64 v15, null, 0, v15, vcc_lo
	v_add_co_u32 v5, vcc_lo, v5, -2
	v_perm_b32 v20, v19, v18, 0x7030c0c
	v_perm_b32 v21, v17, v16, 0xc0c0602
	;; [unrolled: 1-line block ×4, first 2 shown]
	v_add_co_ci_u32_e64 v6, null, -1, v6, vcc_lo
	v_or_b32_e32 v7, v20, v7
	v_or_b32_e32 v18, v22, v21
	v_or_b32_e32 v19, v24, v23
	v_or_b32_e32 v16, v17, v16
	v_cmp_eq_u64_e32 vcc_lo, 0, v[5:6]
	s_or_b32 s6, vcc_lo, s6
	s_waitcnt vmcnt(0)
	v_dot4c_i32_i8 v3, v4, v7
	v_dot4c_i32_i8 v2, v4, v18
	;; [unrolled: 1-line block ×4, first 2 shown]
	s_andn2_b32 exec_lo, exec_lo, s6
	s_cbranch_execnz .LBB74_39
; %bb.40:
	s_or_b32 exec_lo, exec_lo, s6
	v_mov_b32_e32 v4, v3
.LBB74_41:
	s_or_b32 exec_lo, exec_lo, s0
.LBB74_42:
	s_or_b32 exec_lo, exec_lo, s1
.LBB74_43:
	v_mbcnt_lo_u32_b32 v3, -1, 0
	s_mov_b32 s2, -1
	v_or_b32_e32 v5, 32, v3
	v_xor_b32_e32 v11, 16, v3
	v_cmp_gt_i32_e32 vcc_lo, 32, v5
	v_cndmask_b32_e32 v5, v3, v5, vcc_lo
	v_cmp_gt_i32_e32 vcc_lo, 32, v11
	v_lshlrev_b32_e32 v5, 2, v5
	v_cndmask_b32_e32 v11, v3, v11, vcc_lo
	ds_bpermute_b32 v6, v5, v0
	ds_bpermute_b32 v7, v5, v1
	;; [unrolled: 1-line block ×4, first 2 shown]
	v_lshlrev_b32_e32 v11, 2, v11
	s_waitcnt lgkmcnt(3)
	v_add_nc_u32_e32 v0, v6, v0
	s_waitcnt lgkmcnt(2)
	v_add_nc_u32_e32 v1, v7, v1
	s_waitcnt lgkmcnt(1)
	v_add_nc_u32_e32 v2, v10, v2
	s_waitcnt lgkmcnt(0)
	v_add_nc_u32_e32 v4, v5, v4
	ds_bpermute_b32 v5, v11, v0
	ds_bpermute_b32 v6, v11, v1
	ds_bpermute_b32 v7, v11, v2
	ds_bpermute_b32 v10, v11, v4
	v_xor_b32_e32 v11, 8, v3
	v_cmp_gt_i32_e32 vcc_lo, 32, v11
	v_cndmask_b32_e32 v11, v3, v11, vcc_lo
	v_lshlrev_b32_e32 v11, 2, v11
	s_waitcnt lgkmcnt(3)
	v_add_nc_u32_e32 v0, v5, v0
	s_waitcnt lgkmcnt(2)
	v_add_nc_u32_e32 v1, v6, v1
	s_waitcnt lgkmcnt(1)
	v_add_nc_u32_e32 v2, v7, v2
	s_waitcnt lgkmcnt(0)
	v_add_nc_u32_e32 v4, v10, v4
	ds_bpermute_b32 v5, v11, v0
	ds_bpermute_b32 v6, v11, v1
	ds_bpermute_b32 v7, v11, v2
	ds_bpermute_b32 v10, v11, v4
	v_xor_b32_e32 v11, 4, v3
	v_cmp_gt_i32_e32 vcc_lo, 32, v11
	v_cndmask_b32_e32 v11, v3, v11, vcc_lo
	;; [unrolled: 16-line block ×4, first 2 shown]
	v_cmp_eq_u32_e32 vcc_lo, 63, v26
	v_lshlrev_b32_e32 v11, 2, v3
	s_waitcnt lgkmcnt(3)
	v_add_nc_u32_e32 v0, v5, v0
	s_waitcnt lgkmcnt(2)
	v_add_nc_u32_e32 v1, v6, v1
	;; [unrolled: 2-line block ×4, first 2 shown]
	ds_bpermute_b32 v4, v11, v0
	ds_bpermute_b32 v5, v11, v1
	;; [unrolled: 1-line block ×4, first 2 shown]
	s_and_b32 exec_lo, exec_lo, vcc_lo
	s_cbranch_execz .LBB74_14
; %bb.44:
	s_load_dwordx2 s[0:1], s[4:5], 0x58
	s_waitcnt lgkmcnt(0)
	v_add_nc_u32_e32 v0, v4, v0
	v_add_nc_u32_e32 v1, v5, v1
	;; [unrolled: 1-line block ×4, first 2 shown]
	v_lshlrev_b64 v[4:5], 4, v[8:9]
	v_mul_lo_u32 v0, v0, s7
	v_mul_lo_u32 v1, v1, s7
	;; [unrolled: 1-line block ×4, first 2 shown]
	s_cmp_eq_u32 s16, 0
	s_cbranch_scc1 .LBB74_46
; %bb.45:
	v_add_co_u32 v13, vcc_lo, s0, v4
	v_add_co_ci_u32_e64 v14, null, s1, v5, vcc_lo
	s_mov_b32 s2, 0
	global_load_dwordx4 v[6:9], v[13:14], off
	s_waitcnt vmcnt(0)
	v_mad_u64_u32 v[15:16], null, v9, s16, v[3:4]
	v_mad_u64_u32 v[9:10], null, v6, s16, v[0:1]
	;; [unrolled: 1-line block ×4, first 2 shown]
	v_mov_b32_e32 v12, v15
	global_store_dwordx4 v[13:14], v[9:12], off
.LBB74_46:
	s_andn2_b32 vcc_lo, exec_lo, s2
	s_cbranch_vccnz .LBB74_14
; %bb.47:
	v_add_co_u32 v4, vcc_lo, s0, v4
	v_add_co_ci_u32_e64 v5, null, s1, v5, vcc_lo
	global_store_dwordx4 v[4:5], v[0:3], off
	s_endpgm
	.section	.rodata,"a",@progbits
	.p2align	6, 0x0
	.amdhsa_kernel _ZN9rocsparseL18bsrxmvn_4x4_kernelILj128ELj64EillaaiEEvT3_20rocsparse_direction_NS_24const_host_device_scalarIT1_EES1_PKS1_PKT2_SA_S7_PKT4_PKT5_S5_PT6_21rocsparse_index_base_b
		.amdhsa_group_segment_fixed_size 0
		.amdhsa_private_segment_fixed_size 0
		.amdhsa_kernarg_size 104
		.amdhsa_user_sgpr_count 6
		.amdhsa_user_sgpr_private_segment_buffer 1
		.amdhsa_user_sgpr_dispatch_ptr 0
		.amdhsa_user_sgpr_queue_ptr 0
		.amdhsa_user_sgpr_kernarg_segment_ptr 1
		.amdhsa_user_sgpr_dispatch_id 0
		.amdhsa_user_sgpr_flat_scratch_init 0
		.amdhsa_user_sgpr_private_segment_size 0
		.amdhsa_wavefront_size32 1
		.amdhsa_uses_dynamic_stack 0
		.amdhsa_system_sgpr_private_segment_wavefront_offset 0
		.amdhsa_system_sgpr_workgroup_id_x 1
		.amdhsa_system_sgpr_workgroup_id_y 0
		.amdhsa_system_sgpr_workgroup_id_z 0
		.amdhsa_system_sgpr_workgroup_info 0
		.amdhsa_system_vgpr_workitem_id 0
		.amdhsa_next_free_vgpr 55
		.amdhsa_next_free_sgpr 17
		.amdhsa_reserve_vcc 1
		.amdhsa_reserve_flat_scratch 0
		.amdhsa_float_round_mode_32 0
		.amdhsa_float_round_mode_16_64 0
		.amdhsa_float_denorm_mode_32 3
		.amdhsa_float_denorm_mode_16_64 3
		.amdhsa_dx10_clamp 1
		.amdhsa_ieee_mode 1
		.amdhsa_fp16_overflow 0
		.amdhsa_workgroup_processor_mode 1
		.amdhsa_memory_ordered 1
		.amdhsa_forward_progress 1
		.amdhsa_shared_vgpr_count 0
		.amdhsa_exception_fp_ieee_invalid_op 0
		.amdhsa_exception_fp_denorm_src 0
		.amdhsa_exception_fp_ieee_div_zero 0
		.amdhsa_exception_fp_ieee_overflow 0
		.amdhsa_exception_fp_ieee_underflow 0
		.amdhsa_exception_fp_ieee_inexact 0
		.amdhsa_exception_int_div_zero 0
	.end_amdhsa_kernel
	.section	.text._ZN9rocsparseL18bsrxmvn_4x4_kernelILj128ELj64EillaaiEEvT3_20rocsparse_direction_NS_24const_host_device_scalarIT1_EES1_PKS1_PKT2_SA_S7_PKT4_PKT5_S5_PT6_21rocsparse_index_base_b,"axG",@progbits,_ZN9rocsparseL18bsrxmvn_4x4_kernelILj128ELj64EillaaiEEvT3_20rocsparse_direction_NS_24const_host_device_scalarIT1_EES1_PKS1_PKT2_SA_S7_PKT4_PKT5_S5_PT6_21rocsparse_index_base_b,comdat
.Lfunc_end74:
	.size	_ZN9rocsparseL18bsrxmvn_4x4_kernelILj128ELj64EillaaiEEvT3_20rocsparse_direction_NS_24const_host_device_scalarIT1_EES1_PKS1_PKT2_SA_S7_PKT4_PKT5_S5_PT6_21rocsparse_index_base_b, .Lfunc_end74-_ZN9rocsparseL18bsrxmvn_4x4_kernelILj128ELj64EillaaiEEvT3_20rocsparse_direction_NS_24const_host_device_scalarIT1_EES1_PKS1_PKT2_SA_S7_PKT4_PKT5_S5_PT6_21rocsparse_index_base_b
                                        ; -- End function
	.set _ZN9rocsparseL18bsrxmvn_4x4_kernelILj128ELj64EillaaiEEvT3_20rocsparse_direction_NS_24const_host_device_scalarIT1_EES1_PKS1_PKT2_SA_S7_PKT4_PKT5_S5_PT6_21rocsparse_index_base_b.num_vgpr, 55
	.set _ZN9rocsparseL18bsrxmvn_4x4_kernelILj128ELj64EillaaiEEvT3_20rocsparse_direction_NS_24const_host_device_scalarIT1_EES1_PKS1_PKT2_SA_S7_PKT4_PKT5_S5_PT6_21rocsparse_index_base_b.num_agpr, 0
	.set _ZN9rocsparseL18bsrxmvn_4x4_kernelILj128ELj64EillaaiEEvT3_20rocsparse_direction_NS_24const_host_device_scalarIT1_EES1_PKS1_PKT2_SA_S7_PKT4_PKT5_S5_PT6_21rocsparse_index_base_b.numbered_sgpr, 17
	.set _ZN9rocsparseL18bsrxmvn_4x4_kernelILj128ELj64EillaaiEEvT3_20rocsparse_direction_NS_24const_host_device_scalarIT1_EES1_PKS1_PKT2_SA_S7_PKT4_PKT5_S5_PT6_21rocsparse_index_base_b.num_named_barrier, 0
	.set _ZN9rocsparseL18bsrxmvn_4x4_kernelILj128ELj64EillaaiEEvT3_20rocsparse_direction_NS_24const_host_device_scalarIT1_EES1_PKS1_PKT2_SA_S7_PKT4_PKT5_S5_PT6_21rocsparse_index_base_b.private_seg_size, 0
	.set _ZN9rocsparseL18bsrxmvn_4x4_kernelILj128ELj64EillaaiEEvT3_20rocsparse_direction_NS_24const_host_device_scalarIT1_EES1_PKS1_PKT2_SA_S7_PKT4_PKT5_S5_PT6_21rocsparse_index_base_b.uses_vcc, 1
	.set _ZN9rocsparseL18bsrxmvn_4x4_kernelILj128ELj64EillaaiEEvT3_20rocsparse_direction_NS_24const_host_device_scalarIT1_EES1_PKS1_PKT2_SA_S7_PKT4_PKT5_S5_PT6_21rocsparse_index_base_b.uses_flat_scratch, 0
	.set _ZN9rocsparseL18bsrxmvn_4x4_kernelILj128ELj64EillaaiEEvT3_20rocsparse_direction_NS_24const_host_device_scalarIT1_EES1_PKS1_PKT2_SA_S7_PKT4_PKT5_S5_PT6_21rocsparse_index_base_b.has_dyn_sized_stack, 0
	.set _ZN9rocsparseL18bsrxmvn_4x4_kernelILj128ELj64EillaaiEEvT3_20rocsparse_direction_NS_24const_host_device_scalarIT1_EES1_PKS1_PKT2_SA_S7_PKT4_PKT5_S5_PT6_21rocsparse_index_base_b.has_recursion, 0
	.set _ZN9rocsparseL18bsrxmvn_4x4_kernelILj128ELj64EillaaiEEvT3_20rocsparse_direction_NS_24const_host_device_scalarIT1_EES1_PKS1_PKT2_SA_S7_PKT4_PKT5_S5_PT6_21rocsparse_index_base_b.has_indirect_call, 0
	.section	.AMDGPU.csdata,"",@progbits
; Kernel info:
; codeLenInByte = 4232
; TotalNumSgprs: 19
; NumVgprs: 55
; ScratchSize: 0
; MemoryBound: 0
; FloatMode: 240
; IeeeMode: 1
; LDSByteSize: 0 bytes/workgroup (compile time only)
; SGPRBlocks: 0
; VGPRBlocks: 6
; NumSGPRsForWavesPerEU: 19
; NumVGPRsForWavesPerEU: 55
; Occupancy: 16
; WaveLimiterHint : 1
; COMPUTE_PGM_RSRC2:SCRATCH_EN: 0
; COMPUTE_PGM_RSRC2:USER_SGPR: 6
; COMPUTE_PGM_RSRC2:TRAP_HANDLER: 0
; COMPUTE_PGM_RSRC2:TGID_X_EN: 1
; COMPUTE_PGM_RSRC2:TGID_Y_EN: 0
; COMPUTE_PGM_RSRC2:TGID_Z_EN: 0
; COMPUTE_PGM_RSRC2:TIDIG_COMP_CNT: 0
	.section	.text._ZN9rocsparseL18bsrxmvn_4x4_kernelILj128ELj4EfiiaafEEvT3_20rocsparse_direction_NS_24const_host_device_scalarIT1_EES1_PKS1_PKT2_SA_S7_PKT4_PKT5_S5_PT6_21rocsparse_index_base_b,"axG",@progbits,_ZN9rocsparseL18bsrxmvn_4x4_kernelILj128ELj4EfiiaafEEvT3_20rocsparse_direction_NS_24const_host_device_scalarIT1_EES1_PKS1_PKT2_SA_S7_PKT4_PKT5_S5_PT6_21rocsparse_index_base_b,comdat
	.globl	_ZN9rocsparseL18bsrxmvn_4x4_kernelILj128ELj4EfiiaafEEvT3_20rocsparse_direction_NS_24const_host_device_scalarIT1_EES1_PKS1_PKT2_SA_S7_PKT4_PKT5_S5_PT6_21rocsparse_index_base_b ; -- Begin function _ZN9rocsparseL18bsrxmvn_4x4_kernelILj128ELj4EfiiaafEEvT3_20rocsparse_direction_NS_24const_host_device_scalarIT1_EES1_PKS1_PKT2_SA_S7_PKT4_PKT5_S5_PT6_21rocsparse_index_base_b
	.p2align	8
	.type	_ZN9rocsparseL18bsrxmvn_4x4_kernelILj128ELj4EfiiaafEEvT3_20rocsparse_direction_NS_24const_host_device_scalarIT1_EES1_PKS1_PKT2_SA_S7_PKT4_PKT5_S5_PT6_21rocsparse_index_base_b,@function
_ZN9rocsparseL18bsrxmvn_4x4_kernelILj128ELj4EfiiaafEEvT3_20rocsparse_direction_NS_24const_host_device_scalarIT1_EES1_PKS1_PKT2_SA_S7_PKT4_PKT5_S5_PT6_21rocsparse_index_base_b: ; @_ZN9rocsparseL18bsrxmvn_4x4_kernelILj128ELj4EfiiaafEEvT3_20rocsparse_direction_NS_24const_host_device_scalarIT1_EES1_PKS1_PKT2_SA_S7_PKT4_PKT5_S5_PT6_21rocsparse_index_base_b
; %bb.0:
	s_clause 0x2
	s_load_dwordx2 s[18:19], s[4:5], 0x58
	s_load_dwordx2 s[16:17], s[4:5], 0x8
	;; [unrolled: 1-line block ×3, first 2 shown]
	s_waitcnt lgkmcnt(0)
	s_bitcmp1_b32 s19, 0
	s_cselect_b32 s0, -1, 0
	s_and_b32 vcc_lo, exec_lo, s0
	s_xor_b32 s0, s0, -1
	s_cbranch_vccnz .LBB75_2
; %bb.1:
	s_load_dword s16, s[16:17], 0x0
.LBB75_2:
	s_andn2_b32 vcc_lo, exec_lo, s0
	s_cbranch_vccnz .LBB75_4
; %bb.3:
	s_load_dword s2, s[2:3], 0x0
.LBB75_4:
	s_waitcnt lgkmcnt(0)
	v_cmp_neq_f32_e64 s0, s16, 0
	v_cmp_neq_f32_e64 s1, s2, 1.0
	s_mov_b32 s3, 0
	s_or_b32 s0, s0, s1
	s_andn2_b32 vcc_lo, exec_lo, s0
	s_cbranch_vccnz .LBB75_10
; %bb.5:
	s_clause 0x1
	s_load_dwordx2 s[8:9], s[4:5], 0x18
	s_load_dwordx2 s[0:1], s[4:5], 0x0
	v_lshrrev_b32_e32 v1, 2, v0
	v_lshl_or_b32 v4, s6, 5, v1
	s_waitcnt lgkmcnt(0)
	s_cmp_lg_u64 s[8:9], 0
	s_cbranch_scc0 .LBB75_11
; %bb.6:
	s_load_dword s3, s[4:5], 0x10
	s_mov_b32 s6, 0
                                        ; implicit-def: $vgpr1
	s_waitcnt lgkmcnt(0)
	v_cmp_gt_i32_e32 vcc_lo, s3, v4
	s_mov_b32 s3, 0
	s_and_saveexec_b32 s7, vcc_lo
	s_xor_b32 s7, exec_lo, s7
	s_cbranch_execz .LBB75_8
; %bb.7:
	v_ashrrev_i32_e32 v5, 31, v4
	s_mov_b32 s3, exec_lo
	v_lshlrev_b64 v[1:2], 2, v[4:5]
	v_add_co_u32 v1, vcc_lo, s8, v1
	v_add_co_ci_u32_e64 v2, null, s9, v2, vcc_lo
	global_load_dword v1, v[1:2], off
	s_waitcnt vmcnt(0)
	v_subrev_nc_u32_e32 v1, s18, v1
.LBB75_8:
	s_or_b32 exec_lo, exec_lo, s7
	s_and_b32 vcc_lo, exec_lo, s6
	s_cbranch_vccz .LBB75_12
.LBB75_9:
	v_cmp_gt_i32_e32 vcc_lo, s0, v4
	s_andn2_b32 s0, s3, exec_lo
	s_and_b32 s3, vcc_lo, exec_lo
	s_or_b32 s3, s0, s3
	s_and_saveexec_b32 s0, s3
	s_cbranch_execnz .LBB75_13
.LBB75_10:
	s_endpgm
.LBB75_11:
                                        ; implicit-def: $vgpr1
	s_cbranch_execnz .LBB75_9
.LBB75_12:
	v_mov_b32_e32 v4, v1
	s_and_saveexec_b32 s0, s3
	s_cbranch_execz .LBB75_10
.LBB75_13:
	s_load_dwordx8 s[8:15], s[4:5], 0x20
	v_ashrrev_i32_e32 v5, 31, v4
	v_and_b32_e32 v9, 3, v0
	s_load_dwordx2 s[6:7], s[4:5], 0x40
	v_lshlrev_b64 v[1:2], 2, v[4:5]
	s_waitcnt lgkmcnt(0)
	v_add_co_u32 v5, vcc_lo, s8, v1
	v_add_co_ci_u32_e64 v6, null, s9, v2, vcc_lo
	v_add_co_u32 v1, vcc_lo, s10, v1
	v_add_co_ci_u32_e64 v2, null, s11, v2, vcc_lo
	global_load_dword v15, v[5:6], off
	v_add_co_u32 v3, vcc_lo, v5, 4
	v_add_co_ci_u32_e64 v5, null, 0, v6, vcc_lo
	s_cmp_eq_u64 s[10:11], 0
	s_cselect_b32 vcc_lo, -1, 0
	s_cmp_eq_u32 s1, 1
	v_cndmask_b32_e32 v2, v2, v5, vcc_lo
	v_cndmask_b32_e32 v1, v1, v3, vcc_lo
	global_load_dword v5, v[1:2], off
	s_waitcnt vmcnt(1)
	v_subrev_nc_u32_e32 v0, s18, v15
	v_add_nc_u32_e32 v0, v0, v9
	v_ashrrev_i32_e32 v1, 31, v0
	s_waitcnt vmcnt(0)
	v_subrev_nc_u32_e32 v10, s18, v5
	v_lshlrev_b64 v[2:3], 4, v[0:1]
	v_cmp_lt_i32_e64 s0, v0, v10
	v_add_co_u32 v2, vcc_lo, s14, v2
	v_add_co_ci_u32_e64 v3, null, s15, v3, vcc_lo
	s_cbranch_scc1 .LBB75_25
; %bb.14:
	v_mov_b32_e32 v11, 0
	v_mov_b32_e32 v13, 0
	;; [unrolled: 1-line block ×4, first 2 shown]
	s_and_saveexec_b32 s1, s0
	s_cbranch_execz .LBB75_24
; %bb.15:
	v_add_nc_u32_e32 v1, v15, v9
	v_not_b32_e32 v5, v15
	v_mov_b32_e32 v8, v3
	v_mov_b32_e32 v12, 0
	;; [unrolled: 1-line block ×3, first 2 shown]
	v_subrev_nc_u32_e32 v1, s18, v1
	v_mov_b32_e32 v13, 0
	v_mov_b32_e32 v11, 0
	;; [unrolled: 1-line block ×3, first 2 shown]
	s_mov_b32 s3, exec_lo
	v_add_nc_u32_e32 v1, 4, v1
	v_max_i32_e32 v1, v1, v10
	v_add3_u32 v1, s18, v1, v5
	v_mov_b32_e32 v5, v0
	v_sub_nc_u32_e32 v1, v1, v9
	v_and_b32_e32 v6, 12, v1
	v_cmpx_ne_u32_e32 12, v6
	s_cbranch_execz .LBB75_19
; %bb.16:
	v_lshrrev_b32_e32 v5, 2, v1
	v_mov_b32_e32 v8, v3
	v_mov_b32_e32 v11, 0
	;; [unrolled: 1-line block ×4, first 2 shown]
	v_add_nc_u32_e32 v5, 1, v5
	v_mov_b32_e32 v14, 0
	v_mov_b32_e32 v12, 0
	s_mov_b32 s8, 0
	v_and_b32_e32 v6, 3, v5
	v_mov_b32_e32 v5, v0
	v_sub_nc_u32_e32 v16, 0, v6
.LBB75_17:                              ; =>This Inner Loop Header: Depth=1
	v_ashrrev_i32_e32 v6, 31, v5
	v_add_co_u32 v16, s9, v16, 1
	s_or_b32 s8, s9, s8
	v_lshlrev_b64 v[17:18], 2, v[5:6]
	v_add_nc_u32_e32 v5, 4, v5
	v_add_co_u32 v17, vcc_lo, s12, v17
	v_add_co_ci_u32_e64 v18, null, s13, v18, vcc_lo
	global_load_dword v6, v[17:18], off
	s_waitcnt vmcnt(0)
	v_subrev_nc_u32_e32 v6, s18, v6
	v_lshlrev_b32_e32 v6, 2, v6
	v_ashrrev_i32_e32 v17, 31, v6
	v_add_co_u32 v21, vcc_lo, s6, v6
	v_add_co_ci_u32_e64 v22, null, s7, v17, vcc_lo
	global_load_dwordx4 v[17:20], v[7:8], off
	global_load_dword v6, v[21:22], off
	v_add_co_u32 v7, vcc_lo, v7, 64
	v_add_co_ci_u32_e64 v8, null, 0, v8, vcc_lo
	s_waitcnt vmcnt(1)
	v_cvt_f32_i32_sdwa v21, sext(v17) dst_sel:DWORD dst_unused:UNUSED_PAD src0_sel:BYTE_0
	v_cvt_f32_i32_sdwa v24, sext(v18) dst_sel:DWORD dst_unused:UNUSED_PAD src0_sel:BYTE_0
	;; [unrolled: 1-line block ×4, first 2 shown]
	s_waitcnt vmcnt(0)
	v_cvt_f32_i32_sdwa v33, sext(v6) dst_sel:DWORD dst_unused:UNUSED_PAD src0_sel:BYTE_0
	v_cvt_f32_i32_sdwa v22, sext(v17) dst_sel:DWORD dst_unused:UNUSED_PAD src0_sel:BYTE_1
	v_cvt_f32_i32_sdwa v25, sext(v18) dst_sel:DWORD dst_unused:UNUSED_PAD src0_sel:BYTE_1
	;; [unrolled: 1-line block ×5, first 2 shown]
	v_fmac_f32_e32 v12, v21, v33
	v_fmac_f32_e32 v14, v24, v33
	;; [unrolled: 1-line block ×4, first 2 shown]
	v_cvt_f32_i32_sdwa v23, sext(v17) dst_sel:DWORD dst_unused:UNUSED_PAD src0_sel:BYTE_2
	v_cvt_f32_i32_sdwa v26, sext(v18) dst_sel:DWORD dst_unused:UNUSED_PAD src0_sel:BYTE_2
	;; [unrolled: 1-line block ×5, first 2 shown]
	v_fmac_f32_e32 v12, v22, v34
	v_fmac_f32_e32 v14, v25, v34
	v_fmac_f32_e32 v13, v28, v34
	v_fmac_f32_e32 v11, v31, v34
	v_cvt_f32_i32_sdwa v17, sext(v17) dst_sel:DWORD dst_unused:UNUSED_PAD src0_sel:BYTE_3
	v_cvt_f32_i32_sdwa v18, sext(v18) dst_sel:DWORD dst_unused:UNUSED_PAD src0_sel:BYTE_3
	;; [unrolled: 1-line block ×5, first 2 shown]
	v_fmac_f32_e32 v12, v23, v21
	v_fmac_f32_e32 v14, v26, v21
	;; [unrolled: 1-line block ×8, first 2 shown]
	s_andn2_b32 exec_lo, exec_lo, s8
	s_cbranch_execnz .LBB75_17
; %bb.18:
	s_or_b32 exec_lo, exec_lo, s8
.LBB75_19:
	s_or_b32 exec_lo, exec_lo, s3
	s_mov_b32 s3, exec_lo
	v_cmpx_lt_u32_e32 11, v1
	s_cbranch_execz .LBB75_23
; %bb.20:
	s_mov_b32 s8, 0
.LBB75_21:                              ; =>This Inner Loop Header: Depth=1
	v_ashrrev_i32_e32 v6, 31, v5
	v_lshlrev_b64 v[16:17], 2, v[5:6]
	v_add_nc_u32_e32 v5, 16, v5
	v_add_co_u32 v16, vcc_lo, s12, v16
	v_add_co_ci_u32_e64 v17, null, s13, v17, vcc_lo
	s_clause 0x3
	global_load_dword v1, v[16:17], off
	global_load_dword v6, v[16:17], off offset:16
	global_load_dword v32, v[16:17], off offset:32
	;; [unrolled: 1-line block ×3, first 2 shown]
	s_clause 0x3
	global_load_dwordx4 v[16:19], v[7:8], off
	global_load_dwordx4 v[20:23], v[7:8], off offset:64
	global_load_dwordx4 v[24:27], v[7:8], off offset:128
	;; [unrolled: 1-line block ×3, first 2 shown]
	s_waitcnt vmcnt(7)
	v_subrev_nc_u32_e32 v1, s18, v1
	s_waitcnt vmcnt(6)
	v_subrev_nc_u32_e32 v6, s18, v6
	;; [unrolled: 2-line block ×3, first 2 shown]
	s_waitcnt vmcnt(3)
	v_cvt_f32_i32_sdwa v37, sext(v17) dst_sel:DWORD dst_unused:UNUSED_PAD src0_sel:BYTE_0
	v_lshlrev_b32_e32 v1, 2, v1
	v_lshlrev_b32_e32 v6, 2, v6
	v_cvt_f32_i32_sdwa v40, sext(v18) dst_sel:DWORD dst_unused:UNUSED_PAD src0_sel:BYTE_0
	v_cvt_f32_i32_sdwa v43, sext(v19) dst_sel:DWORD dst_unused:UNUSED_PAD src0_sel:BYTE_0
	v_cvt_f32_i32_sdwa v38, sext(v17) dst_sel:DWORD dst_unused:UNUSED_PAD src0_sel:BYTE_1
	v_ashrrev_i32_e32 v33, 31, v1
	v_add_co_u32 v32, vcc_lo, s6, v1
	v_subrev_nc_u32_e32 v1, s18, v34
	v_cvt_f32_i32_sdwa v41, sext(v18) dst_sel:DWORD dst_unused:UNUSED_PAD src0_sel:BYTE_1
	v_add_co_ci_u32_e64 v33, null, s7, v33, vcc_lo
	v_cvt_f32_i32_sdwa v44, sext(v19) dst_sel:DWORD dst_unused:UNUSED_PAD src0_sel:BYTE_1
	v_lshlrev_b32_e32 v1, 2, v1
	v_cvt_f32_i32_sdwa v36, sext(v16) dst_sel:DWORD dst_unused:UNUSED_PAD src0_sel:BYTE_2
	global_load_dword v34, v[32:33], off
	v_ashrrev_i32_e32 v33, 31, v6
	v_add_co_u32 v32, vcc_lo, s6, v6
	v_cvt_f32_i32_sdwa v39, sext(v17) dst_sel:DWORD dst_unused:UNUSED_PAD src0_sel:BYTE_2
	v_cvt_f32_i32_sdwa v42, sext(v18) dst_sel:DWORD dst_unused:UNUSED_PAD src0_sel:BYTE_2
	v_add_co_ci_u32_e64 v33, null, s7, v33, vcc_lo
	v_cvt_f32_i32_sdwa v45, sext(v19) dst_sel:DWORD dst_unused:UNUSED_PAD src0_sel:BYTE_2
	v_cvt_f32_i32_sdwa v17, sext(v17) dst_sel:DWORD dst_unused:UNUSED_PAD src0_sel:BYTE_3
	v_cvt_f32_i32_sdwa v18, sext(v18) dst_sel:DWORD dst_unused:UNUSED_PAD src0_sel:BYTE_3
	global_load_dword v6, v[32:33], off
	v_lshlrev_b32_e32 v32, 2, v35
	v_cvt_f32_i32_sdwa v19, sext(v19) dst_sel:DWORD dst_unused:UNUSED_PAD src0_sel:BYTE_3
	s_waitcnt vmcnt(4)
	v_cvt_f32_i32_sdwa v46, sext(v20) dst_sel:DWORD dst_unused:UNUSED_PAD src0_sel:BYTE_0
	v_cvt_f32_i32_sdwa v49, sext(v21) dst_sel:DWORD dst_unused:UNUSED_PAD src0_sel:BYTE_0
	;; [unrolled: 1-line block ×3, first 2 shown]
	v_ashrrev_i32_e32 v33, 31, v32
	v_add_co_u32 v32, vcc_lo, s6, v32
	v_cvt_f32_i32_sdwa v55, sext(v23) dst_sel:DWORD dst_unused:UNUSED_PAD src0_sel:BYTE_0
	v_cvt_f32_i32_sdwa v47, sext(v20) dst_sel:DWORD dst_unused:UNUSED_PAD src0_sel:BYTE_1
	v_add_co_ci_u32_e64 v33, null, s7, v33, vcc_lo
	v_cvt_f32_i32_sdwa v50, sext(v21) dst_sel:DWORD dst_unused:UNUSED_PAD src0_sel:BYTE_1
	v_cvt_f32_i32_sdwa v53, sext(v22) dst_sel:DWORD dst_unused:UNUSED_PAD src0_sel:BYTE_1
	;; [unrolled: 1-line block ×3, first 2 shown]
	global_load_dword v35, v[32:33], off
	v_ashrrev_i32_e32 v33, 31, v1
	v_add_co_u32 v32, vcc_lo, s6, v1
	v_cvt_f32_i32_sdwa v48, sext(v20) dst_sel:DWORD dst_unused:UNUSED_PAD src0_sel:BYTE_2
	v_cvt_f32_i32_sdwa v51, sext(v21) dst_sel:DWORD dst_unused:UNUSED_PAD src0_sel:BYTE_2
	v_add_co_ci_u32_e64 v33, null, s7, v33, vcc_lo
	v_cvt_f32_i32_sdwa v54, sext(v22) dst_sel:DWORD dst_unused:UNUSED_PAD src0_sel:BYTE_2
	v_cvt_f32_i32_sdwa v57, sext(v23) dst_sel:DWORD dst_unused:UNUSED_PAD src0_sel:BYTE_2
	v_cvt_f32_i32_sdwa v20, sext(v20) dst_sel:DWORD dst_unused:UNUSED_PAD src0_sel:BYTE_3
	global_load_dword v1, v[32:33], off
	v_cvt_f32_i32_sdwa v32, sext(v16) dst_sel:DWORD dst_unused:UNUSED_PAD src0_sel:BYTE_0
	v_cvt_f32_i32_sdwa v33, sext(v16) dst_sel:DWORD dst_unused:UNUSED_PAD src0_sel:BYTE_1
	v_cvt_f32_i32_sdwa v16, sext(v16) dst_sel:DWORD dst_unused:UNUSED_PAD src0_sel:BYTE_3
	v_cvt_f32_i32_sdwa v21, sext(v21) dst_sel:DWORD dst_unused:UNUSED_PAD src0_sel:BYTE_3
	;; [unrolled: 1-line block ×4, first 2 shown]
	s_waitcnt vmcnt(5)
	v_cvt_f32_i32_sdwa v58, sext(v24) dst_sel:DWORD dst_unused:UNUSED_PAD src0_sel:BYTE_0
	v_cvt_f32_i32_sdwa v61, sext(v25) dst_sel:DWORD dst_unused:UNUSED_PAD src0_sel:BYTE_0
	v_cvt_f32_i32_sdwa v64, sext(v26) dst_sel:DWORD dst_unused:UNUSED_PAD src0_sel:BYTE_0
	v_cvt_f32_i32_sdwa v67, sext(v27) dst_sel:DWORD dst_unused:UNUSED_PAD src0_sel:BYTE_0
	v_cvt_f32_i32_sdwa v59, sext(v24) dst_sel:DWORD dst_unused:UNUSED_PAD src0_sel:BYTE_1
	v_cvt_f32_i32_sdwa v62, sext(v25) dst_sel:DWORD dst_unused:UNUSED_PAD src0_sel:BYTE_1
	;; [unrolled: 1-line block ×4, first 2 shown]
	v_cvt_f32_i32_sdwa v60, sext(v24) dst_sel:DWORD dst_unused:UNUSED_PAD src0_sel:BYTE_2
	v_cvt_f32_i32_sdwa v63, sext(v25) dst_sel:DWORD dst_unused:UNUSED_PAD src0_sel:BYTE_2
	;; [unrolled: 1-line block ×4, first 2 shown]
	v_cvt_f32_i32_sdwa v24, sext(v24) dst_sel:DWORD dst_unused:UNUSED_PAD src0_sel:BYTE_3
	v_cvt_f32_i32_sdwa v25, sext(v25) dst_sel:DWORD dst_unused:UNUSED_PAD src0_sel:BYTE_3
	;; [unrolled: 1-line block ×4, first 2 shown]
	s_waitcnt vmcnt(4)
	v_cvt_f32_i32_sdwa v70, sext(v28) dst_sel:DWORD dst_unused:UNUSED_PAD src0_sel:BYTE_0
	v_cvt_f32_i32_sdwa v73, sext(v29) dst_sel:DWORD dst_unused:UNUSED_PAD src0_sel:BYTE_0
	;; [unrolled: 1-line block ×4, first 2 shown]
	v_cvt_f32_i32_sdwa v71, sext(v28) dst_sel:DWORD dst_unused:UNUSED_PAD src0_sel:BYTE_1
	v_cvt_f32_i32_sdwa v74, sext(v29) dst_sel:DWORD dst_unused:UNUSED_PAD src0_sel:BYTE_1
	;; [unrolled: 1-line block ×4, first 2 shown]
	v_cvt_f32_i32_sdwa v72, sext(v28) dst_sel:DWORD dst_unused:UNUSED_PAD src0_sel:BYTE_2
	v_cvt_f32_i32_sdwa v75, sext(v29) dst_sel:DWORD dst_unused:UNUSED_PAD src0_sel:BYTE_2
	;; [unrolled: 1-line block ×4, first 2 shown]
	v_cvt_f32_i32_sdwa v28, sext(v28) dst_sel:DWORD dst_unused:UNUSED_PAD src0_sel:BYTE_3
	v_cvt_f32_i32_sdwa v29, sext(v29) dst_sel:DWORD dst_unused:UNUSED_PAD src0_sel:BYTE_3
	;; [unrolled: 1-line block ×4, first 2 shown]
	v_add_co_u32 v7, vcc_lo, 0x100, v7
	v_add_co_ci_u32_e64 v8, null, 0, v8, vcc_lo
	v_cmp_ge_i32_e32 vcc_lo, v5, v10
	s_or_b32 s8, vcc_lo, s8
	s_waitcnt vmcnt(3)
	v_cvt_f32_i32_sdwa v82, sext(v34) dst_sel:DWORD dst_unused:UNUSED_PAD src0_sel:BYTE_0
	v_cvt_f32_i32_sdwa v83, sext(v34) dst_sel:DWORD dst_unused:UNUSED_PAD src0_sel:BYTE_1
	v_fmac_f32_e32 v12, v32, v82
	v_fmac_f32_e32 v14, v37, v82
	v_fmac_f32_e32 v13, v40, v82
	v_fmac_f32_e32 v11, v43, v82
	v_cvt_f32_i32_sdwa v32, sext(v34) dst_sel:DWORD dst_unused:UNUSED_PAD src0_sel:BYTE_2
	v_fmac_f32_e32 v12, v33, v83
	v_fmac_f32_e32 v14, v38, v83
	v_fmac_f32_e32 v13, v41, v83
	v_fmac_f32_e32 v11, v44, v83
	v_cvt_f32_i32_sdwa v33, sext(v34) dst_sel:DWORD dst_unused:UNUSED_PAD src0_sel:BYTE_3
	v_fmac_f32_e32 v12, v36, v32
	v_fmac_f32_e32 v14, v39, v32
	v_fmac_f32_e32 v13, v42, v32
	v_fmac_f32_e32 v11, v45, v32
	s_waitcnt vmcnt(2)
	v_cvt_f32_i32_sdwa v32, sext(v6) dst_sel:DWORD dst_unused:UNUSED_PAD src0_sel:BYTE_0
	v_fmac_f32_e32 v12, v16, v33
	v_fmac_f32_e32 v14, v17, v33
	v_fmac_f32_e32 v13, v18, v33
	v_fmac_f32_e32 v11, v19, v33
	v_cvt_f32_i32_sdwa v16, sext(v6) dst_sel:DWORD dst_unused:UNUSED_PAD src0_sel:BYTE_1
	v_fmac_f32_e32 v12, v46, v32
	v_fmac_f32_e32 v14, v49, v32
	v_fmac_f32_e32 v13, v52, v32
	v_fmac_f32_e32 v11, v55, v32
	v_cvt_f32_i32_sdwa v17, sext(v6) dst_sel:DWORD dst_unused:UNUSED_PAD src0_sel:BYTE_2
	v_fmac_f32_e32 v12, v47, v16
	v_fmac_f32_e32 v14, v50, v16
	v_fmac_f32_e32 v13, v53, v16
	v_fmac_f32_e32 v11, v56, v16
	v_cvt_f32_i32_sdwa v6, sext(v6) dst_sel:DWORD dst_unused:UNUSED_PAD src0_sel:BYTE_3
	v_fmac_f32_e32 v12, v48, v17
	v_fmac_f32_e32 v14, v51, v17
	v_fmac_f32_e32 v13, v54, v17
	v_fmac_f32_e32 v11, v57, v17
	s_waitcnt vmcnt(1)
	v_cvt_f32_i32_sdwa v16, sext(v35) dst_sel:DWORD dst_unused:UNUSED_PAD src0_sel:BYTE_0
	v_fmac_f32_e32 v12, v20, v6
	v_fmac_f32_e32 v14, v21, v6
	v_fmac_f32_e32 v13, v22, v6
	v_fmac_f32_e32 v11, v23, v6
	v_cvt_f32_i32_sdwa v6, sext(v35) dst_sel:DWORD dst_unused:UNUSED_PAD src0_sel:BYTE_1
	v_fmac_f32_e32 v12, v58, v16
	v_fmac_f32_e32 v14, v61, v16
	v_fmac_f32_e32 v13, v64, v16
	v_fmac_f32_e32 v11, v67, v16
	v_cvt_f32_i32_sdwa v16, sext(v35) dst_sel:DWORD dst_unused:UNUSED_PAD src0_sel:BYTE_2
	v_fmac_f32_e32 v12, v59, v6
	v_fmac_f32_e32 v14, v62, v6
	v_fmac_f32_e32 v13, v65, v6
	v_fmac_f32_e32 v11, v68, v6
	v_cvt_f32_i32_sdwa v6, sext(v35) dst_sel:DWORD dst_unused:UNUSED_PAD src0_sel:BYTE_3
	v_fmac_f32_e32 v12, v60, v16
	v_fmac_f32_e32 v14, v63, v16
	v_fmac_f32_e32 v13, v66, v16
	v_fmac_f32_e32 v11, v69, v16
	s_waitcnt vmcnt(0)
	v_cvt_f32_i32_sdwa v16, sext(v1) dst_sel:DWORD dst_unused:UNUSED_PAD src0_sel:BYTE_0
	v_fmac_f32_e32 v12, v24, v6
	v_fmac_f32_e32 v14, v25, v6
	v_fmac_f32_e32 v13, v26, v6
	v_fmac_f32_e32 v11, v27, v6
	v_cvt_f32_i32_sdwa v6, sext(v1) dst_sel:DWORD dst_unused:UNUSED_PAD src0_sel:BYTE_1
	v_fmac_f32_e32 v12, v70, v16
	v_fmac_f32_e32 v14, v73, v16
	;; [unrolled: 1-line block ×4, first 2 shown]
	v_cvt_f32_i32_sdwa v16, sext(v1) dst_sel:DWORD dst_unused:UNUSED_PAD src0_sel:BYTE_2
	v_fmac_f32_e32 v12, v71, v6
	v_fmac_f32_e32 v14, v74, v6
	;; [unrolled: 1-line block ×4, first 2 shown]
	v_cvt_f32_i32_sdwa v1, sext(v1) dst_sel:DWORD dst_unused:UNUSED_PAD src0_sel:BYTE_3
	v_fmac_f32_e32 v12, v72, v16
	v_fmac_f32_e32 v14, v75, v16
	v_fmac_f32_e32 v13, v78, v16
	v_fmac_f32_e32 v11, v81, v16
	v_fmac_f32_e32 v12, v28, v1
	v_fmac_f32_e32 v14, v29, v1
	v_fmac_f32_e32 v13, v30, v1
	v_fmac_f32_e32 v11, v31, v1
	s_andn2_b32 exec_lo, exec_lo, s8
	s_cbranch_execnz .LBB75_21
; %bb.22:
	s_or_b32 exec_lo, exec_lo, s8
.LBB75_23:
	s_or_b32 exec_lo, exec_lo, s3
.LBB75_24:
	s_or_b32 exec_lo, exec_lo, s1
	s_cbranch_execz .LBB75_26
	s_branch .LBB75_37
.LBB75_25:
                                        ; implicit-def: $vgpr11
                                        ; implicit-def: $vgpr13
                                        ; implicit-def: $vgpr14
                                        ; implicit-def: $vgpr12
.LBB75_26:
	v_mov_b32_e32 v11, 0
	v_mov_b32_e32 v13, 0
	;; [unrolled: 1-line block ×4, first 2 shown]
	s_and_saveexec_b32 s1, s0
	s_cbranch_execz .LBB75_36
; %bb.27:
	v_add_nc_u32_e32 v1, v15, v9
	v_not_b32_e32 v5, v15
	v_mov_b32_e32 v12, 0
	v_mov_b32_e32 v14, 0
	;; [unrolled: 1-line block ×3, first 2 shown]
	v_subrev_nc_u32_e32 v1, s18, v1
	v_mov_b32_e32 v11, 0
	s_mov_b32 s0, exec_lo
	v_add_nc_u32_e32 v1, 4, v1
	v_max_i32_e32 v1, v1, v10
	v_add3_u32 v1, s18, v1, v5
	v_sub_nc_u32_e32 v5, v1, v9
	v_and_b32_e32 v1, 12, v5
	v_cmpx_ne_u32_e32 12, v1
	s_cbranch_execz .LBB75_31
; %bb.28:
	v_lshrrev_b32_e32 v1, 2, v5
	v_mov_b32_e32 v11, 0
	v_mov_b32_e32 v13, 0
	;; [unrolled: 1-line block ×4, first 2 shown]
	v_add_nc_u32_e32 v1, 1, v1
	s_mov_b32 s3, 0
	v_and_b32_e32 v1, 3, v1
	v_sub_nc_u32_e32 v6, 0, v1
.LBB75_29:                              ; =>This Inner Loop Header: Depth=1
	v_ashrrev_i32_e32 v1, 31, v0
	v_add_co_u32 v6, s8, v6, 1
	s_or_b32 s3, s8, s3
	v_lshlrev_b64 v[7:8], 2, v[0:1]
	v_add_nc_u32_e32 v0, 4, v0
	v_add_co_u32 v7, vcc_lo, s12, v7
	v_add_co_ci_u32_e64 v8, null, s13, v8, vcc_lo
	global_load_dword v1, v[7:8], off
	s_waitcnt vmcnt(0)
	v_subrev_nc_u32_e32 v1, s18, v1
	v_lshlrev_b32_e32 v1, 2, v1
	v_ashrrev_i32_e32 v8, 31, v1
	v_add_co_u32 v7, vcc_lo, s6, v1
	v_add_co_ci_u32_e64 v8, null, s7, v8, vcc_lo
	global_load_dwordx4 v[15:18], v[2:3], off
	global_load_dword v1, v[7:8], off
	v_add_co_u32 v2, vcc_lo, v2, 64
	v_add_co_ci_u32_e64 v3, null, 0, v3, vcc_lo
	s_waitcnt vmcnt(1)
	v_cvt_f32_i32_sdwa v7, sext(v15) dst_sel:DWORD dst_unused:UNUSED_PAD src0_sel:BYTE_0
	v_cvt_f32_i32_sdwa v8, sext(v15) dst_sel:DWORD dst_unused:UNUSED_PAD src0_sel:BYTE_1
	v_cvt_f32_i32_sdwa v19, sext(v15) dst_sel:DWORD dst_unused:UNUSED_PAD src0_sel:BYTE_2
	v_cvt_f32_i32_sdwa v15, sext(v15) dst_sel:DWORD dst_unused:UNUSED_PAD src0_sel:BYTE_3
	s_waitcnt vmcnt(0)
	v_cvt_f32_i32_sdwa v29, sext(v1) dst_sel:DWORD dst_unused:UNUSED_PAD src0_sel:BYTE_0
	v_cvt_f32_i32_sdwa v20, sext(v16) dst_sel:DWORD dst_unused:UNUSED_PAD src0_sel:BYTE_0
	v_cvt_f32_i32_sdwa v21, sext(v16) dst_sel:DWORD dst_unused:UNUSED_PAD src0_sel:BYTE_1
	v_cvt_f32_i32_sdwa v22, sext(v16) dst_sel:DWORD dst_unused:UNUSED_PAD src0_sel:BYTE_2
	v_cvt_f32_i32_sdwa v16, sext(v16) dst_sel:DWORD dst_unused:UNUSED_PAD src0_sel:BYTE_3
	v_cvt_f32_i32_sdwa v30, sext(v1) dst_sel:DWORD dst_unused:UNUSED_PAD src0_sel:BYTE_1
	v_fmac_f32_e32 v12, v7, v29
	v_fmac_f32_e32 v14, v8, v29
	;; [unrolled: 1-line block ×4, first 2 shown]
	v_cvt_f32_i32_sdwa v23, sext(v17) dst_sel:DWORD dst_unused:UNUSED_PAD src0_sel:BYTE_0
	v_cvt_f32_i32_sdwa v24, sext(v17) dst_sel:DWORD dst_unused:UNUSED_PAD src0_sel:BYTE_1
	v_cvt_f32_i32_sdwa v25, sext(v17) dst_sel:DWORD dst_unused:UNUSED_PAD src0_sel:BYTE_2
	v_cvt_f32_i32_sdwa v17, sext(v17) dst_sel:DWORD dst_unused:UNUSED_PAD src0_sel:BYTE_3
	v_cvt_f32_i32_sdwa v7, sext(v1) dst_sel:DWORD dst_unused:UNUSED_PAD src0_sel:BYTE_2
	v_fmac_f32_e32 v12, v20, v30
	v_fmac_f32_e32 v14, v21, v30
	;; [unrolled: 1-line block ×4, first 2 shown]
	v_cvt_f32_i32_sdwa v26, sext(v18) dst_sel:DWORD dst_unused:UNUSED_PAD src0_sel:BYTE_0
	v_cvt_f32_i32_sdwa v27, sext(v18) dst_sel:DWORD dst_unused:UNUSED_PAD src0_sel:BYTE_1
	v_cvt_f32_i32_sdwa v28, sext(v18) dst_sel:DWORD dst_unused:UNUSED_PAD src0_sel:BYTE_2
	v_cvt_f32_i32_sdwa v18, sext(v18) dst_sel:DWORD dst_unused:UNUSED_PAD src0_sel:BYTE_3
	v_cvt_f32_i32_sdwa v1, sext(v1) dst_sel:DWORD dst_unused:UNUSED_PAD src0_sel:BYTE_3
	v_fmac_f32_e32 v12, v23, v7
	v_fmac_f32_e32 v14, v24, v7
	;; [unrolled: 1-line block ×8, first 2 shown]
	s_andn2_b32 exec_lo, exec_lo, s3
	s_cbranch_execnz .LBB75_29
; %bb.30:
	s_or_b32 exec_lo, exec_lo, s3
.LBB75_31:
	s_or_b32 exec_lo, exec_lo, s0
	s_mov_b32 s0, exec_lo
	v_cmpx_lt_u32_e32 11, v5
	s_cbranch_execz .LBB75_35
; %bb.32:
	s_mov_b32 s3, 0
.LBB75_33:                              ; =>This Inner Loop Header: Depth=1
	v_ashrrev_i32_e32 v1, 31, v0
	v_lshlrev_b64 v[5:6], 2, v[0:1]
	v_add_nc_u32_e32 v0, 16, v0
	v_add_co_u32 v5, vcc_lo, s12, v5
	v_add_co_ci_u32_e64 v6, null, s13, v6, vcc_lo
	s_clause 0x3
	global_load_dword v1, v[5:6], off
	global_load_dword v27, v[5:6], off offset:16
	global_load_dword v28, v[5:6], off offset:32
	;; [unrolled: 1-line block ×3, first 2 shown]
	s_clause 0x3
	global_load_dwordx4 v[5:8], v[2:3], off
	global_load_dwordx4 v[15:18], v[2:3], off offset:64
	global_load_dwordx4 v[19:22], v[2:3], off offset:128
	;; [unrolled: 1-line block ×3, first 2 shown]
	s_waitcnt vmcnt(7)
	v_subrev_nc_u32_e32 v1, s18, v1
	s_waitcnt vmcnt(6)
	v_subrev_nc_u32_e32 v30, s18, v27
	;; [unrolled: 2-line block ×3, first 2 shown]
	s_waitcnt vmcnt(3)
	v_cvt_f32_i32_sdwa v32, sext(v5) dst_sel:DWORD dst_unused:UNUSED_PAD src0_sel:BYTE_2
	v_lshlrev_b32_e32 v1, 2, v1
	v_cvt_f32_i32_sdwa v33, sext(v6) dst_sel:DWORD dst_unused:UNUSED_PAD src0_sel:BYTE_0
	v_cvt_f32_i32_sdwa v34, sext(v6) dst_sel:DWORD dst_unused:UNUSED_PAD src0_sel:BYTE_1
	v_cvt_f32_i32_sdwa v35, sext(v6) dst_sel:DWORD dst_unused:UNUSED_PAD src0_sel:BYTE_2
	v_cvt_f32_i32_sdwa v6, sext(v6) dst_sel:DWORD dst_unused:UNUSED_PAD src0_sel:BYTE_3
	v_ashrrev_i32_e32 v28, 31, v1
	v_add_co_u32 v27, vcc_lo, s6, v1
	v_subrev_nc_u32_e32 v1, s18, v29
	v_cvt_f32_i32_sdwa v36, sext(v7) dst_sel:DWORD dst_unused:UNUSED_PAD src0_sel:BYTE_0
	v_add_co_ci_u32_e64 v28, null, s7, v28, vcc_lo
	v_cvt_f32_i32_sdwa v37, sext(v7) dst_sel:DWORD dst_unused:UNUSED_PAD src0_sel:BYTE_1
	v_lshlrev_b32_e32 v1, 2, v1
	v_cvt_f32_i32_sdwa v38, sext(v7) dst_sel:DWORD dst_unused:UNUSED_PAD src0_sel:BYTE_2
	global_load_dword v29, v[27:28], off
	v_lshlrev_b32_e32 v27, 2, v30
	v_cvt_f32_i32_sdwa v7, sext(v7) dst_sel:DWORD dst_unused:UNUSED_PAD src0_sel:BYTE_3
	v_cvt_f32_i32_sdwa v39, sext(v8) dst_sel:DWORD dst_unused:UNUSED_PAD src0_sel:BYTE_0
	v_cvt_f32_i32_sdwa v40, sext(v8) dst_sel:DWORD dst_unused:UNUSED_PAD src0_sel:BYTE_1
	v_cvt_f32_i32_sdwa v41, sext(v8) dst_sel:DWORD dst_unused:UNUSED_PAD src0_sel:BYTE_2
	v_ashrrev_i32_e32 v28, 31, v27
	v_add_co_u32 v27, vcc_lo, s6, v27
	v_cvt_f32_i32_sdwa v8, sext(v8) dst_sel:DWORD dst_unused:UNUSED_PAD src0_sel:BYTE_3
	s_waitcnt vmcnt(3)
	v_cvt_f32_i32_sdwa v42, sext(v15) dst_sel:DWORD dst_unused:UNUSED_PAD src0_sel:BYTE_0
	v_add_co_ci_u32_e64 v28, null, s7, v28, vcc_lo
	v_cvt_f32_i32_sdwa v43, sext(v15) dst_sel:DWORD dst_unused:UNUSED_PAD src0_sel:BYTE_1
	v_cvt_f32_i32_sdwa v44, sext(v15) dst_sel:DWORD dst_unused:UNUSED_PAD src0_sel:BYTE_2
	v_cvt_f32_i32_sdwa v15, sext(v15) dst_sel:DWORD dst_unused:UNUSED_PAD src0_sel:BYTE_3
	global_load_dword v30, v[27:28], off
	v_lshlrev_b32_e32 v27, 2, v31
	v_cvt_f32_i32_sdwa v45, sext(v16) dst_sel:DWORD dst_unused:UNUSED_PAD src0_sel:BYTE_0
	v_cvt_f32_i32_sdwa v46, sext(v16) dst_sel:DWORD dst_unused:UNUSED_PAD src0_sel:BYTE_1
	v_cvt_f32_i32_sdwa v47, sext(v16) dst_sel:DWORD dst_unused:UNUSED_PAD src0_sel:BYTE_2
	v_cvt_f32_i32_sdwa v16, sext(v16) dst_sel:DWORD dst_unused:UNUSED_PAD src0_sel:BYTE_3
	v_ashrrev_i32_e32 v28, 31, v27
	v_add_co_u32 v27, vcc_lo, s6, v27
	v_cvt_f32_i32_sdwa v48, sext(v17) dst_sel:DWORD dst_unused:UNUSED_PAD src0_sel:BYTE_0
	v_cvt_f32_i32_sdwa v49, sext(v17) dst_sel:DWORD dst_unused:UNUSED_PAD src0_sel:BYTE_1
	v_add_co_ci_u32_e64 v28, null, s7, v28, vcc_lo
	v_cvt_f32_i32_sdwa v50, sext(v17) dst_sel:DWORD dst_unused:UNUSED_PAD src0_sel:BYTE_2
	v_cvt_f32_i32_sdwa v17, sext(v17) dst_sel:DWORD dst_unused:UNUSED_PAD src0_sel:BYTE_3
	v_cvt_f32_i32_sdwa v51, sext(v18) dst_sel:DWORD dst_unused:UNUSED_PAD src0_sel:BYTE_0
	global_load_dword v31, v[27:28], off
	v_ashrrev_i32_e32 v28, 31, v1
	v_add_co_u32 v27, vcc_lo, s6, v1
	v_cvt_f32_i32_sdwa v52, sext(v18) dst_sel:DWORD dst_unused:UNUSED_PAD src0_sel:BYTE_1
	v_cvt_f32_i32_sdwa v53, sext(v18) dst_sel:DWORD dst_unused:UNUSED_PAD src0_sel:BYTE_2
	v_add_co_ci_u32_e64 v28, null, s7, v28, vcc_lo
	v_cvt_f32_i32_sdwa v18, sext(v18) dst_sel:DWORD dst_unused:UNUSED_PAD src0_sel:BYTE_3
	s_waitcnt vmcnt(4)
	v_cvt_f32_i32_sdwa v54, sext(v19) dst_sel:DWORD dst_unused:UNUSED_PAD src0_sel:BYTE_0
	v_cvt_f32_i32_sdwa v55, sext(v19) dst_sel:DWORD dst_unused:UNUSED_PAD src0_sel:BYTE_1
	global_load_dword v1, v[27:28], off
	v_cvt_f32_i32_sdwa v27, sext(v5) dst_sel:DWORD dst_unused:UNUSED_PAD src0_sel:BYTE_0
	v_cvt_f32_i32_sdwa v28, sext(v5) dst_sel:DWORD dst_unused:UNUSED_PAD src0_sel:BYTE_1
	v_cvt_f32_i32_sdwa v5, sext(v5) dst_sel:DWORD dst_unused:UNUSED_PAD src0_sel:BYTE_3
	v_cvt_f32_i32_sdwa v56, sext(v19) dst_sel:DWORD dst_unused:UNUSED_PAD src0_sel:BYTE_2
	v_cvt_f32_i32_sdwa v19, sext(v19) dst_sel:DWORD dst_unused:UNUSED_PAD src0_sel:BYTE_3
	v_cvt_f32_i32_sdwa v57, sext(v20) dst_sel:DWORD dst_unused:UNUSED_PAD src0_sel:BYTE_0
	v_cvt_f32_i32_sdwa v58, sext(v20) dst_sel:DWORD dst_unused:UNUSED_PAD src0_sel:BYTE_1
	v_cvt_f32_i32_sdwa v59, sext(v20) dst_sel:DWORD dst_unused:UNUSED_PAD src0_sel:BYTE_2
	v_cvt_f32_i32_sdwa v20, sext(v20) dst_sel:DWORD dst_unused:UNUSED_PAD src0_sel:BYTE_3
	v_cvt_f32_i32_sdwa v60, sext(v21) dst_sel:DWORD dst_unused:UNUSED_PAD src0_sel:BYTE_0
	v_cvt_f32_i32_sdwa v61, sext(v21) dst_sel:DWORD dst_unused:UNUSED_PAD src0_sel:BYTE_1
	;; [unrolled: 4-line block ×3, first 2 shown]
	v_cvt_f32_i32_sdwa v65, sext(v22) dst_sel:DWORD dst_unused:UNUSED_PAD src0_sel:BYTE_2
	v_cvt_f32_i32_sdwa v22, sext(v22) dst_sel:DWORD dst_unused:UNUSED_PAD src0_sel:BYTE_3
	s_waitcnt vmcnt(4)
	v_cvt_f32_i32_sdwa v66, sext(v23) dst_sel:DWORD dst_unused:UNUSED_PAD src0_sel:BYTE_0
	v_cvt_f32_i32_sdwa v67, sext(v23) dst_sel:DWORD dst_unused:UNUSED_PAD src0_sel:BYTE_1
	v_cvt_f32_i32_sdwa v68, sext(v23) dst_sel:DWORD dst_unused:UNUSED_PAD src0_sel:BYTE_2
	v_cvt_f32_i32_sdwa v23, sext(v23) dst_sel:DWORD dst_unused:UNUSED_PAD src0_sel:BYTE_3
	v_cvt_f32_i32_sdwa v69, sext(v24) dst_sel:DWORD dst_unused:UNUSED_PAD src0_sel:BYTE_0
	v_cvt_f32_i32_sdwa v70, sext(v24) dst_sel:DWORD dst_unused:UNUSED_PAD src0_sel:BYTE_1
	v_cvt_f32_i32_sdwa v71, sext(v24) dst_sel:DWORD dst_unused:UNUSED_PAD src0_sel:BYTE_2
	v_cvt_f32_i32_sdwa v24, sext(v24) dst_sel:DWORD dst_unused:UNUSED_PAD src0_sel:BYTE_3
	;; [unrolled: 4-line block ×4, first 2 shown]
	v_add_co_u32 v2, vcc_lo, 0x100, v2
	v_add_co_ci_u32_e64 v3, null, 0, v3, vcc_lo
	v_cmp_ge_i32_e32 vcc_lo, v0, v10
	s_or_b32 s3, vcc_lo, s3
	s_waitcnt vmcnt(3)
	v_cvt_f32_i32_sdwa v78, sext(v29) dst_sel:DWORD dst_unused:UNUSED_PAD src0_sel:BYTE_0
	v_cvt_f32_i32_sdwa v79, sext(v29) dst_sel:DWORD dst_unused:UNUSED_PAD src0_sel:BYTE_1
	v_fmac_f32_e32 v12, v27, v78
	v_fmac_f32_e32 v14, v28, v78
	v_fmac_f32_e32 v13, v32, v78
	v_fmac_f32_e32 v11, v5, v78
	v_cvt_f32_i32_sdwa v5, sext(v29) dst_sel:DWORD dst_unused:UNUSED_PAD src0_sel:BYTE_2
	v_fmac_f32_e32 v12, v33, v79
	v_fmac_f32_e32 v14, v34, v79
	v_fmac_f32_e32 v13, v35, v79
	v_fmac_f32_e32 v11, v6, v79
	v_cvt_f32_i32_sdwa v6, sext(v29) dst_sel:DWORD dst_unused:UNUSED_PAD src0_sel:BYTE_3
	v_fmac_f32_e32 v12, v36, v5
	v_fmac_f32_e32 v14, v37, v5
	v_fmac_f32_e32 v13, v38, v5
	v_fmac_f32_e32 v11, v7, v5
	s_waitcnt vmcnt(2)
	v_cvt_f32_i32_sdwa v5, sext(v30) dst_sel:DWORD dst_unused:UNUSED_PAD src0_sel:BYTE_0
	v_fmac_f32_e32 v12, v39, v6
	v_fmac_f32_e32 v14, v40, v6
	v_fmac_f32_e32 v13, v41, v6
	v_fmac_f32_e32 v11, v8, v6
	v_cvt_f32_i32_sdwa v6, sext(v30) dst_sel:DWORD dst_unused:UNUSED_PAD src0_sel:BYTE_1
	v_fmac_f32_e32 v12, v42, v5
	v_fmac_f32_e32 v14, v43, v5
	v_fmac_f32_e32 v13, v44, v5
	v_fmac_f32_e32 v11, v15, v5
	v_cvt_f32_i32_sdwa v5, sext(v30) dst_sel:DWORD dst_unused:UNUSED_PAD src0_sel:BYTE_2
	v_fmac_f32_e32 v12, v45, v6
	v_fmac_f32_e32 v14, v46, v6
	v_fmac_f32_e32 v13, v47, v6
	v_fmac_f32_e32 v11, v16, v6
	v_cvt_f32_i32_sdwa v6, sext(v30) dst_sel:DWORD dst_unused:UNUSED_PAD src0_sel:BYTE_3
	v_fmac_f32_e32 v12, v48, v5
	v_fmac_f32_e32 v14, v49, v5
	v_fmac_f32_e32 v13, v50, v5
	v_fmac_f32_e32 v11, v17, v5
	s_waitcnt vmcnt(1)
	v_cvt_f32_i32_sdwa v5, sext(v31) dst_sel:DWORD dst_unused:UNUSED_PAD src0_sel:BYTE_0
	v_fmac_f32_e32 v12, v51, v6
	v_fmac_f32_e32 v14, v52, v6
	v_fmac_f32_e32 v13, v53, v6
	v_fmac_f32_e32 v11, v18, v6
	;; [unrolled: 21-line block ×3, first 2 shown]
	v_cvt_f32_i32_sdwa v6, sext(v1) dst_sel:DWORD dst_unused:UNUSED_PAD src0_sel:BYTE_1
	v_fmac_f32_e32 v12, v66, v5
	v_fmac_f32_e32 v14, v67, v5
	;; [unrolled: 1-line block ×4, first 2 shown]
	v_cvt_f32_i32_sdwa v5, sext(v1) dst_sel:DWORD dst_unused:UNUSED_PAD src0_sel:BYTE_2
	v_fmac_f32_e32 v12, v69, v6
	v_fmac_f32_e32 v14, v70, v6
	;; [unrolled: 1-line block ×4, first 2 shown]
	v_cvt_f32_i32_sdwa v1, sext(v1) dst_sel:DWORD dst_unused:UNUSED_PAD src0_sel:BYTE_3
	v_fmac_f32_e32 v12, v72, v5
	v_fmac_f32_e32 v14, v73, v5
	;; [unrolled: 1-line block ×8, first 2 shown]
	s_andn2_b32 exec_lo, exec_lo, s3
	s_cbranch_execnz .LBB75_33
; %bb.34:
	s_or_b32 exec_lo, exec_lo, s3
.LBB75_35:
	s_or_b32 exec_lo, exec_lo, s0
.LBB75_36:
	s_or_b32 exec_lo, exec_lo, s1
.LBB75_37:
	v_mbcnt_lo_u32_b32 v0, -1, 0
	s_mov_b32 s3, -1
	v_xor_b32_e32 v1, 2, v0
	v_cmp_gt_i32_e32 vcc_lo, 32, v1
	v_cndmask_b32_e32 v1, v0, v1, vcc_lo
	v_lshlrev_b32_e32 v1, 2, v1
	ds_bpermute_b32 v2, v1, v12
	ds_bpermute_b32 v3, v1, v14
	;; [unrolled: 1-line block ×4, first 2 shown]
	v_xor_b32_e32 v1, 1, v0
	v_cmp_gt_i32_e32 vcc_lo, 32, v1
	v_cndmask_b32_e32 v0, v0, v1, vcc_lo
	v_cmp_eq_u32_e32 vcc_lo, 3, v9
	v_lshlrev_b32_e32 v8, 2, v0
	s_waitcnt lgkmcnt(3)
	v_add_f32_e32 v0, v12, v2
	s_waitcnt lgkmcnt(2)
	v_add_f32_e32 v1, v14, v3
	;; [unrolled: 2-line block ×4, first 2 shown]
	ds_bpermute_b32 v5, v8, v0
	ds_bpermute_b32 v6, v8, v1
	;; [unrolled: 1-line block ×4, first 2 shown]
	s_and_b32 exec_lo, exec_lo, vcc_lo
	s_cbranch_execz .LBB75_10
; %bb.38:
	s_load_dwordx2 s[0:1], s[4:5], 0x50
	s_waitcnt lgkmcnt(0)
	v_add_f32_e32 v0, v0, v5
	v_add_f32_e32 v1, v1, v6
	;; [unrolled: 1-line block ×4, first 2 shown]
	v_cmp_eq_f32_e64 s4, s2, 0
	v_mul_f32_e32 v0, s16, v0
	v_mul_f32_e32 v1, s16, v1
	;; [unrolled: 1-line block ×4, first 2 shown]
	v_lshlrev_b32_e32 v4, 2, v4
	s_and_b32 vcc_lo, exec_lo, s4
	s_cbranch_vccz .LBB75_40
; %bb.39:
	v_ashrrev_i32_e32 v5, 31, v4
	s_mov_b32 s3, 0
	v_lshlrev_b64 v[5:6], 2, v[4:5]
	v_add_co_u32 v5, vcc_lo, s0, v5
	v_add_co_ci_u32_e64 v6, null, s1, v6, vcc_lo
	global_store_dwordx4 v[5:6], v[0:3], off
.LBB75_40:
	s_andn2_b32 vcc_lo, exec_lo, s3
	s_cbranch_vccnz .LBB75_10
; %bb.41:
	v_ashrrev_i32_e32 v5, 31, v4
	v_lshlrev_b64 v[4:5], 2, v[4:5]
	v_add_co_u32 v8, vcc_lo, s0, v4
	v_add_co_ci_u32_e64 v9, null, s1, v5, vcc_lo
	global_load_dwordx4 v[4:7], v[8:9], off
	s_waitcnt vmcnt(0)
	v_fmac_f32_e32 v0, s2, v4
	v_fmac_f32_e32 v1, s2, v5
	;; [unrolled: 1-line block ×4, first 2 shown]
	global_store_dwordx4 v[8:9], v[0:3], off
	s_endpgm
	.section	.rodata,"a",@progbits
	.p2align	6, 0x0
	.amdhsa_kernel _ZN9rocsparseL18bsrxmvn_4x4_kernelILj128ELj4EfiiaafEEvT3_20rocsparse_direction_NS_24const_host_device_scalarIT1_EES1_PKS1_PKT2_SA_S7_PKT4_PKT5_S5_PT6_21rocsparse_index_base_b
		.amdhsa_group_segment_fixed_size 0
		.amdhsa_private_segment_fixed_size 0
		.amdhsa_kernarg_size 96
		.amdhsa_user_sgpr_count 6
		.amdhsa_user_sgpr_private_segment_buffer 1
		.amdhsa_user_sgpr_dispatch_ptr 0
		.amdhsa_user_sgpr_queue_ptr 0
		.amdhsa_user_sgpr_kernarg_segment_ptr 1
		.amdhsa_user_sgpr_dispatch_id 0
		.amdhsa_user_sgpr_flat_scratch_init 0
		.amdhsa_user_sgpr_private_segment_size 0
		.amdhsa_wavefront_size32 1
		.amdhsa_uses_dynamic_stack 0
		.amdhsa_system_sgpr_private_segment_wavefront_offset 0
		.amdhsa_system_sgpr_workgroup_id_x 1
		.amdhsa_system_sgpr_workgroup_id_y 0
		.amdhsa_system_sgpr_workgroup_id_z 0
		.amdhsa_system_sgpr_workgroup_info 0
		.amdhsa_system_vgpr_workitem_id 0
		.amdhsa_next_free_vgpr 84
		.amdhsa_next_free_sgpr 20
		.amdhsa_reserve_vcc 1
		.amdhsa_reserve_flat_scratch 0
		.amdhsa_float_round_mode_32 0
		.amdhsa_float_round_mode_16_64 0
		.amdhsa_float_denorm_mode_32 3
		.amdhsa_float_denorm_mode_16_64 3
		.amdhsa_dx10_clamp 1
		.amdhsa_ieee_mode 1
		.amdhsa_fp16_overflow 0
		.amdhsa_workgroup_processor_mode 1
		.amdhsa_memory_ordered 1
		.amdhsa_forward_progress 1
		.amdhsa_shared_vgpr_count 0
		.amdhsa_exception_fp_ieee_invalid_op 0
		.amdhsa_exception_fp_denorm_src 0
		.amdhsa_exception_fp_ieee_div_zero 0
		.amdhsa_exception_fp_ieee_overflow 0
		.amdhsa_exception_fp_ieee_underflow 0
		.amdhsa_exception_fp_ieee_inexact 0
		.amdhsa_exception_int_div_zero 0
	.end_amdhsa_kernel
	.section	.text._ZN9rocsparseL18bsrxmvn_4x4_kernelILj128ELj4EfiiaafEEvT3_20rocsparse_direction_NS_24const_host_device_scalarIT1_EES1_PKS1_PKT2_SA_S7_PKT4_PKT5_S5_PT6_21rocsparse_index_base_b,"axG",@progbits,_ZN9rocsparseL18bsrxmvn_4x4_kernelILj128ELj4EfiiaafEEvT3_20rocsparse_direction_NS_24const_host_device_scalarIT1_EES1_PKS1_PKT2_SA_S7_PKT4_PKT5_S5_PT6_21rocsparse_index_base_b,comdat
.Lfunc_end75:
	.size	_ZN9rocsparseL18bsrxmvn_4x4_kernelILj128ELj4EfiiaafEEvT3_20rocsparse_direction_NS_24const_host_device_scalarIT1_EES1_PKS1_PKT2_SA_S7_PKT4_PKT5_S5_PT6_21rocsparse_index_base_b, .Lfunc_end75-_ZN9rocsparseL18bsrxmvn_4x4_kernelILj128ELj4EfiiaafEEvT3_20rocsparse_direction_NS_24const_host_device_scalarIT1_EES1_PKS1_PKT2_SA_S7_PKT4_PKT5_S5_PT6_21rocsparse_index_base_b
                                        ; -- End function
	.set _ZN9rocsparseL18bsrxmvn_4x4_kernelILj128ELj4EfiiaafEEvT3_20rocsparse_direction_NS_24const_host_device_scalarIT1_EES1_PKS1_PKT2_SA_S7_PKT4_PKT5_S5_PT6_21rocsparse_index_base_b.num_vgpr, 84
	.set _ZN9rocsparseL18bsrxmvn_4x4_kernelILj128ELj4EfiiaafEEvT3_20rocsparse_direction_NS_24const_host_device_scalarIT1_EES1_PKS1_PKT2_SA_S7_PKT4_PKT5_S5_PT6_21rocsparse_index_base_b.num_agpr, 0
	.set _ZN9rocsparseL18bsrxmvn_4x4_kernelILj128ELj4EfiiaafEEvT3_20rocsparse_direction_NS_24const_host_device_scalarIT1_EES1_PKS1_PKT2_SA_S7_PKT4_PKT5_S5_PT6_21rocsparse_index_base_b.numbered_sgpr, 20
	.set _ZN9rocsparseL18bsrxmvn_4x4_kernelILj128ELj4EfiiaafEEvT3_20rocsparse_direction_NS_24const_host_device_scalarIT1_EES1_PKS1_PKT2_SA_S7_PKT4_PKT5_S5_PT6_21rocsparse_index_base_b.num_named_barrier, 0
	.set _ZN9rocsparseL18bsrxmvn_4x4_kernelILj128ELj4EfiiaafEEvT3_20rocsparse_direction_NS_24const_host_device_scalarIT1_EES1_PKS1_PKT2_SA_S7_PKT4_PKT5_S5_PT6_21rocsparse_index_base_b.private_seg_size, 0
	.set _ZN9rocsparseL18bsrxmvn_4x4_kernelILj128ELj4EfiiaafEEvT3_20rocsparse_direction_NS_24const_host_device_scalarIT1_EES1_PKS1_PKT2_SA_S7_PKT4_PKT5_S5_PT6_21rocsparse_index_base_b.uses_vcc, 1
	.set _ZN9rocsparseL18bsrxmvn_4x4_kernelILj128ELj4EfiiaafEEvT3_20rocsparse_direction_NS_24const_host_device_scalarIT1_EES1_PKS1_PKT2_SA_S7_PKT4_PKT5_S5_PT6_21rocsparse_index_base_b.uses_flat_scratch, 0
	.set _ZN9rocsparseL18bsrxmvn_4x4_kernelILj128ELj4EfiiaafEEvT3_20rocsparse_direction_NS_24const_host_device_scalarIT1_EES1_PKS1_PKT2_SA_S7_PKT4_PKT5_S5_PT6_21rocsparse_index_base_b.has_dyn_sized_stack, 0
	.set _ZN9rocsparseL18bsrxmvn_4x4_kernelILj128ELj4EfiiaafEEvT3_20rocsparse_direction_NS_24const_host_device_scalarIT1_EES1_PKS1_PKT2_SA_S7_PKT4_PKT5_S5_PT6_21rocsparse_index_base_b.has_recursion, 0
	.set _ZN9rocsparseL18bsrxmvn_4x4_kernelILj128ELj4EfiiaafEEvT3_20rocsparse_direction_NS_24const_host_device_scalarIT1_EES1_PKS1_PKT2_SA_S7_PKT4_PKT5_S5_PT6_21rocsparse_index_base_b.has_indirect_call, 0
	.section	.AMDGPU.csdata,"",@progbits
; Kernel info:
; codeLenInByte = 4320
; TotalNumSgprs: 22
; NumVgprs: 84
; ScratchSize: 0
; MemoryBound: 0
; FloatMode: 240
; IeeeMode: 1
; LDSByteSize: 0 bytes/workgroup (compile time only)
; SGPRBlocks: 0
; VGPRBlocks: 10
; NumSGPRsForWavesPerEU: 22
; NumVGPRsForWavesPerEU: 84
; Occupancy: 10
; WaveLimiterHint : 1
; COMPUTE_PGM_RSRC2:SCRATCH_EN: 0
; COMPUTE_PGM_RSRC2:USER_SGPR: 6
; COMPUTE_PGM_RSRC2:TRAP_HANDLER: 0
; COMPUTE_PGM_RSRC2:TGID_X_EN: 1
; COMPUTE_PGM_RSRC2:TGID_Y_EN: 0
; COMPUTE_PGM_RSRC2:TGID_Z_EN: 0
; COMPUTE_PGM_RSRC2:TIDIG_COMP_CNT: 0
	.section	.text._ZN9rocsparseL18bsrxmvn_4x4_kernelILj128ELj8EfiiaafEEvT3_20rocsparse_direction_NS_24const_host_device_scalarIT1_EES1_PKS1_PKT2_SA_S7_PKT4_PKT5_S5_PT6_21rocsparse_index_base_b,"axG",@progbits,_ZN9rocsparseL18bsrxmvn_4x4_kernelILj128ELj8EfiiaafEEvT3_20rocsparse_direction_NS_24const_host_device_scalarIT1_EES1_PKS1_PKT2_SA_S7_PKT4_PKT5_S5_PT6_21rocsparse_index_base_b,comdat
	.globl	_ZN9rocsparseL18bsrxmvn_4x4_kernelILj128ELj8EfiiaafEEvT3_20rocsparse_direction_NS_24const_host_device_scalarIT1_EES1_PKS1_PKT2_SA_S7_PKT4_PKT5_S5_PT6_21rocsparse_index_base_b ; -- Begin function _ZN9rocsparseL18bsrxmvn_4x4_kernelILj128ELj8EfiiaafEEvT3_20rocsparse_direction_NS_24const_host_device_scalarIT1_EES1_PKS1_PKT2_SA_S7_PKT4_PKT5_S5_PT6_21rocsparse_index_base_b
	.p2align	8
	.type	_ZN9rocsparseL18bsrxmvn_4x4_kernelILj128ELj8EfiiaafEEvT3_20rocsparse_direction_NS_24const_host_device_scalarIT1_EES1_PKS1_PKT2_SA_S7_PKT4_PKT5_S5_PT6_21rocsparse_index_base_b,@function
_ZN9rocsparseL18bsrxmvn_4x4_kernelILj128ELj8EfiiaafEEvT3_20rocsparse_direction_NS_24const_host_device_scalarIT1_EES1_PKS1_PKT2_SA_S7_PKT4_PKT5_S5_PT6_21rocsparse_index_base_b: ; @_ZN9rocsparseL18bsrxmvn_4x4_kernelILj128ELj8EfiiaafEEvT3_20rocsparse_direction_NS_24const_host_device_scalarIT1_EES1_PKS1_PKT2_SA_S7_PKT4_PKT5_S5_PT6_21rocsparse_index_base_b
; %bb.0:
	s_clause 0x2
	s_load_dwordx2 s[18:19], s[4:5], 0x58
	s_load_dwordx2 s[16:17], s[4:5], 0x8
	;; [unrolled: 1-line block ×3, first 2 shown]
	s_waitcnt lgkmcnt(0)
	s_bitcmp1_b32 s19, 0
	s_cselect_b32 s0, -1, 0
	s_and_b32 vcc_lo, exec_lo, s0
	s_xor_b32 s0, s0, -1
	s_cbranch_vccnz .LBB76_2
; %bb.1:
	s_load_dword s16, s[16:17], 0x0
.LBB76_2:
	s_andn2_b32 vcc_lo, exec_lo, s0
	s_cbranch_vccnz .LBB76_4
; %bb.3:
	s_load_dword s2, s[2:3], 0x0
.LBB76_4:
	s_waitcnt lgkmcnt(0)
	v_cmp_neq_f32_e64 s0, s16, 0
	v_cmp_neq_f32_e64 s1, s2, 1.0
	s_mov_b32 s3, 0
	s_or_b32 s0, s0, s1
	s_andn2_b32 vcc_lo, exec_lo, s0
	s_cbranch_vccnz .LBB76_10
; %bb.5:
	s_clause 0x1
	s_load_dwordx2 s[8:9], s[4:5], 0x18
	s_load_dwordx2 s[0:1], s[4:5], 0x0
	v_lshrrev_b32_e32 v1, 3, v0
	v_lshl_or_b32 v4, s6, 4, v1
	s_waitcnt lgkmcnt(0)
	s_cmp_lg_u64 s[8:9], 0
	s_cbranch_scc0 .LBB76_11
; %bb.6:
	s_load_dword s3, s[4:5], 0x10
	s_mov_b32 s6, 0
                                        ; implicit-def: $vgpr1
	s_waitcnt lgkmcnt(0)
	v_cmp_gt_i32_e32 vcc_lo, s3, v4
	s_mov_b32 s3, 0
	s_and_saveexec_b32 s7, vcc_lo
	s_xor_b32 s7, exec_lo, s7
	s_cbranch_execz .LBB76_8
; %bb.7:
	v_ashrrev_i32_e32 v5, 31, v4
	s_mov_b32 s3, exec_lo
	v_lshlrev_b64 v[1:2], 2, v[4:5]
	v_add_co_u32 v1, vcc_lo, s8, v1
	v_add_co_ci_u32_e64 v2, null, s9, v2, vcc_lo
	global_load_dword v1, v[1:2], off
	s_waitcnt vmcnt(0)
	v_subrev_nc_u32_e32 v1, s18, v1
.LBB76_8:
	s_or_b32 exec_lo, exec_lo, s7
	s_and_b32 vcc_lo, exec_lo, s6
	s_cbranch_vccz .LBB76_12
.LBB76_9:
	v_cmp_gt_i32_e32 vcc_lo, s0, v4
	s_andn2_b32 s0, s3, exec_lo
	s_and_b32 s3, vcc_lo, exec_lo
	s_or_b32 s3, s0, s3
	s_and_saveexec_b32 s0, s3
	s_cbranch_execnz .LBB76_13
.LBB76_10:
	s_endpgm
.LBB76_11:
                                        ; implicit-def: $vgpr1
	s_cbranch_execnz .LBB76_9
.LBB76_12:
	v_mov_b32_e32 v4, v1
	s_and_saveexec_b32 s0, s3
	s_cbranch_execz .LBB76_10
.LBB76_13:
	s_load_dwordx8 s[8:15], s[4:5], 0x20
	v_ashrrev_i32_e32 v5, 31, v4
	v_and_b32_e32 v9, 7, v0
	s_load_dwordx2 s[6:7], s[4:5], 0x40
	v_lshlrev_b64 v[1:2], 2, v[4:5]
	s_waitcnt lgkmcnt(0)
	v_add_co_u32 v5, vcc_lo, s8, v1
	v_add_co_ci_u32_e64 v6, null, s9, v2, vcc_lo
	v_add_co_u32 v1, vcc_lo, s10, v1
	v_add_co_ci_u32_e64 v2, null, s11, v2, vcc_lo
	global_load_dword v15, v[5:6], off
	v_add_co_u32 v3, vcc_lo, v5, 4
	v_add_co_ci_u32_e64 v5, null, 0, v6, vcc_lo
	s_cmp_eq_u64 s[10:11], 0
	s_cselect_b32 vcc_lo, -1, 0
	s_cmp_eq_u32 s1, 1
	v_cndmask_b32_e32 v2, v2, v5, vcc_lo
	v_cndmask_b32_e32 v1, v1, v3, vcc_lo
	global_load_dword v5, v[1:2], off
	s_waitcnt vmcnt(1)
	v_subrev_nc_u32_e32 v0, s18, v15
	v_add_nc_u32_e32 v0, v0, v9
	v_ashrrev_i32_e32 v1, 31, v0
	s_waitcnt vmcnt(0)
	v_subrev_nc_u32_e32 v11, s18, v5
	v_lshlrev_b64 v[2:3], 4, v[0:1]
	v_cmp_lt_i32_e64 s0, v0, v11
	v_add_co_u32 v2, vcc_lo, s14, v2
	v_add_co_ci_u32_e64 v3, null, s15, v3, vcc_lo
	s_cbranch_scc1 .LBB76_25
; %bb.14:
	v_mov_b32_e32 v10, 0
	v_mov_b32_e32 v13, 0
	;; [unrolled: 1-line block ×4, first 2 shown]
	s_and_saveexec_b32 s1, s0
	s_cbranch_execz .LBB76_24
; %bb.15:
	v_add_nc_u32_e32 v1, v15, v9
	v_not_b32_e32 v5, v15
	v_mov_b32_e32 v8, v3
	v_mov_b32_e32 v12, 0
	;; [unrolled: 1-line block ×3, first 2 shown]
	v_subrev_nc_u32_e32 v1, s18, v1
	v_mov_b32_e32 v13, 0
	v_mov_b32_e32 v10, 0
	;; [unrolled: 1-line block ×3, first 2 shown]
	s_mov_b32 s3, exec_lo
	v_add_nc_u32_e32 v1, 8, v1
	v_max_i32_e32 v1, v1, v11
	v_add3_u32 v1, s18, v1, v5
	v_mov_b32_e32 v5, v0
	v_sub_nc_u32_e32 v1, v1, v9
	v_and_b32_e32 v6, 24, v1
	v_cmpx_ne_u32_e32 24, v6
	s_cbranch_execz .LBB76_19
; %bb.16:
	v_lshrrev_b32_e32 v5, 3, v1
	v_mov_b32_e32 v8, v3
	v_mov_b32_e32 v10, 0
	;; [unrolled: 1-line block ×4, first 2 shown]
	v_add_nc_u32_e32 v5, 1, v5
	v_mov_b32_e32 v14, 0
	v_mov_b32_e32 v12, 0
	s_mov_b32 s8, 0
	v_and_b32_e32 v6, 3, v5
	v_mov_b32_e32 v5, v0
	v_sub_nc_u32_e32 v16, 0, v6
.LBB76_17:                              ; =>This Inner Loop Header: Depth=1
	v_ashrrev_i32_e32 v6, 31, v5
	v_add_co_u32 v16, s9, v16, 1
	s_or_b32 s8, s9, s8
	v_lshlrev_b64 v[17:18], 2, v[5:6]
	v_add_nc_u32_e32 v5, 8, v5
	v_add_co_u32 v17, vcc_lo, s12, v17
	v_add_co_ci_u32_e64 v18, null, s13, v18, vcc_lo
	global_load_dword v6, v[17:18], off
	s_waitcnt vmcnt(0)
	v_subrev_nc_u32_e32 v6, s18, v6
	v_lshlrev_b32_e32 v6, 2, v6
	v_ashrrev_i32_e32 v17, 31, v6
	v_add_co_u32 v21, vcc_lo, s6, v6
	v_add_co_ci_u32_e64 v22, null, s7, v17, vcc_lo
	global_load_dwordx4 v[17:20], v[7:8], off
	global_load_dword v6, v[21:22], off
	v_add_co_u32 v7, vcc_lo, 0x80, v7
	v_add_co_ci_u32_e64 v8, null, 0, v8, vcc_lo
	s_waitcnt vmcnt(1)
	v_cvt_f32_i32_sdwa v21, sext(v17) dst_sel:DWORD dst_unused:UNUSED_PAD src0_sel:BYTE_0
	v_cvt_f32_i32_sdwa v24, sext(v18) dst_sel:DWORD dst_unused:UNUSED_PAD src0_sel:BYTE_0
	;; [unrolled: 1-line block ×4, first 2 shown]
	s_waitcnt vmcnt(0)
	v_cvt_f32_i32_sdwa v33, sext(v6) dst_sel:DWORD dst_unused:UNUSED_PAD src0_sel:BYTE_0
	v_cvt_f32_i32_sdwa v22, sext(v17) dst_sel:DWORD dst_unused:UNUSED_PAD src0_sel:BYTE_1
	v_cvt_f32_i32_sdwa v25, sext(v18) dst_sel:DWORD dst_unused:UNUSED_PAD src0_sel:BYTE_1
	;; [unrolled: 1-line block ×5, first 2 shown]
	v_fmac_f32_e32 v12, v21, v33
	v_fmac_f32_e32 v14, v24, v33
	;; [unrolled: 1-line block ×4, first 2 shown]
	v_cvt_f32_i32_sdwa v23, sext(v17) dst_sel:DWORD dst_unused:UNUSED_PAD src0_sel:BYTE_2
	v_cvt_f32_i32_sdwa v26, sext(v18) dst_sel:DWORD dst_unused:UNUSED_PAD src0_sel:BYTE_2
	;; [unrolled: 1-line block ×5, first 2 shown]
	v_fmac_f32_e32 v12, v22, v34
	v_fmac_f32_e32 v14, v25, v34
	;; [unrolled: 1-line block ×4, first 2 shown]
	v_cvt_f32_i32_sdwa v17, sext(v17) dst_sel:DWORD dst_unused:UNUSED_PAD src0_sel:BYTE_3
	v_cvt_f32_i32_sdwa v18, sext(v18) dst_sel:DWORD dst_unused:UNUSED_PAD src0_sel:BYTE_3
	;; [unrolled: 1-line block ×5, first 2 shown]
	v_fmac_f32_e32 v12, v23, v21
	v_fmac_f32_e32 v14, v26, v21
	;; [unrolled: 1-line block ×8, first 2 shown]
	s_andn2_b32 exec_lo, exec_lo, s8
	s_cbranch_execnz .LBB76_17
; %bb.18:
	s_or_b32 exec_lo, exec_lo, s8
.LBB76_19:
	s_or_b32 exec_lo, exec_lo, s3
	s_mov_b32 s3, exec_lo
	v_cmpx_lt_u32_e32 23, v1
	s_cbranch_execz .LBB76_23
; %bb.20:
	s_mov_b32 s8, 0
.LBB76_21:                              ; =>This Inner Loop Header: Depth=1
	v_ashrrev_i32_e32 v6, 31, v5
	v_lshlrev_b64 v[16:17], 2, v[5:6]
	v_add_nc_u32_e32 v5, 32, v5
	v_add_co_u32 v16, vcc_lo, s12, v16
	v_add_co_ci_u32_e64 v17, null, s13, v17, vcc_lo
	s_clause 0x3
	global_load_dword v1, v[16:17], off
	global_load_dword v6, v[16:17], off offset:32
	global_load_dword v32, v[16:17], off offset:64
	;; [unrolled: 1-line block ×3, first 2 shown]
	s_clause 0x3
	global_load_dwordx4 v[16:19], v[7:8], off
	global_load_dwordx4 v[20:23], v[7:8], off offset:128
	global_load_dwordx4 v[24:27], v[7:8], off offset:256
	;; [unrolled: 1-line block ×3, first 2 shown]
	s_waitcnt vmcnt(7)
	v_subrev_nc_u32_e32 v1, s18, v1
	s_waitcnt vmcnt(6)
	v_subrev_nc_u32_e32 v6, s18, v6
	;; [unrolled: 2-line block ×3, first 2 shown]
	s_waitcnt vmcnt(3)
	v_cvt_f32_i32_sdwa v37, sext(v17) dst_sel:DWORD dst_unused:UNUSED_PAD src0_sel:BYTE_0
	v_lshlrev_b32_e32 v1, 2, v1
	v_lshlrev_b32_e32 v6, 2, v6
	v_cvt_f32_i32_sdwa v40, sext(v18) dst_sel:DWORD dst_unused:UNUSED_PAD src0_sel:BYTE_0
	v_cvt_f32_i32_sdwa v43, sext(v19) dst_sel:DWORD dst_unused:UNUSED_PAD src0_sel:BYTE_0
	v_cvt_f32_i32_sdwa v38, sext(v17) dst_sel:DWORD dst_unused:UNUSED_PAD src0_sel:BYTE_1
	v_ashrrev_i32_e32 v33, 31, v1
	v_add_co_u32 v32, vcc_lo, s6, v1
	v_subrev_nc_u32_e32 v1, s18, v34
	v_cvt_f32_i32_sdwa v41, sext(v18) dst_sel:DWORD dst_unused:UNUSED_PAD src0_sel:BYTE_1
	v_add_co_ci_u32_e64 v33, null, s7, v33, vcc_lo
	v_cvt_f32_i32_sdwa v44, sext(v19) dst_sel:DWORD dst_unused:UNUSED_PAD src0_sel:BYTE_1
	v_lshlrev_b32_e32 v1, 2, v1
	v_cvt_f32_i32_sdwa v36, sext(v16) dst_sel:DWORD dst_unused:UNUSED_PAD src0_sel:BYTE_2
	global_load_dword v34, v[32:33], off
	v_ashrrev_i32_e32 v33, 31, v6
	v_add_co_u32 v32, vcc_lo, s6, v6
	v_cvt_f32_i32_sdwa v39, sext(v17) dst_sel:DWORD dst_unused:UNUSED_PAD src0_sel:BYTE_2
	v_cvt_f32_i32_sdwa v42, sext(v18) dst_sel:DWORD dst_unused:UNUSED_PAD src0_sel:BYTE_2
	v_add_co_ci_u32_e64 v33, null, s7, v33, vcc_lo
	v_cvt_f32_i32_sdwa v45, sext(v19) dst_sel:DWORD dst_unused:UNUSED_PAD src0_sel:BYTE_2
	v_cvt_f32_i32_sdwa v17, sext(v17) dst_sel:DWORD dst_unused:UNUSED_PAD src0_sel:BYTE_3
	v_cvt_f32_i32_sdwa v18, sext(v18) dst_sel:DWORD dst_unused:UNUSED_PAD src0_sel:BYTE_3
	global_load_dword v6, v[32:33], off
	v_lshlrev_b32_e32 v32, 2, v35
	v_cvt_f32_i32_sdwa v19, sext(v19) dst_sel:DWORD dst_unused:UNUSED_PAD src0_sel:BYTE_3
	s_waitcnt vmcnt(4)
	v_cvt_f32_i32_sdwa v46, sext(v20) dst_sel:DWORD dst_unused:UNUSED_PAD src0_sel:BYTE_0
	v_cvt_f32_i32_sdwa v49, sext(v21) dst_sel:DWORD dst_unused:UNUSED_PAD src0_sel:BYTE_0
	;; [unrolled: 1-line block ×3, first 2 shown]
	v_ashrrev_i32_e32 v33, 31, v32
	v_add_co_u32 v32, vcc_lo, s6, v32
	v_cvt_f32_i32_sdwa v55, sext(v23) dst_sel:DWORD dst_unused:UNUSED_PAD src0_sel:BYTE_0
	v_cvt_f32_i32_sdwa v47, sext(v20) dst_sel:DWORD dst_unused:UNUSED_PAD src0_sel:BYTE_1
	v_add_co_ci_u32_e64 v33, null, s7, v33, vcc_lo
	v_cvt_f32_i32_sdwa v50, sext(v21) dst_sel:DWORD dst_unused:UNUSED_PAD src0_sel:BYTE_1
	v_cvt_f32_i32_sdwa v53, sext(v22) dst_sel:DWORD dst_unused:UNUSED_PAD src0_sel:BYTE_1
	;; [unrolled: 1-line block ×3, first 2 shown]
	global_load_dword v35, v[32:33], off
	v_ashrrev_i32_e32 v33, 31, v1
	v_add_co_u32 v32, vcc_lo, s6, v1
	v_cvt_f32_i32_sdwa v48, sext(v20) dst_sel:DWORD dst_unused:UNUSED_PAD src0_sel:BYTE_2
	v_cvt_f32_i32_sdwa v51, sext(v21) dst_sel:DWORD dst_unused:UNUSED_PAD src0_sel:BYTE_2
	v_add_co_ci_u32_e64 v33, null, s7, v33, vcc_lo
	v_cvt_f32_i32_sdwa v54, sext(v22) dst_sel:DWORD dst_unused:UNUSED_PAD src0_sel:BYTE_2
	v_cvt_f32_i32_sdwa v57, sext(v23) dst_sel:DWORD dst_unused:UNUSED_PAD src0_sel:BYTE_2
	v_cvt_f32_i32_sdwa v20, sext(v20) dst_sel:DWORD dst_unused:UNUSED_PAD src0_sel:BYTE_3
	global_load_dword v1, v[32:33], off
	v_cvt_f32_i32_sdwa v32, sext(v16) dst_sel:DWORD dst_unused:UNUSED_PAD src0_sel:BYTE_0
	v_cvt_f32_i32_sdwa v33, sext(v16) dst_sel:DWORD dst_unused:UNUSED_PAD src0_sel:BYTE_1
	v_cvt_f32_i32_sdwa v16, sext(v16) dst_sel:DWORD dst_unused:UNUSED_PAD src0_sel:BYTE_3
	v_cvt_f32_i32_sdwa v21, sext(v21) dst_sel:DWORD dst_unused:UNUSED_PAD src0_sel:BYTE_3
	;; [unrolled: 1-line block ×4, first 2 shown]
	s_waitcnt vmcnt(5)
	v_cvt_f32_i32_sdwa v58, sext(v24) dst_sel:DWORD dst_unused:UNUSED_PAD src0_sel:BYTE_0
	v_cvt_f32_i32_sdwa v61, sext(v25) dst_sel:DWORD dst_unused:UNUSED_PAD src0_sel:BYTE_0
	;; [unrolled: 1-line block ×4, first 2 shown]
	v_cvt_f32_i32_sdwa v59, sext(v24) dst_sel:DWORD dst_unused:UNUSED_PAD src0_sel:BYTE_1
	v_cvt_f32_i32_sdwa v62, sext(v25) dst_sel:DWORD dst_unused:UNUSED_PAD src0_sel:BYTE_1
	;; [unrolled: 1-line block ×4, first 2 shown]
	v_cvt_f32_i32_sdwa v60, sext(v24) dst_sel:DWORD dst_unused:UNUSED_PAD src0_sel:BYTE_2
	v_cvt_f32_i32_sdwa v63, sext(v25) dst_sel:DWORD dst_unused:UNUSED_PAD src0_sel:BYTE_2
	;; [unrolled: 1-line block ×4, first 2 shown]
	v_cvt_f32_i32_sdwa v24, sext(v24) dst_sel:DWORD dst_unused:UNUSED_PAD src0_sel:BYTE_3
	v_cvt_f32_i32_sdwa v25, sext(v25) dst_sel:DWORD dst_unused:UNUSED_PAD src0_sel:BYTE_3
	;; [unrolled: 1-line block ×4, first 2 shown]
	s_waitcnt vmcnt(4)
	v_cvt_f32_i32_sdwa v70, sext(v28) dst_sel:DWORD dst_unused:UNUSED_PAD src0_sel:BYTE_0
	v_cvt_f32_i32_sdwa v73, sext(v29) dst_sel:DWORD dst_unused:UNUSED_PAD src0_sel:BYTE_0
	v_cvt_f32_i32_sdwa v76, sext(v30) dst_sel:DWORD dst_unused:UNUSED_PAD src0_sel:BYTE_0
	v_cvt_f32_i32_sdwa v79, sext(v31) dst_sel:DWORD dst_unused:UNUSED_PAD src0_sel:BYTE_0
	v_cvt_f32_i32_sdwa v71, sext(v28) dst_sel:DWORD dst_unused:UNUSED_PAD src0_sel:BYTE_1
	v_cvt_f32_i32_sdwa v74, sext(v29) dst_sel:DWORD dst_unused:UNUSED_PAD src0_sel:BYTE_1
	;; [unrolled: 1-line block ×4, first 2 shown]
	v_cvt_f32_i32_sdwa v72, sext(v28) dst_sel:DWORD dst_unused:UNUSED_PAD src0_sel:BYTE_2
	v_cvt_f32_i32_sdwa v75, sext(v29) dst_sel:DWORD dst_unused:UNUSED_PAD src0_sel:BYTE_2
	;; [unrolled: 1-line block ×4, first 2 shown]
	v_cvt_f32_i32_sdwa v28, sext(v28) dst_sel:DWORD dst_unused:UNUSED_PAD src0_sel:BYTE_3
	v_cvt_f32_i32_sdwa v29, sext(v29) dst_sel:DWORD dst_unused:UNUSED_PAD src0_sel:BYTE_3
	;; [unrolled: 1-line block ×4, first 2 shown]
	v_add_co_u32 v7, vcc_lo, 0x200, v7
	v_add_co_ci_u32_e64 v8, null, 0, v8, vcc_lo
	v_cmp_ge_i32_e32 vcc_lo, v5, v11
	s_or_b32 s8, vcc_lo, s8
	s_waitcnt vmcnt(3)
	v_cvt_f32_i32_sdwa v82, sext(v34) dst_sel:DWORD dst_unused:UNUSED_PAD src0_sel:BYTE_0
	v_cvt_f32_i32_sdwa v83, sext(v34) dst_sel:DWORD dst_unused:UNUSED_PAD src0_sel:BYTE_1
	v_fmac_f32_e32 v12, v32, v82
	v_fmac_f32_e32 v14, v37, v82
	v_fmac_f32_e32 v13, v40, v82
	v_fmac_f32_e32 v10, v43, v82
	v_cvt_f32_i32_sdwa v32, sext(v34) dst_sel:DWORD dst_unused:UNUSED_PAD src0_sel:BYTE_2
	v_fmac_f32_e32 v12, v33, v83
	v_fmac_f32_e32 v14, v38, v83
	v_fmac_f32_e32 v13, v41, v83
	v_fmac_f32_e32 v10, v44, v83
	v_cvt_f32_i32_sdwa v33, sext(v34) dst_sel:DWORD dst_unused:UNUSED_PAD src0_sel:BYTE_3
	v_fmac_f32_e32 v12, v36, v32
	v_fmac_f32_e32 v14, v39, v32
	v_fmac_f32_e32 v13, v42, v32
	v_fmac_f32_e32 v10, v45, v32
	s_waitcnt vmcnt(2)
	v_cvt_f32_i32_sdwa v32, sext(v6) dst_sel:DWORD dst_unused:UNUSED_PAD src0_sel:BYTE_0
	v_fmac_f32_e32 v12, v16, v33
	v_fmac_f32_e32 v14, v17, v33
	v_fmac_f32_e32 v13, v18, v33
	v_fmac_f32_e32 v10, v19, v33
	v_cvt_f32_i32_sdwa v16, sext(v6) dst_sel:DWORD dst_unused:UNUSED_PAD src0_sel:BYTE_1
	v_fmac_f32_e32 v12, v46, v32
	v_fmac_f32_e32 v14, v49, v32
	v_fmac_f32_e32 v13, v52, v32
	v_fmac_f32_e32 v10, v55, v32
	v_cvt_f32_i32_sdwa v17, sext(v6) dst_sel:DWORD dst_unused:UNUSED_PAD src0_sel:BYTE_2
	v_fmac_f32_e32 v12, v47, v16
	v_fmac_f32_e32 v14, v50, v16
	v_fmac_f32_e32 v13, v53, v16
	v_fmac_f32_e32 v10, v56, v16
	v_cvt_f32_i32_sdwa v6, sext(v6) dst_sel:DWORD dst_unused:UNUSED_PAD src0_sel:BYTE_3
	v_fmac_f32_e32 v12, v48, v17
	v_fmac_f32_e32 v14, v51, v17
	v_fmac_f32_e32 v13, v54, v17
	v_fmac_f32_e32 v10, v57, v17
	s_waitcnt vmcnt(1)
	v_cvt_f32_i32_sdwa v16, sext(v35) dst_sel:DWORD dst_unused:UNUSED_PAD src0_sel:BYTE_0
	v_fmac_f32_e32 v12, v20, v6
	v_fmac_f32_e32 v14, v21, v6
	v_fmac_f32_e32 v13, v22, v6
	v_fmac_f32_e32 v10, v23, v6
	;; [unrolled: 21-line block ×3, first 2 shown]
	v_cvt_f32_i32_sdwa v6, sext(v1) dst_sel:DWORD dst_unused:UNUSED_PAD src0_sel:BYTE_1
	v_fmac_f32_e32 v12, v70, v16
	v_fmac_f32_e32 v14, v73, v16
	;; [unrolled: 1-line block ×4, first 2 shown]
	v_cvt_f32_i32_sdwa v16, sext(v1) dst_sel:DWORD dst_unused:UNUSED_PAD src0_sel:BYTE_2
	v_fmac_f32_e32 v12, v71, v6
	v_fmac_f32_e32 v14, v74, v6
	;; [unrolled: 1-line block ×4, first 2 shown]
	v_cvt_f32_i32_sdwa v1, sext(v1) dst_sel:DWORD dst_unused:UNUSED_PAD src0_sel:BYTE_3
	v_fmac_f32_e32 v12, v72, v16
	v_fmac_f32_e32 v14, v75, v16
	;; [unrolled: 1-line block ×8, first 2 shown]
	s_andn2_b32 exec_lo, exec_lo, s8
	s_cbranch_execnz .LBB76_21
; %bb.22:
	s_or_b32 exec_lo, exec_lo, s8
.LBB76_23:
	s_or_b32 exec_lo, exec_lo, s3
.LBB76_24:
	s_or_b32 exec_lo, exec_lo, s1
	s_cbranch_execz .LBB76_26
	s_branch .LBB76_37
.LBB76_25:
                                        ; implicit-def: $vgpr10
                                        ; implicit-def: $vgpr13
                                        ; implicit-def: $vgpr14
                                        ; implicit-def: $vgpr12
.LBB76_26:
	v_mov_b32_e32 v10, 0
	v_mov_b32_e32 v13, 0
	v_mov_b32_e32 v14, 0
	v_mov_b32_e32 v12, 0
	s_and_saveexec_b32 s1, s0
	s_cbranch_execz .LBB76_36
; %bb.27:
	v_add_nc_u32_e32 v1, v15, v9
	v_not_b32_e32 v5, v15
	v_mov_b32_e32 v12, 0
	v_mov_b32_e32 v14, 0
	;; [unrolled: 1-line block ×3, first 2 shown]
	v_subrev_nc_u32_e32 v1, s18, v1
	v_mov_b32_e32 v10, 0
	s_mov_b32 s0, exec_lo
	v_add_nc_u32_e32 v1, 8, v1
	v_max_i32_e32 v1, v1, v11
	v_add3_u32 v1, s18, v1, v5
	v_sub_nc_u32_e32 v5, v1, v9
	v_and_b32_e32 v1, 24, v5
	v_cmpx_ne_u32_e32 24, v1
	s_cbranch_execz .LBB76_31
; %bb.28:
	v_lshrrev_b32_e32 v1, 3, v5
	v_mov_b32_e32 v10, 0
	v_mov_b32_e32 v13, 0
	;; [unrolled: 1-line block ×4, first 2 shown]
	v_add_nc_u32_e32 v1, 1, v1
	s_mov_b32 s3, 0
	v_and_b32_e32 v1, 3, v1
	v_sub_nc_u32_e32 v6, 0, v1
.LBB76_29:                              ; =>This Inner Loop Header: Depth=1
	v_ashrrev_i32_e32 v1, 31, v0
	v_add_co_u32 v6, s8, v6, 1
	s_or_b32 s3, s8, s3
	v_lshlrev_b64 v[7:8], 2, v[0:1]
	v_add_nc_u32_e32 v0, 8, v0
	v_add_co_u32 v7, vcc_lo, s12, v7
	v_add_co_ci_u32_e64 v8, null, s13, v8, vcc_lo
	global_load_dword v1, v[7:8], off
	s_waitcnt vmcnt(0)
	v_subrev_nc_u32_e32 v1, s18, v1
	v_lshlrev_b32_e32 v1, 2, v1
	v_ashrrev_i32_e32 v8, 31, v1
	v_add_co_u32 v7, vcc_lo, s6, v1
	v_add_co_ci_u32_e64 v8, null, s7, v8, vcc_lo
	global_load_dwordx4 v[15:18], v[2:3], off
	global_load_dword v1, v[7:8], off
	v_add_co_u32 v2, vcc_lo, 0x80, v2
	v_add_co_ci_u32_e64 v3, null, 0, v3, vcc_lo
	s_waitcnt vmcnt(1)
	v_cvt_f32_i32_sdwa v7, sext(v15) dst_sel:DWORD dst_unused:UNUSED_PAD src0_sel:BYTE_0
	v_cvt_f32_i32_sdwa v8, sext(v15) dst_sel:DWORD dst_unused:UNUSED_PAD src0_sel:BYTE_1
	v_cvt_f32_i32_sdwa v19, sext(v15) dst_sel:DWORD dst_unused:UNUSED_PAD src0_sel:BYTE_2
	v_cvt_f32_i32_sdwa v15, sext(v15) dst_sel:DWORD dst_unused:UNUSED_PAD src0_sel:BYTE_3
	s_waitcnt vmcnt(0)
	v_cvt_f32_i32_sdwa v29, sext(v1) dst_sel:DWORD dst_unused:UNUSED_PAD src0_sel:BYTE_0
	v_cvt_f32_i32_sdwa v20, sext(v16) dst_sel:DWORD dst_unused:UNUSED_PAD src0_sel:BYTE_0
	v_cvt_f32_i32_sdwa v21, sext(v16) dst_sel:DWORD dst_unused:UNUSED_PAD src0_sel:BYTE_1
	v_cvt_f32_i32_sdwa v22, sext(v16) dst_sel:DWORD dst_unused:UNUSED_PAD src0_sel:BYTE_2
	v_cvt_f32_i32_sdwa v16, sext(v16) dst_sel:DWORD dst_unused:UNUSED_PAD src0_sel:BYTE_3
	v_cvt_f32_i32_sdwa v30, sext(v1) dst_sel:DWORD dst_unused:UNUSED_PAD src0_sel:BYTE_1
	v_fmac_f32_e32 v12, v7, v29
	v_fmac_f32_e32 v14, v8, v29
	;; [unrolled: 1-line block ×4, first 2 shown]
	v_cvt_f32_i32_sdwa v23, sext(v17) dst_sel:DWORD dst_unused:UNUSED_PAD src0_sel:BYTE_0
	v_cvt_f32_i32_sdwa v24, sext(v17) dst_sel:DWORD dst_unused:UNUSED_PAD src0_sel:BYTE_1
	v_cvt_f32_i32_sdwa v25, sext(v17) dst_sel:DWORD dst_unused:UNUSED_PAD src0_sel:BYTE_2
	v_cvt_f32_i32_sdwa v17, sext(v17) dst_sel:DWORD dst_unused:UNUSED_PAD src0_sel:BYTE_3
	v_cvt_f32_i32_sdwa v7, sext(v1) dst_sel:DWORD dst_unused:UNUSED_PAD src0_sel:BYTE_2
	v_fmac_f32_e32 v12, v20, v30
	v_fmac_f32_e32 v14, v21, v30
	;; [unrolled: 1-line block ×4, first 2 shown]
	v_cvt_f32_i32_sdwa v26, sext(v18) dst_sel:DWORD dst_unused:UNUSED_PAD src0_sel:BYTE_0
	v_cvt_f32_i32_sdwa v27, sext(v18) dst_sel:DWORD dst_unused:UNUSED_PAD src0_sel:BYTE_1
	v_cvt_f32_i32_sdwa v28, sext(v18) dst_sel:DWORD dst_unused:UNUSED_PAD src0_sel:BYTE_2
	v_cvt_f32_i32_sdwa v18, sext(v18) dst_sel:DWORD dst_unused:UNUSED_PAD src0_sel:BYTE_3
	v_cvt_f32_i32_sdwa v1, sext(v1) dst_sel:DWORD dst_unused:UNUSED_PAD src0_sel:BYTE_3
	v_fmac_f32_e32 v12, v23, v7
	v_fmac_f32_e32 v14, v24, v7
	;; [unrolled: 1-line block ×8, first 2 shown]
	s_andn2_b32 exec_lo, exec_lo, s3
	s_cbranch_execnz .LBB76_29
; %bb.30:
	s_or_b32 exec_lo, exec_lo, s3
.LBB76_31:
	s_or_b32 exec_lo, exec_lo, s0
	s_mov_b32 s0, exec_lo
	v_cmpx_lt_u32_e32 23, v5
	s_cbranch_execz .LBB76_35
; %bb.32:
	s_mov_b32 s3, 0
.LBB76_33:                              ; =>This Inner Loop Header: Depth=1
	v_ashrrev_i32_e32 v1, 31, v0
	v_lshlrev_b64 v[5:6], 2, v[0:1]
	v_add_nc_u32_e32 v0, 32, v0
	v_add_co_u32 v5, vcc_lo, s12, v5
	v_add_co_ci_u32_e64 v6, null, s13, v6, vcc_lo
	s_clause 0x3
	global_load_dword v1, v[5:6], off
	global_load_dword v27, v[5:6], off offset:32
	global_load_dword v28, v[5:6], off offset:64
	;; [unrolled: 1-line block ×3, first 2 shown]
	s_clause 0x3
	global_load_dwordx4 v[5:8], v[2:3], off
	global_load_dwordx4 v[15:18], v[2:3], off offset:128
	global_load_dwordx4 v[19:22], v[2:3], off offset:256
	;; [unrolled: 1-line block ×3, first 2 shown]
	s_waitcnt vmcnt(7)
	v_subrev_nc_u32_e32 v1, s18, v1
	s_waitcnt vmcnt(6)
	v_subrev_nc_u32_e32 v30, s18, v27
	;; [unrolled: 2-line block ×3, first 2 shown]
	s_waitcnt vmcnt(3)
	v_cvt_f32_i32_sdwa v32, sext(v5) dst_sel:DWORD dst_unused:UNUSED_PAD src0_sel:BYTE_2
	v_lshlrev_b32_e32 v1, 2, v1
	v_cvt_f32_i32_sdwa v33, sext(v6) dst_sel:DWORD dst_unused:UNUSED_PAD src0_sel:BYTE_0
	v_cvt_f32_i32_sdwa v34, sext(v6) dst_sel:DWORD dst_unused:UNUSED_PAD src0_sel:BYTE_1
	v_cvt_f32_i32_sdwa v35, sext(v6) dst_sel:DWORD dst_unused:UNUSED_PAD src0_sel:BYTE_2
	v_cvt_f32_i32_sdwa v6, sext(v6) dst_sel:DWORD dst_unused:UNUSED_PAD src0_sel:BYTE_3
	v_ashrrev_i32_e32 v28, 31, v1
	v_add_co_u32 v27, vcc_lo, s6, v1
	v_subrev_nc_u32_e32 v1, s18, v29
	v_cvt_f32_i32_sdwa v36, sext(v7) dst_sel:DWORD dst_unused:UNUSED_PAD src0_sel:BYTE_0
	v_add_co_ci_u32_e64 v28, null, s7, v28, vcc_lo
	v_cvt_f32_i32_sdwa v37, sext(v7) dst_sel:DWORD dst_unused:UNUSED_PAD src0_sel:BYTE_1
	v_lshlrev_b32_e32 v1, 2, v1
	v_cvt_f32_i32_sdwa v38, sext(v7) dst_sel:DWORD dst_unused:UNUSED_PAD src0_sel:BYTE_2
	global_load_dword v29, v[27:28], off
	v_lshlrev_b32_e32 v27, 2, v30
	v_cvt_f32_i32_sdwa v7, sext(v7) dst_sel:DWORD dst_unused:UNUSED_PAD src0_sel:BYTE_3
	v_cvt_f32_i32_sdwa v39, sext(v8) dst_sel:DWORD dst_unused:UNUSED_PAD src0_sel:BYTE_0
	v_cvt_f32_i32_sdwa v40, sext(v8) dst_sel:DWORD dst_unused:UNUSED_PAD src0_sel:BYTE_1
	v_cvt_f32_i32_sdwa v41, sext(v8) dst_sel:DWORD dst_unused:UNUSED_PAD src0_sel:BYTE_2
	v_ashrrev_i32_e32 v28, 31, v27
	v_add_co_u32 v27, vcc_lo, s6, v27
	v_cvt_f32_i32_sdwa v8, sext(v8) dst_sel:DWORD dst_unused:UNUSED_PAD src0_sel:BYTE_3
	s_waitcnt vmcnt(3)
	v_cvt_f32_i32_sdwa v42, sext(v15) dst_sel:DWORD dst_unused:UNUSED_PAD src0_sel:BYTE_0
	v_add_co_ci_u32_e64 v28, null, s7, v28, vcc_lo
	v_cvt_f32_i32_sdwa v43, sext(v15) dst_sel:DWORD dst_unused:UNUSED_PAD src0_sel:BYTE_1
	v_cvt_f32_i32_sdwa v44, sext(v15) dst_sel:DWORD dst_unused:UNUSED_PAD src0_sel:BYTE_2
	v_cvt_f32_i32_sdwa v15, sext(v15) dst_sel:DWORD dst_unused:UNUSED_PAD src0_sel:BYTE_3
	global_load_dword v30, v[27:28], off
	v_lshlrev_b32_e32 v27, 2, v31
	v_cvt_f32_i32_sdwa v45, sext(v16) dst_sel:DWORD dst_unused:UNUSED_PAD src0_sel:BYTE_0
	v_cvt_f32_i32_sdwa v46, sext(v16) dst_sel:DWORD dst_unused:UNUSED_PAD src0_sel:BYTE_1
	v_cvt_f32_i32_sdwa v47, sext(v16) dst_sel:DWORD dst_unused:UNUSED_PAD src0_sel:BYTE_2
	v_cvt_f32_i32_sdwa v16, sext(v16) dst_sel:DWORD dst_unused:UNUSED_PAD src0_sel:BYTE_3
	v_ashrrev_i32_e32 v28, 31, v27
	v_add_co_u32 v27, vcc_lo, s6, v27
	v_cvt_f32_i32_sdwa v48, sext(v17) dst_sel:DWORD dst_unused:UNUSED_PAD src0_sel:BYTE_0
	v_cvt_f32_i32_sdwa v49, sext(v17) dst_sel:DWORD dst_unused:UNUSED_PAD src0_sel:BYTE_1
	v_add_co_ci_u32_e64 v28, null, s7, v28, vcc_lo
	v_cvt_f32_i32_sdwa v50, sext(v17) dst_sel:DWORD dst_unused:UNUSED_PAD src0_sel:BYTE_2
	v_cvt_f32_i32_sdwa v17, sext(v17) dst_sel:DWORD dst_unused:UNUSED_PAD src0_sel:BYTE_3
	v_cvt_f32_i32_sdwa v51, sext(v18) dst_sel:DWORD dst_unused:UNUSED_PAD src0_sel:BYTE_0
	global_load_dword v31, v[27:28], off
	v_ashrrev_i32_e32 v28, 31, v1
	v_add_co_u32 v27, vcc_lo, s6, v1
	v_cvt_f32_i32_sdwa v52, sext(v18) dst_sel:DWORD dst_unused:UNUSED_PAD src0_sel:BYTE_1
	v_cvt_f32_i32_sdwa v53, sext(v18) dst_sel:DWORD dst_unused:UNUSED_PAD src0_sel:BYTE_2
	v_add_co_ci_u32_e64 v28, null, s7, v28, vcc_lo
	v_cvt_f32_i32_sdwa v18, sext(v18) dst_sel:DWORD dst_unused:UNUSED_PAD src0_sel:BYTE_3
	s_waitcnt vmcnt(4)
	v_cvt_f32_i32_sdwa v54, sext(v19) dst_sel:DWORD dst_unused:UNUSED_PAD src0_sel:BYTE_0
	v_cvt_f32_i32_sdwa v55, sext(v19) dst_sel:DWORD dst_unused:UNUSED_PAD src0_sel:BYTE_1
	global_load_dword v1, v[27:28], off
	v_cvt_f32_i32_sdwa v27, sext(v5) dst_sel:DWORD dst_unused:UNUSED_PAD src0_sel:BYTE_0
	v_cvt_f32_i32_sdwa v28, sext(v5) dst_sel:DWORD dst_unused:UNUSED_PAD src0_sel:BYTE_1
	v_cvt_f32_i32_sdwa v5, sext(v5) dst_sel:DWORD dst_unused:UNUSED_PAD src0_sel:BYTE_3
	v_cvt_f32_i32_sdwa v56, sext(v19) dst_sel:DWORD dst_unused:UNUSED_PAD src0_sel:BYTE_2
	v_cvt_f32_i32_sdwa v19, sext(v19) dst_sel:DWORD dst_unused:UNUSED_PAD src0_sel:BYTE_3
	v_cvt_f32_i32_sdwa v57, sext(v20) dst_sel:DWORD dst_unused:UNUSED_PAD src0_sel:BYTE_0
	v_cvt_f32_i32_sdwa v58, sext(v20) dst_sel:DWORD dst_unused:UNUSED_PAD src0_sel:BYTE_1
	v_cvt_f32_i32_sdwa v59, sext(v20) dst_sel:DWORD dst_unused:UNUSED_PAD src0_sel:BYTE_2
	v_cvt_f32_i32_sdwa v20, sext(v20) dst_sel:DWORD dst_unused:UNUSED_PAD src0_sel:BYTE_3
	v_cvt_f32_i32_sdwa v60, sext(v21) dst_sel:DWORD dst_unused:UNUSED_PAD src0_sel:BYTE_0
	v_cvt_f32_i32_sdwa v61, sext(v21) dst_sel:DWORD dst_unused:UNUSED_PAD src0_sel:BYTE_1
	;; [unrolled: 4-line block ×3, first 2 shown]
	v_cvt_f32_i32_sdwa v65, sext(v22) dst_sel:DWORD dst_unused:UNUSED_PAD src0_sel:BYTE_2
	v_cvt_f32_i32_sdwa v22, sext(v22) dst_sel:DWORD dst_unused:UNUSED_PAD src0_sel:BYTE_3
	s_waitcnt vmcnt(4)
	v_cvt_f32_i32_sdwa v66, sext(v23) dst_sel:DWORD dst_unused:UNUSED_PAD src0_sel:BYTE_0
	v_cvt_f32_i32_sdwa v67, sext(v23) dst_sel:DWORD dst_unused:UNUSED_PAD src0_sel:BYTE_1
	v_cvt_f32_i32_sdwa v68, sext(v23) dst_sel:DWORD dst_unused:UNUSED_PAD src0_sel:BYTE_2
	v_cvt_f32_i32_sdwa v23, sext(v23) dst_sel:DWORD dst_unused:UNUSED_PAD src0_sel:BYTE_3
	v_cvt_f32_i32_sdwa v69, sext(v24) dst_sel:DWORD dst_unused:UNUSED_PAD src0_sel:BYTE_0
	v_cvt_f32_i32_sdwa v70, sext(v24) dst_sel:DWORD dst_unused:UNUSED_PAD src0_sel:BYTE_1
	v_cvt_f32_i32_sdwa v71, sext(v24) dst_sel:DWORD dst_unused:UNUSED_PAD src0_sel:BYTE_2
	v_cvt_f32_i32_sdwa v24, sext(v24) dst_sel:DWORD dst_unused:UNUSED_PAD src0_sel:BYTE_3
	;; [unrolled: 4-line block ×4, first 2 shown]
	v_add_co_u32 v2, vcc_lo, 0x200, v2
	v_add_co_ci_u32_e64 v3, null, 0, v3, vcc_lo
	v_cmp_ge_i32_e32 vcc_lo, v0, v11
	s_or_b32 s3, vcc_lo, s3
	s_waitcnt vmcnt(3)
	v_cvt_f32_i32_sdwa v78, sext(v29) dst_sel:DWORD dst_unused:UNUSED_PAD src0_sel:BYTE_0
	v_cvt_f32_i32_sdwa v79, sext(v29) dst_sel:DWORD dst_unused:UNUSED_PAD src0_sel:BYTE_1
	v_fmac_f32_e32 v12, v27, v78
	v_fmac_f32_e32 v14, v28, v78
	v_fmac_f32_e32 v13, v32, v78
	v_fmac_f32_e32 v10, v5, v78
	v_cvt_f32_i32_sdwa v5, sext(v29) dst_sel:DWORD dst_unused:UNUSED_PAD src0_sel:BYTE_2
	v_fmac_f32_e32 v12, v33, v79
	v_fmac_f32_e32 v14, v34, v79
	v_fmac_f32_e32 v13, v35, v79
	v_fmac_f32_e32 v10, v6, v79
	v_cvt_f32_i32_sdwa v6, sext(v29) dst_sel:DWORD dst_unused:UNUSED_PAD src0_sel:BYTE_3
	v_fmac_f32_e32 v12, v36, v5
	v_fmac_f32_e32 v14, v37, v5
	v_fmac_f32_e32 v13, v38, v5
	v_fmac_f32_e32 v10, v7, v5
	s_waitcnt vmcnt(2)
	v_cvt_f32_i32_sdwa v5, sext(v30) dst_sel:DWORD dst_unused:UNUSED_PAD src0_sel:BYTE_0
	v_fmac_f32_e32 v12, v39, v6
	v_fmac_f32_e32 v14, v40, v6
	v_fmac_f32_e32 v13, v41, v6
	v_fmac_f32_e32 v10, v8, v6
	v_cvt_f32_i32_sdwa v6, sext(v30) dst_sel:DWORD dst_unused:UNUSED_PAD src0_sel:BYTE_1
	v_fmac_f32_e32 v12, v42, v5
	v_fmac_f32_e32 v14, v43, v5
	v_fmac_f32_e32 v13, v44, v5
	v_fmac_f32_e32 v10, v15, v5
	v_cvt_f32_i32_sdwa v5, sext(v30) dst_sel:DWORD dst_unused:UNUSED_PAD src0_sel:BYTE_2
	v_fmac_f32_e32 v12, v45, v6
	v_fmac_f32_e32 v14, v46, v6
	v_fmac_f32_e32 v13, v47, v6
	v_fmac_f32_e32 v10, v16, v6
	v_cvt_f32_i32_sdwa v6, sext(v30) dst_sel:DWORD dst_unused:UNUSED_PAD src0_sel:BYTE_3
	v_fmac_f32_e32 v12, v48, v5
	v_fmac_f32_e32 v14, v49, v5
	v_fmac_f32_e32 v13, v50, v5
	v_fmac_f32_e32 v10, v17, v5
	s_waitcnt vmcnt(1)
	v_cvt_f32_i32_sdwa v5, sext(v31) dst_sel:DWORD dst_unused:UNUSED_PAD src0_sel:BYTE_0
	v_fmac_f32_e32 v12, v51, v6
	v_fmac_f32_e32 v14, v52, v6
	v_fmac_f32_e32 v13, v53, v6
	v_fmac_f32_e32 v10, v18, v6
	;; [unrolled: 21-line block ×3, first 2 shown]
	v_cvt_f32_i32_sdwa v6, sext(v1) dst_sel:DWORD dst_unused:UNUSED_PAD src0_sel:BYTE_1
	v_fmac_f32_e32 v12, v66, v5
	v_fmac_f32_e32 v14, v67, v5
	;; [unrolled: 1-line block ×4, first 2 shown]
	v_cvt_f32_i32_sdwa v5, sext(v1) dst_sel:DWORD dst_unused:UNUSED_PAD src0_sel:BYTE_2
	v_fmac_f32_e32 v12, v69, v6
	v_fmac_f32_e32 v14, v70, v6
	;; [unrolled: 1-line block ×4, first 2 shown]
	v_cvt_f32_i32_sdwa v1, sext(v1) dst_sel:DWORD dst_unused:UNUSED_PAD src0_sel:BYTE_3
	v_fmac_f32_e32 v12, v72, v5
	v_fmac_f32_e32 v14, v73, v5
	;; [unrolled: 1-line block ×8, first 2 shown]
	s_andn2_b32 exec_lo, exec_lo, s3
	s_cbranch_execnz .LBB76_33
; %bb.34:
	s_or_b32 exec_lo, exec_lo, s3
.LBB76_35:
	s_or_b32 exec_lo, exec_lo, s0
.LBB76_36:
	s_or_b32 exec_lo, exec_lo, s1
.LBB76_37:
	v_mbcnt_lo_u32_b32 v0, -1, 0
	s_mov_b32 s3, -1
	v_xor_b32_e32 v1, 4, v0
	v_xor_b32_e32 v6, 2, v0
	;; [unrolled: 1-line block ×3, first 2 shown]
	v_cmp_gt_i32_e32 vcc_lo, 32, v1
	v_cndmask_b32_e32 v1, v0, v1, vcc_lo
	v_cmp_gt_i32_e32 vcc_lo, 32, v6
	v_lshlrev_b32_e32 v1, 2, v1
	v_cndmask_b32_e32 v6, v0, v6, vcc_lo
	v_cmp_gt_i32_e32 vcc_lo, 32, v11
	ds_bpermute_b32 v2, v1, v12
	ds_bpermute_b32 v3, v1, v14
	;; [unrolled: 1-line block ×4, first 2 shown]
	v_lshlrev_b32_e32 v6, 2, v6
	v_cndmask_b32_e32 v0, v0, v11, vcc_lo
	v_cmp_eq_u32_e32 vcc_lo, 7, v9
	v_lshlrev_b32_e32 v11, 2, v0
	s_waitcnt lgkmcnt(3)
	v_add_f32_e32 v2, v12, v2
	s_waitcnt lgkmcnt(2)
	v_add_f32_e32 v3, v14, v3
	;; [unrolled: 2-line block ×4, first 2 shown]
	ds_bpermute_b32 v1, v6, v2
	ds_bpermute_b32 v8, v6, v3
	;; [unrolled: 1-line block ×4, first 2 shown]
	s_waitcnt lgkmcnt(3)
	v_add_f32_e32 v0, v2, v1
	s_waitcnt lgkmcnt(2)
	v_add_f32_e32 v1, v3, v8
	;; [unrolled: 2-line block ×4, first 2 shown]
	ds_bpermute_b32 v5, v11, v0
	ds_bpermute_b32 v6, v11, v1
	;; [unrolled: 1-line block ×4, first 2 shown]
	s_and_b32 exec_lo, exec_lo, vcc_lo
	s_cbranch_execz .LBB76_10
; %bb.38:
	s_load_dwordx2 s[0:1], s[4:5], 0x50
	s_waitcnt lgkmcnt(0)
	v_add_f32_e32 v0, v0, v5
	v_add_f32_e32 v1, v1, v6
	;; [unrolled: 1-line block ×4, first 2 shown]
	v_cmp_eq_f32_e64 s4, s2, 0
	v_mul_f32_e32 v0, s16, v0
	v_mul_f32_e32 v1, s16, v1
	;; [unrolled: 1-line block ×4, first 2 shown]
	v_lshlrev_b32_e32 v4, 2, v4
	s_and_b32 vcc_lo, exec_lo, s4
	s_cbranch_vccz .LBB76_40
; %bb.39:
	v_ashrrev_i32_e32 v5, 31, v4
	s_mov_b32 s3, 0
	v_lshlrev_b64 v[5:6], 2, v[4:5]
	v_add_co_u32 v5, vcc_lo, s0, v5
	v_add_co_ci_u32_e64 v6, null, s1, v6, vcc_lo
	global_store_dwordx4 v[5:6], v[0:3], off
.LBB76_40:
	s_andn2_b32 vcc_lo, exec_lo, s3
	s_cbranch_vccnz .LBB76_10
; %bb.41:
	v_ashrrev_i32_e32 v5, 31, v4
	v_lshlrev_b64 v[4:5], 2, v[4:5]
	v_add_co_u32 v8, vcc_lo, s0, v4
	v_add_co_ci_u32_e64 v9, null, s1, v5, vcc_lo
	global_load_dwordx4 v[4:7], v[8:9], off
	s_waitcnt vmcnt(0)
	v_fmac_f32_e32 v0, s2, v4
	v_fmac_f32_e32 v1, s2, v5
	;; [unrolled: 1-line block ×4, first 2 shown]
	global_store_dwordx4 v[8:9], v[0:3], off
	s_endpgm
	.section	.rodata,"a",@progbits
	.p2align	6, 0x0
	.amdhsa_kernel _ZN9rocsparseL18bsrxmvn_4x4_kernelILj128ELj8EfiiaafEEvT3_20rocsparse_direction_NS_24const_host_device_scalarIT1_EES1_PKS1_PKT2_SA_S7_PKT4_PKT5_S5_PT6_21rocsparse_index_base_b
		.amdhsa_group_segment_fixed_size 0
		.amdhsa_private_segment_fixed_size 0
		.amdhsa_kernarg_size 96
		.amdhsa_user_sgpr_count 6
		.amdhsa_user_sgpr_private_segment_buffer 1
		.amdhsa_user_sgpr_dispatch_ptr 0
		.amdhsa_user_sgpr_queue_ptr 0
		.amdhsa_user_sgpr_kernarg_segment_ptr 1
		.amdhsa_user_sgpr_dispatch_id 0
		.amdhsa_user_sgpr_flat_scratch_init 0
		.amdhsa_user_sgpr_private_segment_size 0
		.amdhsa_wavefront_size32 1
		.amdhsa_uses_dynamic_stack 0
		.amdhsa_system_sgpr_private_segment_wavefront_offset 0
		.amdhsa_system_sgpr_workgroup_id_x 1
		.amdhsa_system_sgpr_workgroup_id_y 0
		.amdhsa_system_sgpr_workgroup_id_z 0
		.amdhsa_system_sgpr_workgroup_info 0
		.amdhsa_system_vgpr_workitem_id 0
		.amdhsa_next_free_vgpr 84
		.amdhsa_next_free_sgpr 20
		.amdhsa_reserve_vcc 1
		.amdhsa_reserve_flat_scratch 0
		.amdhsa_float_round_mode_32 0
		.amdhsa_float_round_mode_16_64 0
		.amdhsa_float_denorm_mode_32 3
		.amdhsa_float_denorm_mode_16_64 3
		.amdhsa_dx10_clamp 1
		.amdhsa_ieee_mode 1
		.amdhsa_fp16_overflow 0
		.amdhsa_workgroup_processor_mode 1
		.amdhsa_memory_ordered 1
		.amdhsa_forward_progress 1
		.amdhsa_shared_vgpr_count 0
		.amdhsa_exception_fp_ieee_invalid_op 0
		.amdhsa_exception_fp_denorm_src 0
		.amdhsa_exception_fp_ieee_div_zero 0
		.amdhsa_exception_fp_ieee_overflow 0
		.amdhsa_exception_fp_ieee_underflow 0
		.amdhsa_exception_fp_ieee_inexact 0
		.amdhsa_exception_int_div_zero 0
	.end_amdhsa_kernel
	.section	.text._ZN9rocsparseL18bsrxmvn_4x4_kernelILj128ELj8EfiiaafEEvT3_20rocsparse_direction_NS_24const_host_device_scalarIT1_EES1_PKS1_PKT2_SA_S7_PKT4_PKT5_S5_PT6_21rocsparse_index_base_b,"axG",@progbits,_ZN9rocsparseL18bsrxmvn_4x4_kernelILj128ELj8EfiiaafEEvT3_20rocsparse_direction_NS_24const_host_device_scalarIT1_EES1_PKS1_PKT2_SA_S7_PKT4_PKT5_S5_PT6_21rocsparse_index_base_b,comdat
.Lfunc_end76:
	.size	_ZN9rocsparseL18bsrxmvn_4x4_kernelILj128ELj8EfiiaafEEvT3_20rocsparse_direction_NS_24const_host_device_scalarIT1_EES1_PKS1_PKT2_SA_S7_PKT4_PKT5_S5_PT6_21rocsparse_index_base_b, .Lfunc_end76-_ZN9rocsparseL18bsrxmvn_4x4_kernelILj128ELj8EfiiaafEEvT3_20rocsparse_direction_NS_24const_host_device_scalarIT1_EES1_PKS1_PKT2_SA_S7_PKT4_PKT5_S5_PT6_21rocsparse_index_base_b
                                        ; -- End function
	.set _ZN9rocsparseL18bsrxmvn_4x4_kernelILj128ELj8EfiiaafEEvT3_20rocsparse_direction_NS_24const_host_device_scalarIT1_EES1_PKS1_PKT2_SA_S7_PKT4_PKT5_S5_PT6_21rocsparse_index_base_b.num_vgpr, 84
	.set _ZN9rocsparseL18bsrxmvn_4x4_kernelILj128ELj8EfiiaafEEvT3_20rocsparse_direction_NS_24const_host_device_scalarIT1_EES1_PKS1_PKT2_SA_S7_PKT4_PKT5_S5_PT6_21rocsparse_index_base_b.num_agpr, 0
	.set _ZN9rocsparseL18bsrxmvn_4x4_kernelILj128ELj8EfiiaafEEvT3_20rocsparse_direction_NS_24const_host_device_scalarIT1_EES1_PKS1_PKT2_SA_S7_PKT4_PKT5_S5_PT6_21rocsparse_index_base_b.numbered_sgpr, 20
	.set _ZN9rocsparseL18bsrxmvn_4x4_kernelILj128ELj8EfiiaafEEvT3_20rocsparse_direction_NS_24const_host_device_scalarIT1_EES1_PKS1_PKT2_SA_S7_PKT4_PKT5_S5_PT6_21rocsparse_index_base_b.num_named_barrier, 0
	.set _ZN9rocsparseL18bsrxmvn_4x4_kernelILj128ELj8EfiiaafEEvT3_20rocsparse_direction_NS_24const_host_device_scalarIT1_EES1_PKS1_PKT2_SA_S7_PKT4_PKT5_S5_PT6_21rocsparse_index_base_b.private_seg_size, 0
	.set _ZN9rocsparseL18bsrxmvn_4x4_kernelILj128ELj8EfiiaafEEvT3_20rocsparse_direction_NS_24const_host_device_scalarIT1_EES1_PKS1_PKT2_SA_S7_PKT4_PKT5_S5_PT6_21rocsparse_index_base_b.uses_vcc, 1
	.set _ZN9rocsparseL18bsrxmvn_4x4_kernelILj128ELj8EfiiaafEEvT3_20rocsparse_direction_NS_24const_host_device_scalarIT1_EES1_PKS1_PKT2_SA_S7_PKT4_PKT5_S5_PT6_21rocsparse_index_base_b.uses_flat_scratch, 0
	.set _ZN9rocsparseL18bsrxmvn_4x4_kernelILj128ELj8EfiiaafEEvT3_20rocsparse_direction_NS_24const_host_device_scalarIT1_EES1_PKS1_PKT2_SA_S7_PKT4_PKT5_S5_PT6_21rocsparse_index_base_b.has_dyn_sized_stack, 0
	.set _ZN9rocsparseL18bsrxmvn_4x4_kernelILj128ELj8EfiiaafEEvT3_20rocsparse_direction_NS_24const_host_device_scalarIT1_EES1_PKS1_PKT2_SA_S7_PKT4_PKT5_S5_PT6_21rocsparse_index_base_b.has_recursion, 0
	.set _ZN9rocsparseL18bsrxmvn_4x4_kernelILj128ELj8EfiiaafEEvT3_20rocsparse_direction_NS_24const_host_device_scalarIT1_EES1_PKS1_PKT2_SA_S7_PKT4_PKT5_S5_PT6_21rocsparse_index_base_b.has_indirect_call, 0
	.section	.AMDGPU.csdata,"",@progbits
; Kernel info:
; codeLenInByte = 4408
; TotalNumSgprs: 22
; NumVgprs: 84
; ScratchSize: 0
; MemoryBound: 0
; FloatMode: 240
; IeeeMode: 1
; LDSByteSize: 0 bytes/workgroup (compile time only)
; SGPRBlocks: 0
; VGPRBlocks: 10
; NumSGPRsForWavesPerEU: 22
; NumVGPRsForWavesPerEU: 84
; Occupancy: 10
; WaveLimiterHint : 1
; COMPUTE_PGM_RSRC2:SCRATCH_EN: 0
; COMPUTE_PGM_RSRC2:USER_SGPR: 6
; COMPUTE_PGM_RSRC2:TRAP_HANDLER: 0
; COMPUTE_PGM_RSRC2:TGID_X_EN: 1
; COMPUTE_PGM_RSRC2:TGID_Y_EN: 0
; COMPUTE_PGM_RSRC2:TGID_Z_EN: 0
; COMPUTE_PGM_RSRC2:TIDIG_COMP_CNT: 0
	.section	.text._ZN9rocsparseL18bsrxmvn_4x4_kernelILj128ELj16EfiiaafEEvT3_20rocsparse_direction_NS_24const_host_device_scalarIT1_EES1_PKS1_PKT2_SA_S7_PKT4_PKT5_S5_PT6_21rocsparse_index_base_b,"axG",@progbits,_ZN9rocsparseL18bsrxmvn_4x4_kernelILj128ELj16EfiiaafEEvT3_20rocsparse_direction_NS_24const_host_device_scalarIT1_EES1_PKS1_PKT2_SA_S7_PKT4_PKT5_S5_PT6_21rocsparse_index_base_b,comdat
	.globl	_ZN9rocsparseL18bsrxmvn_4x4_kernelILj128ELj16EfiiaafEEvT3_20rocsparse_direction_NS_24const_host_device_scalarIT1_EES1_PKS1_PKT2_SA_S7_PKT4_PKT5_S5_PT6_21rocsparse_index_base_b ; -- Begin function _ZN9rocsparseL18bsrxmvn_4x4_kernelILj128ELj16EfiiaafEEvT3_20rocsparse_direction_NS_24const_host_device_scalarIT1_EES1_PKS1_PKT2_SA_S7_PKT4_PKT5_S5_PT6_21rocsparse_index_base_b
	.p2align	8
	.type	_ZN9rocsparseL18bsrxmvn_4x4_kernelILj128ELj16EfiiaafEEvT3_20rocsparse_direction_NS_24const_host_device_scalarIT1_EES1_PKS1_PKT2_SA_S7_PKT4_PKT5_S5_PT6_21rocsparse_index_base_b,@function
_ZN9rocsparseL18bsrxmvn_4x4_kernelILj128ELj16EfiiaafEEvT3_20rocsparse_direction_NS_24const_host_device_scalarIT1_EES1_PKS1_PKT2_SA_S7_PKT4_PKT5_S5_PT6_21rocsparse_index_base_b: ; @_ZN9rocsparseL18bsrxmvn_4x4_kernelILj128ELj16EfiiaafEEvT3_20rocsparse_direction_NS_24const_host_device_scalarIT1_EES1_PKS1_PKT2_SA_S7_PKT4_PKT5_S5_PT6_21rocsparse_index_base_b
; %bb.0:
	s_clause 0x2
	s_load_dwordx2 s[18:19], s[4:5], 0x58
	s_load_dwordx2 s[16:17], s[4:5], 0x8
	;; [unrolled: 1-line block ×3, first 2 shown]
	s_waitcnt lgkmcnt(0)
	s_bitcmp1_b32 s19, 0
	s_cselect_b32 s0, -1, 0
	s_and_b32 vcc_lo, exec_lo, s0
	s_xor_b32 s0, s0, -1
	s_cbranch_vccnz .LBB77_2
; %bb.1:
	s_load_dword s16, s[16:17], 0x0
.LBB77_2:
	s_andn2_b32 vcc_lo, exec_lo, s0
	s_cbranch_vccnz .LBB77_4
; %bb.3:
	s_load_dword s2, s[2:3], 0x0
.LBB77_4:
	s_waitcnt lgkmcnt(0)
	v_cmp_neq_f32_e64 s0, s16, 0
	v_cmp_neq_f32_e64 s1, s2, 1.0
	s_mov_b32 s3, 0
	s_or_b32 s0, s0, s1
	s_andn2_b32 vcc_lo, exec_lo, s0
	s_cbranch_vccnz .LBB77_10
; %bb.5:
	s_clause 0x1
	s_load_dwordx2 s[8:9], s[4:5], 0x18
	s_load_dwordx2 s[0:1], s[4:5], 0x0
	v_lshrrev_b32_e32 v1, 4, v0
	v_lshl_or_b32 v4, s6, 3, v1
	s_waitcnt lgkmcnt(0)
	s_cmp_lg_u64 s[8:9], 0
	s_cbranch_scc0 .LBB77_11
; %bb.6:
	s_load_dword s3, s[4:5], 0x10
	s_mov_b32 s6, 0
                                        ; implicit-def: $vgpr1
	s_waitcnt lgkmcnt(0)
	v_cmp_gt_i32_e32 vcc_lo, s3, v4
	s_mov_b32 s3, 0
	s_and_saveexec_b32 s7, vcc_lo
	s_xor_b32 s7, exec_lo, s7
	s_cbranch_execz .LBB77_8
; %bb.7:
	v_ashrrev_i32_e32 v5, 31, v4
	s_mov_b32 s3, exec_lo
	v_lshlrev_b64 v[1:2], 2, v[4:5]
	v_add_co_u32 v1, vcc_lo, s8, v1
	v_add_co_ci_u32_e64 v2, null, s9, v2, vcc_lo
	global_load_dword v1, v[1:2], off
	s_waitcnt vmcnt(0)
	v_subrev_nc_u32_e32 v1, s18, v1
.LBB77_8:
	s_or_b32 exec_lo, exec_lo, s7
	s_and_b32 vcc_lo, exec_lo, s6
	s_cbranch_vccz .LBB77_12
.LBB77_9:
	v_cmp_gt_i32_e32 vcc_lo, s0, v4
	s_andn2_b32 s0, s3, exec_lo
	s_and_b32 s3, vcc_lo, exec_lo
	s_or_b32 s3, s0, s3
	s_and_saveexec_b32 s0, s3
	s_cbranch_execnz .LBB77_13
.LBB77_10:
	s_endpgm
.LBB77_11:
                                        ; implicit-def: $vgpr1
	s_cbranch_execnz .LBB77_9
.LBB77_12:
	v_mov_b32_e32 v4, v1
	s_and_saveexec_b32 s0, s3
	s_cbranch_execz .LBB77_10
.LBB77_13:
	s_load_dwordx8 s[8:15], s[4:5], 0x20
	v_ashrrev_i32_e32 v5, 31, v4
	v_and_b32_e32 v9, 15, v0
	s_load_dwordx2 s[6:7], s[4:5], 0x40
	v_lshlrev_b64 v[1:2], 2, v[4:5]
	s_waitcnt lgkmcnt(0)
	v_add_co_u32 v5, vcc_lo, s8, v1
	v_add_co_ci_u32_e64 v6, null, s9, v2, vcc_lo
	v_add_co_u32 v1, vcc_lo, s10, v1
	v_add_co_ci_u32_e64 v2, null, s11, v2, vcc_lo
	global_load_dword v15, v[5:6], off
	v_add_co_u32 v3, vcc_lo, v5, 4
	v_add_co_ci_u32_e64 v5, null, 0, v6, vcc_lo
	s_cmp_eq_u64 s[10:11], 0
	s_cselect_b32 vcc_lo, -1, 0
	s_cmp_eq_u32 s1, 1
	v_cndmask_b32_e32 v2, v2, v5, vcc_lo
	v_cndmask_b32_e32 v1, v1, v3, vcc_lo
	global_load_dword v5, v[1:2], off
	s_waitcnt vmcnt(1)
	v_subrev_nc_u32_e32 v0, s18, v15
	v_add_nc_u32_e32 v0, v0, v9
	v_ashrrev_i32_e32 v1, 31, v0
	s_waitcnt vmcnt(0)
	v_subrev_nc_u32_e32 v12, s18, v5
	v_lshlrev_b64 v[2:3], 4, v[0:1]
	v_cmp_lt_i32_e64 s0, v0, v12
	v_add_co_u32 v2, vcc_lo, s14, v2
	v_add_co_ci_u32_e64 v3, null, s15, v3, vcc_lo
	s_cbranch_scc1 .LBB77_25
; %bb.14:
	v_mov_b32_e32 v10, 0
	v_mov_b32_e32 v13, 0
	;; [unrolled: 1-line block ×4, first 2 shown]
	s_and_saveexec_b32 s1, s0
	s_cbranch_execz .LBB77_24
; %bb.15:
	v_add_nc_u32_e32 v1, v15, v9
	v_not_b32_e32 v5, v15
	v_mov_b32_e32 v8, v3
	v_mov_b32_e32 v11, 0
	;; [unrolled: 1-line block ×3, first 2 shown]
	v_subrev_nc_u32_e32 v1, s18, v1
	v_mov_b32_e32 v13, 0
	v_mov_b32_e32 v10, 0
	;; [unrolled: 1-line block ×3, first 2 shown]
	s_mov_b32 s3, exec_lo
	v_add_nc_u32_e32 v1, 16, v1
	v_max_i32_e32 v1, v1, v12
	v_add3_u32 v1, s18, v1, v5
	v_mov_b32_e32 v5, v0
	v_sub_nc_u32_e32 v1, v1, v9
	v_and_b32_e32 v6, 48, v1
	v_cmpx_ne_u32_e32 48, v6
	s_cbranch_execz .LBB77_19
; %bb.16:
	v_lshrrev_b32_e32 v5, 4, v1
	v_mov_b32_e32 v8, v3
	v_mov_b32_e32 v10, 0
	;; [unrolled: 1-line block ×4, first 2 shown]
	v_add_nc_u32_e32 v5, 1, v5
	v_mov_b32_e32 v14, 0
	v_mov_b32_e32 v11, 0
	s_mov_b32 s8, 0
	v_and_b32_e32 v6, 3, v5
	v_mov_b32_e32 v5, v0
	v_sub_nc_u32_e32 v16, 0, v6
.LBB77_17:                              ; =>This Inner Loop Header: Depth=1
	v_ashrrev_i32_e32 v6, 31, v5
	v_add_co_u32 v16, s9, v16, 1
	s_or_b32 s8, s9, s8
	v_lshlrev_b64 v[17:18], 2, v[5:6]
	v_add_nc_u32_e32 v5, 16, v5
	v_add_co_u32 v17, vcc_lo, s12, v17
	v_add_co_ci_u32_e64 v18, null, s13, v18, vcc_lo
	global_load_dword v6, v[17:18], off
	s_waitcnt vmcnt(0)
	v_subrev_nc_u32_e32 v6, s18, v6
	v_lshlrev_b32_e32 v6, 2, v6
	v_ashrrev_i32_e32 v17, 31, v6
	v_add_co_u32 v21, vcc_lo, s6, v6
	v_add_co_ci_u32_e64 v22, null, s7, v17, vcc_lo
	global_load_dwordx4 v[17:20], v[7:8], off
	global_load_dword v6, v[21:22], off
	v_add_co_u32 v7, vcc_lo, 0x100, v7
	v_add_co_ci_u32_e64 v8, null, 0, v8, vcc_lo
	s_waitcnt vmcnt(1)
	v_cvt_f32_i32_sdwa v21, sext(v17) dst_sel:DWORD dst_unused:UNUSED_PAD src0_sel:BYTE_0
	v_cvt_f32_i32_sdwa v24, sext(v18) dst_sel:DWORD dst_unused:UNUSED_PAD src0_sel:BYTE_0
	;; [unrolled: 1-line block ×4, first 2 shown]
	s_waitcnt vmcnt(0)
	v_cvt_f32_i32_sdwa v33, sext(v6) dst_sel:DWORD dst_unused:UNUSED_PAD src0_sel:BYTE_0
	v_cvt_f32_i32_sdwa v22, sext(v17) dst_sel:DWORD dst_unused:UNUSED_PAD src0_sel:BYTE_1
	v_cvt_f32_i32_sdwa v25, sext(v18) dst_sel:DWORD dst_unused:UNUSED_PAD src0_sel:BYTE_1
	;; [unrolled: 1-line block ×5, first 2 shown]
	v_fmac_f32_e32 v11, v21, v33
	v_fmac_f32_e32 v14, v24, v33
	v_fmac_f32_e32 v13, v27, v33
	v_fmac_f32_e32 v10, v30, v33
	v_cvt_f32_i32_sdwa v23, sext(v17) dst_sel:DWORD dst_unused:UNUSED_PAD src0_sel:BYTE_2
	v_cvt_f32_i32_sdwa v26, sext(v18) dst_sel:DWORD dst_unused:UNUSED_PAD src0_sel:BYTE_2
	;; [unrolled: 1-line block ×5, first 2 shown]
	v_fmac_f32_e32 v11, v22, v34
	v_fmac_f32_e32 v14, v25, v34
	;; [unrolled: 1-line block ×4, first 2 shown]
	v_cvt_f32_i32_sdwa v17, sext(v17) dst_sel:DWORD dst_unused:UNUSED_PAD src0_sel:BYTE_3
	v_cvt_f32_i32_sdwa v18, sext(v18) dst_sel:DWORD dst_unused:UNUSED_PAD src0_sel:BYTE_3
	;; [unrolled: 1-line block ×5, first 2 shown]
	v_fmac_f32_e32 v11, v23, v21
	v_fmac_f32_e32 v14, v26, v21
	;; [unrolled: 1-line block ×8, first 2 shown]
	s_andn2_b32 exec_lo, exec_lo, s8
	s_cbranch_execnz .LBB77_17
; %bb.18:
	s_or_b32 exec_lo, exec_lo, s8
.LBB77_19:
	s_or_b32 exec_lo, exec_lo, s3
	s_mov_b32 s3, exec_lo
	v_cmpx_lt_u32_e32 47, v1
	s_cbranch_execz .LBB77_23
; %bb.20:
	s_mov_b32 s8, 0
.LBB77_21:                              ; =>This Inner Loop Header: Depth=1
	v_ashrrev_i32_e32 v6, 31, v5
	v_lshlrev_b64 v[16:17], 2, v[5:6]
	v_add_nc_u32_e32 v5, 64, v5
	v_add_co_u32 v16, vcc_lo, s12, v16
	v_add_co_ci_u32_e64 v17, null, s13, v17, vcc_lo
	s_clause 0x3
	global_load_dword v1, v[16:17], off
	global_load_dword v6, v[16:17], off offset:64
	global_load_dword v32, v[16:17], off offset:128
	;; [unrolled: 1-line block ×3, first 2 shown]
	s_clause 0x3
	global_load_dwordx4 v[16:19], v[7:8], off
	global_load_dwordx4 v[20:23], v[7:8], off offset:256
	global_load_dwordx4 v[24:27], v[7:8], off offset:512
	;; [unrolled: 1-line block ×3, first 2 shown]
	s_waitcnt vmcnt(7)
	v_subrev_nc_u32_e32 v1, s18, v1
	s_waitcnt vmcnt(6)
	v_subrev_nc_u32_e32 v6, s18, v6
	;; [unrolled: 2-line block ×3, first 2 shown]
	s_waitcnt vmcnt(3)
	v_cvt_f32_i32_sdwa v37, sext(v17) dst_sel:DWORD dst_unused:UNUSED_PAD src0_sel:BYTE_0
	v_lshlrev_b32_e32 v1, 2, v1
	v_lshlrev_b32_e32 v6, 2, v6
	v_cvt_f32_i32_sdwa v40, sext(v18) dst_sel:DWORD dst_unused:UNUSED_PAD src0_sel:BYTE_0
	v_cvt_f32_i32_sdwa v43, sext(v19) dst_sel:DWORD dst_unused:UNUSED_PAD src0_sel:BYTE_0
	v_cvt_f32_i32_sdwa v38, sext(v17) dst_sel:DWORD dst_unused:UNUSED_PAD src0_sel:BYTE_1
	v_ashrrev_i32_e32 v33, 31, v1
	v_add_co_u32 v32, vcc_lo, s6, v1
	v_subrev_nc_u32_e32 v1, s18, v34
	v_cvt_f32_i32_sdwa v41, sext(v18) dst_sel:DWORD dst_unused:UNUSED_PAD src0_sel:BYTE_1
	v_add_co_ci_u32_e64 v33, null, s7, v33, vcc_lo
	v_cvt_f32_i32_sdwa v44, sext(v19) dst_sel:DWORD dst_unused:UNUSED_PAD src0_sel:BYTE_1
	v_lshlrev_b32_e32 v1, 2, v1
	v_cvt_f32_i32_sdwa v36, sext(v16) dst_sel:DWORD dst_unused:UNUSED_PAD src0_sel:BYTE_2
	global_load_dword v34, v[32:33], off
	v_ashrrev_i32_e32 v33, 31, v6
	v_add_co_u32 v32, vcc_lo, s6, v6
	v_cvt_f32_i32_sdwa v39, sext(v17) dst_sel:DWORD dst_unused:UNUSED_PAD src0_sel:BYTE_2
	v_cvt_f32_i32_sdwa v42, sext(v18) dst_sel:DWORD dst_unused:UNUSED_PAD src0_sel:BYTE_2
	v_add_co_ci_u32_e64 v33, null, s7, v33, vcc_lo
	v_cvt_f32_i32_sdwa v45, sext(v19) dst_sel:DWORD dst_unused:UNUSED_PAD src0_sel:BYTE_2
	v_cvt_f32_i32_sdwa v17, sext(v17) dst_sel:DWORD dst_unused:UNUSED_PAD src0_sel:BYTE_3
	v_cvt_f32_i32_sdwa v18, sext(v18) dst_sel:DWORD dst_unused:UNUSED_PAD src0_sel:BYTE_3
	global_load_dword v6, v[32:33], off
	v_lshlrev_b32_e32 v32, 2, v35
	v_cvt_f32_i32_sdwa v19, sext(v19) dst_sel:DWORD dst_unused:UNUSED_PAD src0_sel:BYTE_3
	s_waitcnt vmcnt(4)
	v_cvt_f32_i32_sdwa v46, sext(v20) dst_sel:DWORD dst_unused:UNUSED_PAD src0_sel:BYTE_0
	v_cvt_f32_i32_sdwa v49, sext(v21) dst_sel:DWORD dst_unused:UNUSED_PAD src0_sel:BYTE_0
	v_cvt_f32_i32_sdwa v52, sext(v22) dst_sel:DWORD dst_unused:UNUSED_PAD src0_sel:BYTE_0
	v_ashrrev_i32_e32 v33, 31, v32
	v_add_co_u32 v32, vcc_lo, s6, v32
	v_cvt_f32_i32_sdwa v55, sext(v23) dst_sel:DWORD dst_unused:UNUSED_PAD src0_sel:BYTE_0
	v_cvt_f32_i32_sdwa v47, sext(v20) dst_sel:DWORD dst_unused:UNUSED_PAD src0_sel:BYTE_1
	v_add_co_ci_u32_e64 v33, null, s7, v33, vcc_lo
	v_cvt_f32_i32_sdwa v50, sext(v21) dst_sel:DWORD dst_unused:UNUSED_PAD src0_sel:BYTE_1
	v_cvt_f32_i32_sdwa v53, sext(v22) dst_sel:DWORD dst_unused:UNUSED_PAD src0_sel:BYTE_1
	;; [unrolled: 1-line block ×3, first 2 shown]
	global_load_dword v35, v[32:33], off
	v_ashrrev_i32_e32 v33, 31, v1
	v_add_co_u32 v32, vcc_lo, s6, v1
	v_cvt_f32_i32_sdwa v48, sext(v20) dst_sel:DWORD dst_unused:UNUSED_PAD src0_sel:BYTE_2
	v_cvt_f32_i32_sdwa v51, sext(v21) dst_sel:DWORD dst_unused:UNUSED_PAD src0_sel:BYTE_2
	v_add_co_ci_u32_e64 v33, null, s7, v33, vcc_lo
	v_cvt_f32_i32_sdwa v54, sext(v22) dst_sel:DWORD dst_unused:UNUSED_PAD src0_sel:BYTE_2
	v_cvt_f32_i32_sdwa v57, sext(v23) dst_sel:DWORD dst_unused:UNUSED_PAD src0_sel:BYTE_2
	v_cvt_f32_i32_sdwa v20, sext(v20) dst_sel:DWORD dst_unused:UNUSED_PAD src0_sel:BYTE_3
	global_load_dword v1, v[32:33], off
	v_cvt_f32_i32_sdwa v32, sext(v16) dst_sel:DWORD dst_unused:UNUSED_PAD src0_sel:BYTE_0
	v_cvt_f32_i32_sdwa v33, sext(v16) dst_sel:DWORD dst_unused:UNUSED_PAD src0_sel:BYTE_1
	v_cvt_f32_i32_sdwa v16, sext(v16) dst_sel:DWORD dst_unused:UNUSED_PAD src0_sel:BYTE_3
	v_cvt_f32_i32_sdwa v21, sext(v21) dst_sel:DWORD dst_unused:UNUSED_PAD src0_sel:BYTE_3
	;; [unrolled: 1-line block ×4, first 2 shown]
	s_waitcnt vmcnt(5)
	v_cvt_f32_i32_sdwa v58, sext(v24) dst_sel:DWORD dst_unused:UNUSED_PAD src0_sel:BYTE_0
	v_cvt_f32_i32_sdwa v61, sext(v25) dst_sel:DWORD dst_unused:UNUSED_PAD src0_sel:BYTE_0
	;; [unrolled: 1-line block ×4, first 2 shown]
	v_cvt_f32_i32_sdwa v59, sext(v24) dst_sel:DWORD dst_unused:UNUSED_PAD src0_sel:BYTE_1
	v_cvt_f32_i32_sdwa v62, sext(v25) dst_sel:DWORD dst_unused:UNUSED_PAD src0_sel:BYTE_1
	;; [unrolled: 1-line block ×4, first 2 shown]
	v_cvt_f32_i32_sdwa v60, sext(v24) dst_sel:DWORD dst_unused:UNUSED_PAD src0_sel:BYTE_2
	v_cvt_f32_i32_sdwa v63, sext(v25) dst_sel:DWORD dst_unused:UNUSED_PAD src0_sel:BYTE_2
	;; [unrolled: 1-line block ×4, first 2 shown]
	v_cvt_f32_i32_sdwa v24, sext(v24) dst_sel:DWORD dst_unused:UNUSED_PAD src0_sel:BYTE_3
	v_cvt_f32_i32_sdwa v25, sext(v25) dst_sel:DWORD dst_unused:UNUSED_PAD src0_sel:BYTE_3
	;; [unrolled: 1-line block ×4, first 2 shown]
	s_waitcnt vmcnt(4)
	v_cvt_f32_i32_sdwa v70, sext(v28) dst_sel:DWORD dst_unused:UNUSED_PAD src0_sel:BYTE_0
	v_cvt_f32_i32_sdwa v73, sext(v29) dst_sel:DWORD dst_unused:UNUSED_PAD src0_sel:BYTE_0
	;; [unrolled: 1-line block ×4, first 2 shown]
	v_cvt_f32_i32_sdwa v71, sext(v28) dst_sel:DWORD dst_unused:UNUSED_PAD src0_sel:BYTE_1
	v_cvt_f32_i32_sdwa v74, sext(v29) dst_sel:DWORD dst_unused:UNUSED_PAD src0_sel:BYTE_1
	;; [unrolled: 1-line block ×4, first 2 shown]
	v_cvt_f32_i32_sdwa v72, sext(v28) dst_sel:DWORD dst_unused:UNUSED_PAD src0_sel:BYTE_2
	v_cvt_f32_i32_sdwa v75, sext(v29) dst_sel:DWORD dst_unused:UNUSED_PAD src0_sel:BYTE_2
	;; [unrolled: 1-line block ×4, first 2 shown]
	v_cvt_f32_i32_sdwa v28, sext(v28) dst_sel:DWORD dst_unused:UNUSED_PAD src0_sel:BYTE_3
	v_cvt_f32_i32_sdwa v29, sext(v29) dst_sel:DWORD dst_unused:UNUSED_PAD src0_sel:BYTE_3
	;; [unrolled: 1-line block ×4, first 2 shown]
	v_add_co_u32 v7, vcc_lo, 0x400, v7
	v_add_co_ci_u32_e64 v8, null, 0, v8, vcc_lo
	v_cmp_ge_i32_e32 vcc_lo, v5, v12
	s_or_b32 s8, vcc_lo, s8
	s_waitcnt vmcnt(3)
	v_cvt_f32_i32_sdwa v82, sext(v34) dst_sel:DWORD dst_unused:UNUSED_PAD src0_sel:BYTE_0
	v_cvt_f32_i32_sdwa v83, sext(v34) dst_sel:DWORD dst_unused:UNUSED_PAD src0_sel:BYTE_1
	v_fmac_f32_e32 v11, v32, v82
	v_fmac_f32_e32 v14, v37, v82
	v_fmac_f32_e32 v13, v40, v82
	v_fmac_f32_e32 v10, v43, v82
	v_cvt_f32_i32_sdwa v32, sext(v34) dst_sel:DWORD dst_unused:UNUSED_PAD src0_sel:BYTE_2
	v_fmac_f32_e32 v11, v33, v83
	v_fmac_f32_e32 v14, v38, v83
	v_fmac_f32_e32 v13, v41, v83
	v_fmac_f32_e32 v10, v44, v83
	v_cvt_f32_i32_sdwa v33, sext(v34) dst_sel:DWORD dst_unused:UNUSED_PAD src0_sel:BYTE_3
	v_fmac_f32_e32 v11, v36, v32
	v_fmac_f32_e32 v14, v39, v32
	v_fmac_f32_e32 v13, v42, v32
	v_fmac_f32_e32 v10, v45, v32
	s_waitcnt vmcnt(2)
	v_cvt_f32_i32_sdwa v32, sext(v6) dst_sel:DWORD dst_unused:UNUSED_PAD src0_sel:BYTE_0
	v_fmac_f32_e32 v11, v16, v33
	v_fmac_f32_e32 v14, v17, v33
	v_fmac_f32_e32 v13, v18, v33
	v_fmac_f32_e32 v10, v19, v33
	v_cvt_f32_i32_sdwa v16, sext(v6) dst_sel:DWORD dst_unused:UNUSED_PAD src0_sel:BYTE_1
	v_fmac_f32_e32 v11, v46, v32
	v_fmac_f32_e32 v14, v49, v32
	v_fmac_f32_e32 v13, v52, v32
	v_fmac_f32_e32 v10, v55, v32
	v_cvt_f32_i32_sdwa v17, sext(v6) dst_sel:DWORD dst_unused:UNUSED_PAD src0_sel:BYTE_2
	v_fmac_f32_e32 v11, v47, v16
	v_fmac_f32_e32 v14, v50, v16
	v_fmac_f32_e32 v13, v53, v16
	v_fmac_f32_e32 v10, v56, v16
	v_cvt_f32_i32_sdwa v6, sext(v6) dst_sel:DWORD dst_unused:UNUSED_PAD src0_sel:BYTE_3
	v_fmac_f32_e32 v11, v48, v17
	v_fmac_f32_e32 v14, v51, v17
	v_fmac_f32_e32 v13, v54, v17
	v_fmac_f32_e32 v10, v57, v17
	s_waitcnt vmcnt(1)
	v_cvt_f32_i32_sdwa v16, sext(v35) dst_sel:DWORD dst_unused:UNUSED_PAD src0_sel:BYTE_0
	v_fmac_f32_e32 v11, v20, v6
	v_fmac_f32_e32 v14, v21, v6
	v_fmac_f32_e32 v13, v22, v6
	v_fmac_f32_e32 v10, v23, v6
	;; [unrolled: 21-line block ×3, first 2 shown]
	v_cvt_f32_i32_sdwa v6, sext(v1) dst_sel:DWORD dst_unused:UNUSED_PAD src0_sel:BYTE_1
	v_fmac_f32_e32 v11, v70, v16
	v_fmac_f32_e32 v14, v73, v16
	;; [unrolled: 1-line block ×4, first 2 shown]
	v_cvt_f32_i32_sdwa v16, sext(v1) dst_sel:DWORD dst_unused:UNUSED_PAD src0_sel:BYTE_2
	v_fmac_f32_e32 v11, v71, v6
	v_fmac_f32_e32 v14, v74, v6
	;; [unrolled: 1-line block ×4, first 2 shown]
	v_cvt_f32_i32_sdwa v1, sext(v1) dst_sel:DWORD dst_unused:UNUSED_PAD src0_sel:BYTE_3
	v_fmac_f32_e32 v11, v72, v16
	v_fmac_f32_e32 v14, v75, v16
	;; [unrolled: 1-line block ×8, first 2 shown]
	s_andn2_b32 exec_lo, exec_lo, s8
	s_cbranch_execnz .LBB77_21
; %bb.22:
	s_or_b32 exec_lo, exec_lo, s8
.LBB77_23:
	s_or_b32 exec_lo, exec_lo, s3
.LBB77_24:
	s_or_b32 exec_lo, exec_lo, s1
	s_cbranch_execz .LBB77_26
	s_branch .LBB77_37
.LBB77_25:
                                        ; implicit-def: $vgpr10
                                        ; implicit-def: $vgpr13
                                        ; implicit-def: $vgpr14
                                        ; implicit-def: $vgpr11
.LBB77_26:
	v_mov_b32_e32 v10, 0
	v_mov_b32_e32 v13, 0
	;; [unrolled: 1-line block ×4, first 2 shown]
	s_and_saveexec_b32 s1, s0
	s_cbranch_execz .LBB77_36
; %bb.27:
	v_add_nc_u32_e32 v1, v15, v9
	v_not_b32_e32 v5, v15
	v_mov_b32_e32 v11, 0
	v_mov_b32_e32 v14, 0
	v_mov_b32_e32 v13, 0
	v_subrev_nc_u32_e32 v1, s18, v1
	v_mov_b32_e32 v10, 0
	s_mov_b32 s0, exec_lo
	v_add_nc_u32_e32 v1, 16, v1
	v_max_i32_e32 v1, v1, v12
	v_add3_u32 v1, s18, v1, v5
	v_sub_nc_u32_e32 v5, v1, v9
	v_and_b32_e32 v1, 48, v5
	v_cmpx_ne_u32_e32 48, v1
	s_cbranch_execz .LBB77_31
; %bb.28:
	v_lshrrev_b32_e32 v1, 4, v5
	v_mov_b32_e32 v10, 0
	v_mov_b32_e32 v13, 0
	;; [unrolled: 1-line block ×4, first 2 shown]
	v_add_nc_u32_e32 v1, 1, v1
	s_mov_b32 s3, 0
	v_and_b32_e32 v1, 3, v1
	v_sub_nc_u32_e32 v6, 0, v1
.LBB77_29:                              ; =>This Inner Loop Header: Depth=1
	v_ashrrev_i32_e32 v1, 31, v0
	v_add_co_u32 v6, s8, v6, 1
	s_or_b32 s3, s8, s3
	v_lshlrev_b64 v[7:8], 2, v[0:1]
	v_add_nc_u32_e32 v0, 16, v0
	v_add_co_u32 v7, vcc_lo, s12, v7
	v_add_co_ci_u32_e64 v8, null, s13, v8, vcc_lo
	global_load_dword v1, v[7:8], off
	s_waitcnt vmcnt(0)
	v_subrev_nc_u32_e32 v1, s18, v1
	v_lshlrev_b32_e32 v1, 2, v1
	v_ashrrev_i32_e32 v8, 31, v1
	v_add_co_u32 v7, vcc_lo, s6, v1
	v_add_co_ci_u32_e64 v8, null, s7, v8, vcc_lo
	global_load_dwordx4 v[15:18], v[2:3], off
	global_load_dword v1, v[7:8], off
	v_add_co_u32 v2, vcc_lo, 0x100, v2
	v_add_co_ci_u32_e64 v3, null, 0, v3, vcc_lo
	s_waitcnt vmcnt(1)
	v_cvt_f32_i32_sdwa v7, sext(v15) dst_sel:DWORD dst_unused:UNUSED_PAD src0_sel:BYTE_0
	v_cvt_f32_i32_sdwa v8, sext(v15) dst_sel:DWORD dst_unused:UNUSED_PAD src0_sel:BYTE_1
	v_cvt_f32_i32_sdwa v19, sext(v15) dst_sel:DWORD dst_unused:UNUSED_PAD src0_sel:BYTE_2
	v_cvt_f32_i32_sdwa v15, sext(v15) dst_sel:DWORD dst_unused:UNUSED_PAD src0_sel:BYTE_3
	s_waitcnt vmcnt(0)
	v_cvt_f32_i32_sdwa v29, sext(v1) dst_sel:DWORD dst_unused:UNUSED_PAD src0_sel:BYTE_0
	v_cvt_f32_i32_sdwa v20, sext(v16) dst_sel:DWORD dst_unused:UNUSED_PAD src0_sel:BYTE_0
	v_cvt_f32_i32_sdwa v21, sext(v16) dst_sel:DWORD dst_unused:UNUSED_PAD src0_sel:BYTE_1
	v_cvt_f32_i32_sdwa v22, sext(v16) dst_sel:DWORD dst_unused:UNUSED_PAD src0_sel:BYTE_2
	v_cvt_f32_i32_sdwa v16, sext(v16) dst_sel:DWORD dst_unused:UNUSED_PAD src0_sel:BYTE_3
	v_cvt_f32_i32_sdwa v30, sext(v1) dst_sel:DWORD dst_unused:UNUSED_PAD src0_sel:BYTE_1
	v_fmac_f32_e32 v11, v7, v29
	v_fmac_f32_e32 v14, v8, v29
	;; [unrolled: 1-line block ×4, first 2 shown]
	v_cvt_f32_i32_sdwa v23, sext(v17) dst_sel:DWORD dst_unused:UNUSED_PAD src0_sel:BYTE_0
	v_cvt_f32_i32_sdwa v24, sext(v17) dst_sel:DWORD dst_unused:UNUSED_PAD src0_sel:BYTE_1
	v_cvt_f32_i32_sdwa v25, sext(v17) dst_sel:DWORD dst_unused:UNUSED_PAD src0_sel:BYTE_2
	v_cvt_f32_i32_sdwa v17, sext(v17) dst_sel:DWORD dst_unused:UNUSED_PAD src0_sel:BYTE_3
	v_cvt_f32_i32_sdwa v7, sext(v1) dst_sel:DWORD dst_unused:UNUSED_PAD src0_sel:BYTE_2
	v_fmac_f32_e32 v11, v20, v30
	v_fmac_f32_e32 v14, v21, v30
	;; [unrolled: 1-line block ×4, first 2 shown]
	v_cvt_f32_i32_sdwa v26, sext(v18) dst_sel:DWORD dst_unused:UNUSED_PAD src0_sel:BYTE_0
	v_cvt_f32_i32_sdwa v27, sext(v18) dst_sel:DWORD dst_unused:UNUSED_PAD src0_sel:BYTE_1
	v_cvt_f32_i32_sdwa v28, sext(v18) dst_sel:DWORD dst_unused:UNUSED_PAD src0_sel:BYTE_2
	v_cvt_f32_i32_sdwa v18, sext(v18) dst_sel:DWORD dst_unused:UNUSED_PAD src0_sel:BYTE_3
	v_cvt_f32_i32_sdwa v1, sext(v1) dst_sel:DWORD dst_unused:UNUSED_PAD src0_sel:BYTE_3
	v_fmac_f32_e32 v11, v23, v7
	v_fmac_f32_e32 v14, v24, v7
	;; [unrolled: 1-line block ×8, first 2 shown]
	s_andn2_b32 exec_lo, exec_lo, s3
	s_cbranch_execnz .LBB77_29
; %bb.30:
	s_or_b32 exec_lo, exec_lo, s3
.LBB77_31:
	s_or_b32 exec_lo, exec_lo, s0
	s_mov_b32 s0, exec_lo
	v_cmpx_lt_u32_e32 47, v5
	s_cbranch_execz .LBB77_35
; %bb.32:
	s_mov_b32 s3, 0
.LBB77_33:                              ; =>This Inner Loop Header: Depth=1
	v_ashrrev_i32_e32 v1, 31, v0
	v_lshlrev_b64 v[5:6], 2, v[0:1]
	v_add_nc_u32_e32 v0, 64, v0
	v_add_co_u32 v5, vcc_lo, s12, v5
	v_add_co_ci_u32_e64 v6, null, s13, v6, vcc_lo
	s_clause 0x3
	global_load_dword v1, v[5:6], off
	global_load_dword v27, v[5:6], off offset:64
	global_load_dword v28, v[5:6], off offset:128
	;; [unrolled: 1-line block ×3, first 2 shown]
	s_clause 0x3
	global_load_dwordx4 v[5:8], v[2:3], off
	global_load_dwordx4 v[15:18], v[2:3], off offset:256
	global_load_dwordx4 v[19:22], v[2:3], off offset:512
	;; [unrolled: 1-line block ×3, first 2 shown]
	s_waitcnt vmcnt(7)
	v_subrev_nc_u32_e32 v1, s18, v1
	s_waitcnt vmcnt(6)
	v_subrev_nc_u32_e32 v30, s18, v27
	;; [unrolled: 2-line block ×3, first 2 shown]
	s_waitcnt vmcnt(3)
	v_cvt_f32_i32_sdwa v32, sext(v5) dst_sel:DWORD dst_unused:UNUSED_PAD src0_sel:BYTE_2
	v_lshlrev_b32_e32 v1, 2, v1
	v_cvt_f32_i32_sdwa v33, sext(v6) dst_sel:DWORD dst_unused:UNUSED_PAD src0_sel:BYTE_0
	v_cvt_f32_i32_sdwa v34, sext(v6) dst_sel:DWORD dst_unused:UNUSED_PAD src0_sel:BYTE_1
	v_cvt_f32_i32_sdwa v35, sext(v6) dst_sel:DWORD dst_unused:UNUSED_PAD src0_sel:BYTE_2
	v_cvt_f32_i32_sdwa v6, sext(v6) dst_sel:DWORD dst_unused:UNUSED_PAD src0_sel:BYTE_3
	v_ashrrev_i32_e32 v28, 31, v1
	v_add_co_u32 v27, vcc_lo, s6, v1
	v_subrev_nc_u32_e32 v1, s18, v29
	v_cvt_f32_i32_sdwa v36, sext(v7) dst_sel:DWORD dst_unused:UNUSED_PAD src0_sel:BYTE_0
	v_add_co_ci_u32_e64 v28, null, s7, v28, vcc_lo
	v_cvt_f32_i32_sdwa v37, sext(v7) dst_sel:DWORD dst_unused:UNUSED_PAD src0_sel:BYTE_1
	v_lshlrev_b32_e32 v1, 2, v1
	v_cvt_f32_i32_sdwa v38, sext(v7) dst_sel:DWORD dst_unused:UNUSED_PAD src0_sel:BYTE_2
	global_load_dword v29, v[27:28], off
	v_lshlrev_b32_e32 v27, 2, v30
	v_cvt_f32_i32_sdwa v7, sext(v7) dst_sel:DWORD dst_unused:UNUSED_PAD src0_sel:BYTE_3
	v_cvt_f32_i32_sdwa v39, sext(v8) dst_sel:DWORD dst_unused:UNUSED_PAD src0_sel:BYTE_0
	v_cvt_f32_i32_sdwa v40, sext(v8) dst_sel:DWORD dst_unused:UNUSED_PAD src0_sel:BYTE_1
	v_cvt_f32_i32_sdwa v41, sext(v8) dst_sel:DWORD dst_unused:UNUSED_PAD src0_sel:BYTE_2
	v_ashrrev_i32_e32 v28, 31, v27
	v_add_co_u32 v27, vcc_lo, s6, v27
	v_cvt_f32_i32_sdwa v8, sext(v8) dst_sel:DWORD dst_unused:UNUSED_PAD src0_sel:BYTE_3
	s_waitcnt vmcnt(3)
	v_cvt_f32_i32_sdwa v42, sext(v15) dst_sel:DWORD dst_unused:UNUSED_PAD src0_sel:BYTE_0
	v_add_co_ci_u32_e64 v28, null, s7, v28, vcc_lo
	v_cvt_f32_i32_sdwa v43, sext(v15) dst_sel:DWORD dst_unused:UNUSED_PAD src0_sel:BYTE_1
	v_cvt_f32_i32_sdwa v44, sext(v15) dst_sel:DWORD dst_unused:UNUSED_PAD src0_sel:BYTE_2
	v_cvt_f32_i32_sdwa v15, sext(v15) dst_sel:DWORD dst_unused:UNUSED_PAD src0_sel:BYTE_3
	global_load_dword v30, v[27:28], off
	v_lshlrev_b32_e32 v27, 2, v31
	v_cvt_f32_i32_sdwa v45, sext(v16) dst_sel:DWORD dst_unused:UNUSED_PAD src0_sel:BYTE_0
	v_cvt_f32_i32_sdwa v46, sext(v16) dst_sel:DWORD dst_unused:UNUSED_PAD src0_sel:BYTE_1
	v_cvt_f32_i32_sdwa v47, sext(v16) dst_sel:DWORD dst_unused:UNUSED_PAD src0_sel:BYTE_2
	v_cvt_f32_i32_sdwa v16, sext(v16) dst_sel:DWORD dst_unused:UNUSED_PAD src0_sel:BYTE_3
	v_ashrrev_i32_e32 v28, 31, v27
	v_add_co_u32 v27, vcc_lo, s6, v27
	v_cvt_f32_i32_sdwa v48, sext(v17) dst_sel:DWORD dst_unused:UNUSED_PAD src0_sel:BYTE_0
	v_cvt_f32_i32_sdwa v49, sext(v17) dst_sel:DWORD dst_unused:UNUSED_PAD src0_sel:BYTE_1
	v_add_co_ci_u32_e64 v28, null, s7, v28, vcc_lo
	v_cvt_f32_i32_sdwa v50, sext(v17) dst_sel:DWORD dst_unused:UNUSED_PAD src0_sel:BYTE_2
	v_cvt_f32_i32_sdwa v17, sext(v17) dst_sel:DWORD dst_unused:UNUSED_PAD src0_sel:BYTE_3
	v_cvt_f32_i32_sdwa v51, sext(v18) dst_sel:DWORD dst_unused:UNUSED_PAD src0_sel:BYTE_0
	global_load_dword v31, v[27:28], off
	v_ashrrev_i32_e32 v28, 31, v1
	v_add_co_u32 v27, vcc_lo, s6, v1
	v_cvt_f32_i32_sdwa v52, sext(v18) dst_sel:DWORD dst_unused:UNUSED_PAD src0_sel:BYTE_1
	v_cvt_f32_i32_sdwa v53, sext(v18) dst_sel:DWORD dst_unused:UNUSED_PAD src0_sel:BYTE_2
	v_add_co_ci_u32_e64 v28, null, s7, v28, vcc_lo
	v_cvt_f32_i32_sdwa v18, sext(v18) dst_sel:DWORD dst_unused:UNUSED_PAD src0_sel:BYTE_3
	s_waitcnt vmcnt(4)
	v_cvt_f32_i32_sdwa v54, sext(v19) dst_sel:DWORD dst_unused:UNUSED_PAD src0_sel:BYTE_0
	v_cvt_f32_i32_sdwa v55, sext(v19) dst_sel:DWORD dst_unused:UNUSED_PAD src0_sel:BYTE_1
	global_load_dword v1, v[27:28], off
	v_cvt_f32_i32_sdwa v27, sext(v5) dst_sel:DWORD dst_unused:UNUSED_PAD src0_sel:BYTE_0
	v_cvt_f32_i32_sdwa v28, sext(v5) dst_sel:DWORD dst_unused:UNUSED_PAD src0_sel:BYTE_1
	v_cvt_f32_i32_sdwa v5, sext(v5) dst_sel:DWORD dst_unused:UNUSED_PAD src0_sel:BYTE_3
	v_cvt_f32_i32_sdwa v56, sext(v19) dst_sel:DWORD dst_unused:UNUSED_PAD src0_sel:BYTE_2
	v_cvt_f32_i32_sdwa v19, sext(v19) dst_sel:DWORD dst_unused:UNUSED_PAD src0_sel:BYTE_3
	v_cvt_f32_i32_sdwa v57, sext(v20) dst_sel:DWORD dst_unused:UNUSED_PAD src0_sel:BYTE_0
	v_cvt_f32_i32_sdwa v58, sext(v20) dst_sel:DWORD dst_unused:UNUSED_PAD src0_sel:BYTE_1
	v_cvt_f32_i32_sdwa v59, sext(v20) dst_sel:DWORD dst_unused:UNUSED_PAD src0_sel:BYTE_2
	v_cvt_f32_i32_sdwa v20, sext(v20) dst_sel:DWORD dst_unused:UNUSED_PAD src0_sel:BYTE_3
	v_cvt_f32_i32_sdwa v60, sext(v21) dst_sel:DWORD dst_unused:UNUSED_PAD src0_sel:BYTE_0
	v_cvt_f32_i32_sdwa v61, sext(v21) dst_sel:DWORD dst_unused:UNUSED_PAD src0_sel:BYTE_1
	;; [unrolled: 4-line block ×3, first 2 shown]
	v_cvt_f32_i32_sdwa v65, sext(v22) dst_sel:DWORD dst_unused:UNUSED_PAD src0_sel:BYTE_2
	v_cvt_f32_i32_sdwa v22, sext(v22) dst_sel:DWORD dst_unused:UNUSED_PAD src0_sel:BYTE_3
	s_waitcnt vmcnt(4)
	v_cvt_f32_i32_sdwa v66, sext(v23) dst_sel:DWORD dst_unused:UNUSED_PAD src0_sel:BYTE_0
	v_cvt_f32_i32_sdwa v67, sext(v23) dst_sel:DWORD dst_unused:UNUSED_PAD src0_sel:BYTE_1
	v_cvt_f32_i32_sdwa v68, sext(v23) dst_sel:DWORD dst_unused:UNUSED_PAD src0_sel:BYTE_2
	v_cvt_f32_i32_sdwa v23, sext(v23) dst_sel:DWORD dst_unused:UNUSED_PAD src0_sel:BYTE_3
	v_cvt_f32_i32_sdwa v69, sext(v24) dst_sel:DWORD dst_unused:UNUSED_PAD src0_sel:BYTE_0
	v_cvt_f32_i32_sdwa v70, sext(v24) dst_sel:DWORD dst_unused:UNUSED_PAD src0_sel:BYTE_1
	v_cvt_f32_i32_sdwa v71, sext(v24) dst_sel:DWORD dst_unused:UNUSED_PAD src0_sel:BYTE_2
	v_cvt_f32_i32_sdwa v24, sext(v24) dst_sel:DWORD dst_unused:UNUSED_PAD src0_sel:BYTE_3
	;; [unrolled: 4-line block ×4, first 2 shown]
	v_add_co_u32 v2, vcc_lo, 0x400, v2
	v_add_co_ci_u32_e64 v3, null, 0, v3, vcc_lo
	v_cmp_ge_i32_e32 vcc_lo, v0, v12
	s_or_b32 s3, vcc_lo, s3
	s_waitcnt vmcnt(3)
	v_cvt_f32_i32_sdwa v78, sext(v29) dst_sel:DWORD dst_unused:UNUSED_PAD src0_sel:BYTE_0
	v_cvt_f32_i32_sdwa v79, sext(v29) dst_sel:DWORD dst_unused:UNUSED_PAD src0_sel:BYTE_1
	v_fmac_f32_e32 v11, v27, v78
	v_fmac_f32_e32 v14, v28, v78
	v_fmac_f32_e32 v13, v32, v78
	v_fmac_f32_e32 v10, v5, v78
	v_cvt_f32_i32_sdwa v5, sext(v29) dst_sel:DWORD dst_unused:UNUSED_PAD src0_sel:BYTE_2
	v_fmac_f32_e32 v11, v33, v79
	v_fmac_f32_e32 v14, v34, v79
	v_fmac_f32_e32 v13, v35, v79
	v_fmac_f32_e32 v10, v6, v79
	v_cvt_f32_i32_sdwa v6, sext(v29) dst_sel:DWORD dst_unused:UNUSED_PAD src0_sel:BYTE_3
	v_fmac_f32_e32 v11, v36, v5
	v_fmac_f32_e32 v14, v37, v5
	v_fmac_f32_e32 v13, v38, v5
	v_fmac_f32_e32 v10, v7, v5
	s_waitcnt vmcnt(2)
	v_cvt_f32_i32_sdwa v5, sext(v30) dst_sel:DWORD dst_unused:UNUSED_PAD src0_sel:BYTE_0
	v_fmac_f32_e32 v11, v39, v6
	v_fmac_f32_e32 v14, v40, v6
	v_fmac_f32_e32 v13, v41, v6
	v_fmac_f32_e32 v10, v8, v6
	v_cvt_f32_i32_sdwa v6, sext(v30) dst_sel:DWORD dst_unused:UNUSED_PAD src0_sel:BYTE_1
	v_fmac_f32_e32 v11, v42, v5
	v_fmac_f32_e32 v14, v43, v5
	v_fmac_f32_e32 v13, v44, v5
	v_fmac_f32_e32 v10, v15, v5
	v_cvt_f32_i32_sdwa v5, sext(v30) dst_sel:DWORD dst_unused:UNUSED_PAD src0_sel:BYTE_2
	v_fmac_f32_e32 v11, v45, v6
	v_fmac_f32_e32 v14, v46, v6
	v_fmac_f32_e32 v13, v47, v6
	v_fmac_f32_e32 v10, v16, v6
	v_cvt_f32_i32_sdwa v6, sext(v30) dst_sel:DWORD dst_unused:UNUSED_PAD src0_sel:BYTE_3
	v_fmac_f32_e32 v11, v48, v5
	v_fmac_f32_e32 v14, v49, v5
	v_fmac_f32_e32 v13, v50, v5
	v_fmac_f32_e32 v10, v17, v5
	s_waitcnt vmcnt(1)
	v_cvt_f32_i32_sdwa v5, sext(v31) dst_sel:DWORD dst_unused:UNUSED_PAD src0_sel:BYTE_0
	v_fmac_f32_e32 v11, v51, v6
	v_fmac_f32_e32 v14, v52, v6
	v_fmac_f32_e32 v13, v53, v6
	v_fmac_f32_e32 v10, v18, v6
	;; [unrolled: 21-line block ×3, first 2 shown]
	v_cvt_f32_i32_sdwa v6, sext(v1) dst_sel:DWORD dst_unused:UNUSED_PAD src0_sel:BYTE_1
	v_fmac_f32_e32 v11, v66, v5
	v_fmac_f32_e32 v14, v67, v5
	v_fmac_f32_e32 v13, v68, v5
	v_fmac_f32_e32 v10, v23, v5
	v_cvt_f32_i32_sdwa v5, sext(v1) dst_sel:DWORD dst_unused:UNUSED_PAD src0_sel:BYTE_2
	v_fmac_f32_e32 v11, v69, v6
	v_fmac_f32_e32 v14, v70, v6
	;; [unrolled: 1-line block ×4, first 2 shown]
	v_cvt_f32_i32_sdwa v1, sext(v1) dst_sel:DWORD dst_unused:UNUSED_PAD src0_sel:BYTE_3
	v_fmac_f32_e32 v11, v72, v5
	v_fmac_f32_e32 v14, v73, v5
	;; [unrolled: 1-line block ×8, first 2 shown]
	s_andn2_b32 exec_lo, exec_lo, s3
	s_cbranch_execnz .LBB77_33
; %bb.34:
	s_or_b32 exec_lo, exec_lo, s3
.LBB77_35:
	s_or_b32 exec_lo, exec_lo, s0
.LBB77_36:
	s_or_b32 exec_lo, exec_lo, s1
.LBB77_37:
	v_mbcnt_lo_u32_b32 v0, -1, 0
	s_mov_b32 s3, -1
	v_xor_b32_e32 v1, 8, v0
	v_xor_b32_e32 v6, 4, v0
	v_cmp_gt_i32_e32 vcc_lo, 32, v1
	v_cndmask_b32_e32 v1, v0, v1, vcc_lo
	v_cmp_gt_i32_e32 vcc_lo, 32, v6
	v_lshlrev_b32_e32 v1, 2, v1
	v_cndmask_b32_e32 v6, v0, v6, vcc_lo
	ds_bpermute_b32 v2, v1, v11
	ds_bpermute_b32 v3, v1, v14
	;; [unrolled: 1-line block ×4, first 2 shown]
	v_lshlrev_b32_e32 v6, 2, v6
	s_waitcnt lgkmcnt(3)
	v_add_f32_e32 v2, v11, v2
	s_waitcnt lgkmcnt(2)
	v_add_f32_e32 v3, v14, v3
	;; [unrolled: 2-line block ×4, first 2 shown]
	v_xor_b32_e32 v11, 2, v0
	ds_bpermute_b32 v7, v6, v2
	ds_bpermute_b32 v8, v6, v3
	ds_bpermute_b32 v10, v6, v5
	ds_bpermute_b32 v6, v6, v1
	v_cmp_gt_i32_e32 vcc_lo, 32, v11
	v_cndmask_b32_e32 v11, v0, v11, vcc_lo
	v_lshlrev_b32_e32 v11, 2, v11
	s_waitcnt lgkmcnt(3)
	v_add_f32_e32 v2, v2, v7
	s_waitcnt lgkmcnt(2)
	v_add_f32_e32 v3, v3, v8
	;; [unrolled: 2-line block ×4, first 2 shown]
	ds_bpermute_b32 v1, v11, v2
	ds_bpermute_b32 v7, v11, v3
	;; [unrolled: 1-line block ×4, first 2 shown]
	v_xor_b32_e32 v11, 1, v0
	v_cmp_gt_i32_e32 vcc_lo, 32, v11
	v_cndmask_b32_e32 v0, v0, v11, vcc_lo
	v_cmp_eq_u32_e32 vcc_lo, 15, v9
	v_lshlrev_b32_e32 v11, 2, v0
	s_waitcnt lgkmcnt(3)
	v_add_f32_e32 v0, v2, v1
	s_waitcnt lgkmcnt(2)
	v_add_f32_e32 v1, v3, v7
	;; [unrolled: 2-line block ×4, first 2 shown]
	ds_bpermute_b32 v5, v11, v0
	ds_bpermute_b32 v6, v11, v1
	;; [unrolled: 1-line block ×4, first 2 shown]
	s_and_b32 exec_lo, exec_lo, vcc_lo
	s_cbranch_execz .LBB77_10
; %bb.38:
	s_load_dwordx2 s[0:1], s[4:5], 0x50
	s_waitcnt lgkmcnt(0)
	v_add_f32_e32 v0, v0, v5
	v_add_f32_e32 v1, v1, v6
	;; [unrolled: 1-line block ×4, first 2 shown]
	v_cmp_eq_f32_e64 s4, s2, 0
	v_mul_f32_e32 v0, s16, v0
	v_mul_f32_e32 v1, s16, v1
	;; [unrolled: 1-line block ×4, first 2 shown]
	v_lshlrev_b32_e32 v4, 2, v4
	s_and_b32 vcc_lo, exec_lo, s4
	s_cbranch_vccz .LBB77_40
; %bb.39:
	v_ashrrev_i32_e32 v5, 31, v4
	s_mov_b32 s3, 0
	v_lshlrev_b64 v[5:6], 2, v[4:5]
	v_add_co_u32 v5, vcc_lo, s0, v5
	v_add_co_ci_u32_e64 v6, null, s1, v6, vcc_lo
	global_store_dwordx4 v[5:6], v[0:3], off
.LBB77_40:
	s_andn2_b32 vcc_lo, exec_lo, s3
	s_cbranch_vccnz .LBB77_10
; %bb.41:
	v_ashrrev_i32_e32 v5, 31, v4
	v_lshlrev_b64 v[4:5], 2, v[4:5]
	v_add_co_u32 v8, vcc_lo, s0, v4
	v_add_co_ci_u32_e64 v9, null, s1, v5, vcc_lo
	global_load_dwordx4 v[4:7], v[8:9], off
	s_waitcnt vmcnt(0)
	v_fmac_f32_e32 v0, s2, v4
	v_fmac_f32_e32 v1, s2, v5
	;; [unrolled: 1-line block ×4, first 2 shown]
	global_store_dwordx4 v[8:9], v[0:3], off
	s_endpgm
	.section	.rodata,"a",@progbits
	.p2align	6, 0x0
	.amdhsa_kernel _ZN9rocsparseL18bsrxmvn_4x4_kernelILj128ELj16EfiiaafEEvT3_20rocsparse_direction_NS_24const_host_device_scalarIT1_EES1_PKS1_PKT2_SA_S7_PKT4_PKT5_S5_PT6_21rocsparse_index_base_b
		.amdhsa_group_segment_fixed_size 0
		.amdhsa_private_segment_fixed_size 0
		.amdhsa_kernarg_size 96
		.amdhsa_user_sgpr_count 6
		.amdhsa_user_sgpr_private_segment_buffer 1
		.amdhsa_user_sgpr_dispatch_ptr 0
		.amdhsa_user_sgpr_queue_ptr 0
		.amdhsa_user_sgpr_kernarg_segment_ptr 1
		.amdhsa_user_sgpr_dispatch_id 0
		.amdhsa_user_sgpr_flat_scratch_init 0
		.amdhsa_user_sgpr_private_segment_size 0
		.amdhsa_wavefront_size32 1
		.amdhsa_uses_dynamic_stack 0
		.amdhsa_system_sgpr_private_segment_wavefront_offset 0
		.amdhsa_system_sgpr_workgroup_id_x 1
		.amdhsa_system_sgpr_workgroup_id_y 0
		.amdhsa_system_sgpr_workgroup_id_z 0
		.amdhsa_system_sgpr_workgroup_info 0
		.amdhsa_system_vgpr_workitem_id 0
		.amdhsa_next_free_vgpr 84
		.amdhsa_next_free_sgpr 20
		.amdhsa_reserve_vcc 1
		.amdhsa_reserve_flat_scratch 0
		.amdhsa_float_round_mode_32 0
		.amdhsa_float_round_mode_16_64 0
		.amdhsa_float_denorm_mode_32 3
		.amdhsa_float_denorm_mode_16_64 3
		.amdhsa_dx10_clamp 1
		.amdhsa_ieee_mode 1
		.amdhsa_fp16_overflow 0
		.amdhsa_workgroup_processor_mode 1
		.amdhsa_memory_ordered 1
		.amdhsa_forward_progress 1
		.amdhsa_shared_vgpr_count 0
		.amdhsa_exception_fp_ieee_invalid_op 0
		.amdhsa_exception_fp_denorm_src 0
		.amdhsa_exception_fp_ieee_div_zero 0
		.amdhsa_exception_fp_ieee_overflow 0
		.amdhsa_exception_fp_ieee_underflow 0
		.amdhsa_exception_fp_ieee_inexact 0
		.amdhsa_exception_int_div_zero 0
	.end_amdhsa_kernel
	.section	.text._ZN9rocsparseL18bsrxmvn_4x4_kernelILj128ELj16EfiiaafEEvT3_20rocsparse_direction_NS_24const_host_device_scalarIT1_EES1_PKS1_PKT2_SA_S7_PKT4_PKT5_S5_PT6_21rocsparse_index_base_b,"axG",@progbits,_ZN9rocsparseL18bsrxmvn_4x4_kernelILj128ELj16EfiiaafEEvT3_20rocsparse_direction_NS_24const_host_device_scalarIT1_EES1_PKS1_PKT2_SA_S7_PKT4_PKT5_S5_PT6_21rocsparse_index_base_b,comdat
.Lfunc_end77:
	.size	_ZN9rocsparseL18bsrxmvn_4x4_kernelILj128ELj16EfiiaafEEvT3_20rocsparse_direction_NS_24const_host_device_scalarIT1_EES1_PKS1_PKT2_SA_S7_PKT4_PKT5_S5_PT6_21rocsparse_index_base_b, .Lfunc_end77-_ZN9rocsparseL18bsrxmvn_4x4_kernelILj128ELj16EfiiaafEEvT3_20rocsparse_direction_NS_24const_host_device_scalarIT1_EES1_PKS1_PKT2_SA_S7_PKT4_PKT5_S5_PT6_21rocsparse_index_base_b
                                        ; -- End function
	.set _ZN9rocsparseL18bsrxmvn_4x4_kernelILj128ELj16EfiiaafEEvT3_20rocsparse_direction_NS_24const_host_device_scalarIT1_EES1_PKS1_PKT2_SA_S7_PKT4_PKT5_S5_PT6_21rocsparse_index_base_b.num_vgpr, 84
	.set _ZN9rocsparseL18bsrxmvn_4x4_kernelILj128ELj16EfiiaafEEvT3_20rocsparse_direction_NS_24const_host_device_scalarIT1_EES1_PKS1_PKT2_SA_S7_PKT4_PKT5_S5_PT6_21rocsparse_index_base_b.num_agpr, 0
	.set _ZN9rocsparseL18bsrxmvn_4x4_kernelILj128ELj16EfiiaafEEvT3_20rocsparse_direction_NS_24const_host_device_scalarIT1_EES1_PKS1_PKT2_SA_S7_PKT4_PKT5_S5_PT6_21rocsparse_index_base_b.numbered_sgpr, 20
	.set _ZN9rocsparseL18bsrxmvn_4x4_kernelILj128ELj16EfiiaafEEvT3_20rocsparse_direction_NS_24const_host_device_scalarIT1_EES1_PKS1_PKT2_SA_S7_PKT4_PKT5_S5_PT6_21rocsparse_index_base_b.num_named_barrier, 0
	.set _ZN9rocsparseL18bsrxmvn_4x4_kernelILj128ELj16EfiiaafEEvT3_20rocsparse_direction_NS_24const_host_device_scalarIT1_EES1_PKS1_PKT2_SA_S7_PKT4_PKT5_S5_PT6_21rocsparse_index_base_b.private_seg_size, 0
	.set _ZN9rocsparseL18bsrxmvn_4x4_kernelILj128ELj16EfiiaafEEvT3_20rocsparse_direction_NS_24const_host_device_scalarIT1_EES1_PKS1_PKT2_SA_S7_PKT4_PKT5_S5_PT6_21rocsparse_index_base_b.uses_vcc, 1
	.set _ZN9rocsparseL18bsrxmvn_4x4_kernelILj128ELj16EfiiaafEEvT3_20rocsparse_direction_NS_24const_host_device_scalarIT1_EES1_PKS1_PKT2_SA_S7_PKT4_PKT5_S5_PT6_21rocsparse_index_base_b.uses_flat_scratch, 0
	.set _ZN9rocsparseL18bsrxmvn_4x4_kernelILj128ELj16EfiiaafEEvT3_20rocsparse_direction_NS_24const_host_device_scalarIT1_EES1_PKS1_PKT2_SA_S7_PKT4_PKT5_S5_PT6_21rocsparse_index_base_b.has_dyn_sized_stack, 0
	.set _ZN9rocsparseL18bsrxmvn_4x4_kernelILj128ELj16EfiiaafEEvT3_20rocsparse_direction_NS_24const_host_device_scalarIT1_EES1_PKS1_PKT2_SA_S7_PKT4_PKT5_S5_PT6_21rocsparse_index_base_b.has_recursion, 0
	.set _ZN9rocsparseL18bsrxmvn_4x4_kernelILj128ELj16EfiiaafEEvT3_20rocsparse_direction_NS_24const_host_device_scalarIT1_EES1_PKS1_PKT2_SA_S7_PKT4_PKT5_S5_PT6_21rocsparse_index_base_b.has_indirect_call, 0
	.section	.AMDGPU.csdata,"",@progbits
; Kernel info:
; codeLenInByte = 4488
; TotalNumSgprs: 22
; NumVgprs: 84
; ScratchSize: 0
; MemoryBound: 0
; FloatMode: 240
; IeeeMode: 1
; LDSByteSize: 0 bytes/workgroup (compile time only)
; SGPRBlocks: 0
; VGPRBlocks: 10
; NumSGPRsForWavesPerEU: 22
; NumVGPRsForWavesPerEU: 84
; Occupancy: 10
; WaveLimiterHint : 1
; COMPUTE_PGM_RSRC2:SCRATCH_EN: 0
; COMPUTE_PGM_RSRC2:USER_SGPR: 6
; COMPUTE_PGM_RSRC2:TRAP_HANDLER: 0
; COMPUTE_PGM_RSRC2:TGID_X_EN: 1
; COMPUTE_PGM_RSRC2:TGID_Y_EN: 0
; COMPUTE_PGM_RSRC2:TGID_Z_EN: 0
; COMPUTE_PGM_RSRC2:TIDIG_COMP_CNT: 0
	.section	.text._ZN9rocsparseL18bsrxmvn_4x4_kernelILj128ELj32EfiiaafEEvT3_20rocsparse_direction_NS_24const_host_device_scalarIT1_EES1_PKS1_PKT2_SA_S7_PKT4_PKT5_S5_PT6_21rocsparse_index_base_b,"axG",@progbits,_ZN9rocsparseL18bsrxmvn_4x4_kernelILj128ELj32EfiiaafEEvT3_20rocsparse_direction_NS_24const_host_device_scalarIT1_EES1_PKS1_PKT2_SA_S7_PKT4_PKT5_S5_PT6_21rocsparse_index_base_b,comdat
	.globl	_ZN9rocsparseL18bsrxmvn_4x4_kernelILj128ELj32EfiiaafEEvT3_20rocsparse_direction_NS_24const_host_device_scalarIT1_EES1_PKS1_PKT2_SA_S7_PKT4_PKT5_S5_PT6_21rocsparse_index_base_b ; -- Begin function _ZN9rocsparseL18bsrxmvn_4x4_kernelILj128ELj32EfiiaafEEvT3_20rocsparse_direction_NS_24const_host_device_scalarIT1_EES1_PKS1_PKT2_SA_S7_PKT4_PKT5_S5_PT6_21rocsparse_index_base_b
	.p2align	8
	.type	_ZN9rocsparseL18bsrxmvn_4x4_kernelILj128ELj32EfiiaafEEvT3_20rocsparse_direction_NS_24const_host_device_scalarIT1_EES1_PKS1_PKT2_SA_S7_PKT4_PKT5_S5_PT6_21rocsparse_index_base_b,@function
_ZN9rocsparseL18bsrxmvn_4x4_kernelILj128ELj32EfiiaafEEvT3_20rocsparse_direction_NS_24const_host_device_scalarIT1_EES1_PKS1_PKT2_SA_S7_PKT4_PKT5_S5_PT6_21rocsparse_index_base_b: ; @_ZN9rocsparseL18bsrxmvn_4x4_kernelILj128ELj32EfiiaafEEvT3_20rocsparse_direction_NS_24const_host_device_scalarIT1_EES1_PKS1_PKT2_SA_S7_PKT4_PKT5_S5_PT6_21rocsparse_index_base_b
; %bb.0:
	s_clause 0x2
	s_load_dwordx2 s[18:19], s[4:5], 0x58
	s_load_dwordx2 s[16:17], s[4:5], 0x8
	;; [unrolled: 1-line block ×3, first 2 shown]
	s_waitcnt lgkmcnt(0)
	s_bitcmp1_b32 s19, 0
	s_cselect_b32 s0, -1, 0
	s_and_b32 vcc_lo, exec_lo, s0
	s_xor_b32 s0, s0, -1
	s_cbranch_vccnz .LBB78_2
; %bb.1:
	s_load_dword s16, s[16:17], 0x0
.LBB78_2:
	s_andn2_b32 vcc_lo, exec_lo, s0
	s_cbranch_vccnz .LBB78_4
; %bb.3:
	s_load_dword s2, s[2:3], 0x0
.LBB78_4:
	s_waitcnt lgkmcnt(0)
	v_cmp_neq_f32_e64 s0, s16, 0
	v_cmp_neq_f32_e64 s1, s2, 1.0
	s_mov_b32 s3, 0
	s_or_b32 s0, s0, s1
	s_andn2_b32 vcc_lo, exec_lo, s0
	s_cbranch_vccnz .LBB78_10
; %bb.5:
	s_clause 0x1
	s_load_dwordx2 s[8:9], s[4:5], 0x18
	s_load_dwordx2 s[0:1], s[4:5], 0x0
	v_lshrrev_b32_e32 v1, 5, v0
	v_lshl_or_b32 v4, s6, 2, v1
	s_waitcnt lgkmcnt(0)
	s_cmp_lg_u64 s[8:9], 0
	s_cbranch_scc0 .LBB78_11
; %bb.6:
	s_load_dword s3, s[4:5], 0x10
	s_mov_b32 s6, 0
                                        ; implicit-def: $vgpr1
	s_waitcnt lgkmcnt(0)
	v_cmp_gt_i32_e32 vcc_lo, s3, v4
	s_mov_b32 s3, 0
	s_and_saveexec_b32 s7, vcc_lo
	s_xor_b32 s7, exec_lo, s7
	s_cbranch_execz .LBB78_8
; %bb.7:
	v_ashrrev_i32_e32 v5, 31, v4
	s_mov_b32 s3, exec_lo
	v_lshlrev_b64 v[1:2], 2, v[4:5]
	v_add_co_u32 v1, vcc_lo, s8, v1
	v_add_co_ci_u32_e64 v2, null, s9, v2, vcc_lo
	global_load_dword v1, v[1:2], off
	s_waitcnt vmcnt(0)
	v_subrev_nc_u32_e32 v1, s18, v1
.LBB78_8:
	s_or_b32 exec_lo, exec_lo, s7
	s_and_b32 vcc_lo, exec_lo, s6
	s_cbranch_vccz .LBB78_12
.LBB78_9:
	v_cmp_gt_i32_e32 vcc_lo, s0, v4
	s_andn2_b32 s0, s3, exec_lo
	s_and_b32 s3, vcc_lo, exec_lo
	s_or_b32 s3, s0, s3
	s_and_saveexec_b32 s0, s3
	s_cbranch_execnz .LBB78_13
.LBB78_10:
	s_endpgm
.LBB78_11:
                                        ; implicit-def: $vgpr1
	s_cbranch_execnz .LBB78_9
.LBB78_12:
	v_mov_b32_e32 v4, v1
	s_and_saveexec_b32 s0, s3
	s_cbranch_execz .LBB78_10
.LBB78_13:
	s_load_dwordx8 s[8:15], s[4:5], 0x20
	v_ashrrev_i32_e32 v5, 31, v4
	v_and_b32_e32 v9, 31, v0
	s_load_dwordx2 s[6:7], s[4:5], 0x40
	v_lshlrev_b64 v[1:2], 2, v[4:5]
	s_waitcnt lgkmcnt(0)
	v_add_co_u32 v5, vcc_lo, s8, v1
	v_add_co_ci_u32_e64 v6, null, s9, v2, vcc_lo
	v_add_co_u32 v1, vcc_lo, s10, v1
	v_add_co_ci_u32_e64 v2, null, s11, v2, vcc_lo
	global_load_dword v15, v[5:6], off
	v_add_co_u32 v3, vcc_lo, v5, 4
	v_add_co_ci_u32_e64 v5, null, 0, v6, vcc_lo
	s_cmp_eq_u64 s[10:11], 0
	s_cselect_b32 vcc_lo, -1, 0
	s_cmp_eq_u32 s1, 1
	v_cndmask_b32_e32 v2, v2, v5, vcc_lo
	v_cndmask_b32_e32 v1, v1, v3, vcc_lo
	global_load_dword v5, v[1:2], off
	s_waitcnt vmcnt(1)
	v_subrev_nc_u32_e32 v0, s18, v15
	v_add_nc_u32_e32 v0, v0, v9
	v_ashrrev_i32_e32 v1, 31, v0
	s_waitcnt vmcnt(0)
	v_subrev_nc_u32_e32 v14, s18, v5
	v_lshlrev_b64 v[2:3], 4, v[0:1]
	v_cmp_lt_i32_e64 s0, v0, v14
	v_add_co_u32 v2, vcc_lo, s14, v2
	v_add_co_ci_u32_e64 v3, null, s15, v3, vcc_lo
	s_cbranch_scc1 .LBB78_25
; %bb.14:
	v_mov_b32_e32 v10, 0
	v_mov_b32_e32 v12, 0
	;; [unrolled: 1-line block ×4, first 2 shown]
	s_and_saveexec_b32 s1, s0
	s_cbranch_execz .LBB78_24
; %bb.15:
	v_add_nc_u32_e32 v1, v15, v9
	v_not_b32_e32 v5, v15
	v_mov_b32_e32 v8, v3
	v_mov_b32_e32 v11, 0
	;; [unrolled: 1-line block ×3, first 2 shown]
	v_subrev_nc_u32_e32 v1, s18, v1
	v_mov_b32_e32 v12, 0
	v_mov_b32_e32 v10, 0
	;; [unrolled: 1-line block ×3, first 2 shown]
	s_mov_b32 s3, exec_lo
	v_add_nc_u32_e32 v1, 32, v1
	v_max_i32_e32 v1, v1, v14
	v_add3_u32 v1, s18, v1, v5
	v_mov_b32_e32 v5, v0
	v_sub_nc_u32_e32 v1, v1, v9
	v_and_b32_e32 v6, 0x60, v1
	v_cmpx_ne_u32_e32 0x60, v6
	s_cbranch_execz .LBB78_19
; %bb.16:
	v_lshrrev_b32_e32 v5, 5, v1
	v_mov_b32_e32 v8, v3
	v_mov_b32_e32 v10, 0
	;; [unrolled: 1-line block ×4, first 2 shown]
	v_add_nc_u32_e32 v5, 1, v5
	v_mov_b32_e32 v13, 0
	v_mov_b32_e32 v11, 0
	s_mov_b32 s8, 0
	v_and_b32_e32 v6, 3, v5
	v_mov_b32_e32 v5, v0
	v_sub_nc_u32_e32 v16, 0, v6
.LBB78_17:                              ; =>This Inner Loop Header: Depth=1
	v_ashrrev_i32_e32 v6, 31, v5
	v_add_co_u32 v16, s9, v16, 1
	s_or_b32 s8, s9, s8
	v_lshlrev_b64 v[17:18], 2, v[5:6]
	v_add_nc_u32_e32 v5, 32, v5
	v_add_co_u32 v17, vcc_lo, s12, v17
	v_add_co_ci_u32_e64 v18, null, s13, v18, vcc_lo
	global_load_dword v6, v[17:18], off
	s_waitcnt vmcnt(0)
	v_subrev_nc_u32_e32 v6, s18, v6
	v_lshlrev_b32_e32 v6, 2, v6
	v_ashrrev_i32_e32 v17, 31, v6
	v_add_co_u32 v21, vcc_lo, s6, v6
	v_add_co_ci_u32_e64 v22, null, s7, v17, vcc_lo
	global_load_dwordx4 v[17:20], v[7:8], off
	global_load_dword v6, v[21:22], off
	v_add_co_u32 v7, vcc_lo, 0x200, v7
	v_add_co_ci_u32_e64 v8, null, 0, v8, vcc_lo
	s_waitcnt vmcnt(1)
	v_cvt_f32_i32_sdwa v21, sext(v17) dst_sel:DWORD dst_unused:UNUSED_PAD src0_sel:BYTE_0
	v_cvt_f32_i32_sdwa v24, sext(v18) dst_sel:DWORD dst_unused:UNUSED_PAD src0_sel:BYTE_0
	;; [unrolled: 1-line block ×4, first 2 shown]
	s_waitcnt vmcnt(0)
	v_cvt_f32_i32_sdwa v33, sext(v6) dst_sel:DWORD dst_unused:UNUSED_PAD src0_sel:BYTE_0
	v_cvt_f32_i32_sdwa v22, sext(v17) dst_sel:DWORD dst_unused:UNUSED_PAD src0_sel:BYTE_1
	v_cvt_f32_i32_sdwa v25, sext(v18) dst_sel:DWORD dst_unused:UNUSED_PAD src0_sel:BYTE_1
	;; [unrolled: 1-line block ×5, first 2 shown]
	v_fmac_f32_e32 v11, v21, v33
	v_fmac_f32_e32 v13, v24, v33
	;; [unrolled: 1-line block ×4, first 2 shown]
	v_cvt_f32_i32_sdwa v23, sext(v17) dst_sel:DWORD dst_unused:UNUSED_PAD src0_sel:BYTE_2
	v_cvt_f32_i32_sdwa v26, sext(v18) dst_sel:DWORD dst_unused:UNUSED_PAD src0_sel:BYTE_2
	;; [unrolled: 1-line block ×5, first 2 shown]
	v_fmac_f32_e32 v11, v22, v34
	v_fmac_f32_e32 v13, v25, v34
	;; [unrolled: 1-line block ×4, first 2 shown]
	v_cvt_f32_i32_sdwa v17, sext(v17) dst_sel:DWORD dst_unused:UNUSED_PAD src0_sel:BYTE_3
	v_cvt_f32_i32_sdwa v18, sext(v18) dst_sel:DWORD dst_unused:UNUSED_PAD src0_sel:BYTE_3
	;; [unrolled: 1-line block ×5, first 2 shown]
	v_fmac_f32_e32 v11, v23, v21
	v_fmac_f32_e32 v13, v26, v21
	;; [unrolled: 1-line block ×8, first 2 shown]
	s_andn2_b32 exec_lo, exec_lo, s8
	s_cbranch_execnz .LBB78_17
; %bb.18:
	s_or_b32 exec_lo, exec_lo, s8
.LBB78_19:
	s_or_b32 exec_lo, exec_lo, s3
	s_mov_b32 s3, exec_lo
	v_cmpx_lt_u32_e32 0x5f, v1
	s_cbranch_execz .LBB78_23
; %bb.20:
	s_mov_b32 s8, 0
.LBB78_21:                              ; =>This Inner Loop Header: Depth=1
	v_ashrrev_i32_e32 v6, 31, v5
	v_lshlrev_b64 v[16:17], 2, v[5:6]
	v_add_nc_u32_e32 v5, 0x80, v5
	v_add_co_u32 v16, vcc_lo, s12, v16
	v_add_co_ci_u32_e64 v17, null, s13, v17, vcc_lo
	s_clause 0x3
	global_load_dword v1, v[16:17], off
	global_load_dword v6, v[16:17], off offset:128
	global_load_dword v32, v[16:17], off offset:256
	;; [unrolled: 1-line block ×3, first 2 shown]
	s_clause 0x3
	global_load_dwordx4 v[16:19], v[7:8], off
	global_load_dwordx4 v[20:23], v[7:8], off offset:512
	global_load_dwordx4 v[24:27], v[7:8], off offset:1024
	;; [unrolled: 1-line block ×3, first 2 shown]
	s_waitcnt vmcnt(7)
	v_subrev_nc_u32_e32 v1, s18, v1
	s_waitcnt vmcnt(6)
	v_subrev_nc_u32_e32 v6, s18, v6
	;; [unrolled: 2-line block ×3, first 2 shown]
	s_waitcnt vmcnt(3)
	v_cvt_f32_i32_sdwa v37, sext(v17) dst_sel:DWORD dst_unused:UNUSED_PAD src0_sel:BYTE_0
	v_lshlrev_b32_e32 v1, 2, v1
	v_lshlrev_b32_e32 v6, 2, v6
	v_cvt_f32_i32_sdwa v40, sext(v18) dst_sel:DWORD dst_unused:UNUSED_PAD src0_sel:BYTE_0
	v_cvt_f32_i32_sdwa v43, sext(v19) dst_sel:DWORD dst_unused:UNUSED_PAD src0_sel:BYTE_0
	v_cvt_f32_i32_sdwa v38, sext(v17) dst_sel:DWORD dst_unused:UNUSED_PAD src0_sel:BYTE_1
	v_ashrrev_i32_e32 v33, 31, v1
	v_add_co_u32 v32, vcc_lo, s6, v1
	v_subrev_nc_u32_e32 v1, s18, v34
	v_cvt_f32_i32_sdwa v41, sext(v18) dst_sel:DWORD dst_unused:UNUSED_PAD src0_sel:BYTE_1
	v_add_co_ci_u32_e64 v33, null, s7, v33, vcc_lo
	v_cvt_f32_i32_sdwa v44, sext(v19) dst_sel:DWORD dst_unused:UNUSED_PAD src0_sel:BYTE_1
	v_lshlrev_b32_e32 v1, 2, v1
	v_cvt_f32_i32_sdwa v36, sext(v16) dst_sel:DWORD dst_unused:UNUSED_PAD src0_sel:BYTE_2
	global_load_dword v34, v[32:33], off
	v_ashrrev_i32_e32 v33, 31, v6
	v_add_co_u32 v32, vcc_lo, s6, v6
	v_cvt_f32_i32_sdwa v39, sext(v17) dst_sel:DWORD dst_unused:UNUSED_PAD src0_sel:BYTE_2
	v_cvt_f32_i32_sdwa v42, sext(v18) dst_sel:DWORD dst_unused:UNUSED_PAD src0_sel:BYTE_2
	v_add_co_ci_u32_e64 v33, null, s7, v33, vcc_lo
	v_cvt_f32_i32_sdwa v45, sext(v19) dst_sel:DWORD dst_unused:UNUSED_PAD src0_sel:BYTE_2
	v_cvt_f32_i32_sdwa v17, sext(v17) dst_sel:DWORD dst_unused:UNUSED_PAD src0_sel:BYTE_3
	v_cvt_f32_i32_sdwa v18, sext(v18) dst_sel:DWORD dst_unused:UNUSED_PAD src0_sel:BYTE_3
	global_load_dword v6, v[32:33], off
	v_lshlrev_b32_e32 v32, 2, v35
	v_cvt_f32_i32_sdwa v19, sext(v19) dst_sel:DWORD dst_unused:UNUSED_PAD src0_sel:BYTE_3
	s_waitcnt vmcnt(4)
	v_cvt_f32_i32_sdwa v46, sext(v20) dst_sel:DWORD dst_unused:UNUSED_PAD src0_sel:BYTE_0
	v_cvt_f32_i32_sdwa v49, sext(v21) dst_sel:DWORD dst_unused:UNUSED_PAD src0_sel:BYTE_0
	;; [unrolled: 1-line block ×3, first 2 shown]
	v_ashrrev_i32_e32 v33, 31, v32
	v_add_co_u32 v32, vcc_lo, s6, v32
	v_cvt_f32_i32_sdwa v55, sext(v23) dst_sel:DWORD dst_unused:UNUSED_PAD src0_sel:BYTE_0
	v_cvt_f32_i32_sdwa v47, sext(v20) dst_sel:DWORD dst_unused:UNUSED_PAD src0_sel:BYTE_1
	v_add_co_ci_u32_e64 v33, null, s7, v33, vcc_lo
	v_cvt_f32_i32_sdwa v50, sext(v21) dst_sel:DWORD dst_unused:UNUSED_PAD src0_sel:BYTE_1
	v_cvt_f32_i32_sdwa v53, sext(v22) dst_sel:DWORD dst_unused:UNUSED_PAD src0_sel:BYTE_1
	;; [unrolled: 1-line block ×3, first 2 shown]
	global_load_dword v35, v[32:33], off
	v_ashrrev_i32_e32 v33, 31, v1
	v_add_co_u32 v32, vcc_lo, s6, v1
	v_cvt_f32_i32_sdwa v48, sext(v20) dst_sel:DWORD dst_unused:UNUSED_PAD src0_sel:BYTE_2
	v_cvt_f32_i32_sdwa v51, sext(v21) dst_sel:DWORD dst_unused:UNUSED_PAD src0_sel:BYTE_2
	v_add_co_ci_u32_e64 v33, null, s7, v33, vcc_lo
	v_cvt_f32_i32_sdwa v54, sext(v22) dst_sel:DWORD dst_unused:UNUSED_PAD src0_sel:BYTE_2
	v_cvt_f32_i32_sdwa v57, sext(v23) dst_sel:DWORD dst_unused:UNUSED_PAD src0_sel:BYTE_2
	v_cvt_f32_i32_sdwa v20, sext(v20) dst_sel:DWORD dst_unused:UNUSED_PAD src0_sel:BYTE_3
	global_load_dword v1, v[32:33], off
	v_cvt_f32_i32_sdwa v32, sext(v16) dst_sel:DWORD dst_unused:UNUSED_PAD src0_sel:BYTE_0
	v_cvt_f32_i32_sdwa v33, sext(v16) dst_sel:DWORD dst_unused:UNUSED_PAD src0_sel:BYTE_1
	v_cvt_f32_i32_sdwa v16, sext(v16) dst_sel:DWORD dst_unused:UNUSED_PAD src0_sel:BYTE_3
	v_cvt_f32_i32_sdwa v21, sext(v21) dst_sel:DWORD dst_unused:UNUSED_PAD src0_sel:BYTE_3
	;; [unrolled: 1-line block ×4, first 2 shown]
	s_waitcnt vmcnt(5)
	v_cvt_f32_i32_sdwa v58, sext(v24) dst_sel:DWORD dst_unused:UNUSED_PAD src0_sel:BYTE_0
	v_cvt_f32_i32_sdwa v61, sext(v25) dst_sel:DWORD dst_unused:UNUSED_PAD src0_sel:BYTE_0
	;; [unrolled: 1-line block ×4, first 2 shown]
	v_cvt_f32_i32_sdwa v59, sext(v24) dst_sel:DWORD dst_unused:UNUSED_PAD src0_sel:BYTE_1
	v_cvt_f32_i32_sdwa v62, sext(v25) dst_sel:DWORD dst_unused:UNUSED_PAD src0_sel:BYTE_1
	;; [unrolled: 1-line block ×4, first 2 shown]
	v_cvt_f32_i32_sdwa v60, sext(v24) dst_sel:DWORD dst_unused:UNUSED_PAD src0_sel:BYTE_2
	v_cvt_f32_i32_sdwa v63, sext(v25) dst_sel:DWORD dst_unused:UNUSED_PAD src0_sel:BYTE_2
	;; [unrolled: 1-line block ×4, first 2 shown]
	v_cvt_f32_i32_sdwa v24, sext(v24) dst_sel:DWORD dst_unused:UNUSED_PAD src0_sel:BYTE_3
	v_cvt_f32_i32_sdwa v25, sext(v25) dst_sel:DWORD dst_unused:UNUSED_PAD src0_sel:BYTE_3
	;; [unrolled: 1-line block ×4, first 2 shown]
	s_waitcnt vmcnt(4)
	v_cvt_f32_i32_sdwa v70, sext(v28) dst_sel:DWORD dst_unused:UNUSED_PAD src0_sel:BYTE_0
	v_cvt_f32_i32_sdwa v73, sext(v29) dst_sel:DWORD dst_unused:UNUSED_PAD src0_sel:BYTE_0
	;; [unrolled: 1-line block ×4, first 2 shown]
	v_cvt_f32_i32_sdwa v71, sext(v28) dst_sel:DWORD dst_unused:UNUSED_PAD src0_sel:BYTE_1
	v_cvt_f32_i32_sdwa v74, sext(v29) dst_sel:DWORD dst_unused:UNUSED_PAD src0_sel:BYTE_1
	;; [unrolled: 1-line block ×4, first 2 shown]
	v_cvt_f32_i32_sdwa v72, sext(v28) dst_sel:DWORD dst_unused:UNUSED_PAD src0_sel:BYTE_2
	v_cvt_f32_i32_sdwa v75, sext(v29) dst_sel:DWORD dst_unused:UNUSED_PAD src0_sel:BYTE_2
	;; [unrolled: 1-line block ×4, first 2 shown]
	v_cvt_f32_i32_sdwa v28, sext(v28) dst_sel:DWORD dst_unused:UNUSED_PAD src0_sel:BYTE_3
	v_cvt_f32_i32_sdwa v29, sext(v29) dst_sel:DWORD dst_unused:UNUSED_PAD src0_sel:BYTE_3
	;; [unrolled: 1-line block ×4, first 2 shown]
	v_add_co_u32 v7, vcc_lo, 0x800, v7
	v_add_co_ci_u32_e64 v8, null, 0, v8, vcc_lo
	v_cmp_ge_i32_e32 vcc_lo, v5, v14
	s_or_b32 s8, vcc_lo, s8
	s_waitcnt vmcnt(3)
	v_cvt_f32_i32_sdwa v82, sext(v34) dst_sel:DWORD dst_unused:UNUSED_PAD src0_sel:BYTE_0
	v_cvt_f32_i32_sdwa v83, sext(v34) dst_sel:DWORD dst_unused:UNUSED_PAD src0_sel:BYTE_1
	v_fmac_f32_e32 v11, v32, v82
	v_fmac_f32_e32 v13, v37, v82
	v_fmac_f32_e32 v12, v40, v82
	v_fmac_f32_e32 v10, v43, v82
	v_cvt_f32_i32_sdwa v32, sext(v34) dst_sel:DWORD dst_unused:UNUSED_PAD src0_sel:BYTE_2
	v_fmac_f32_e32 v11, v33, v83
	v_fmac_f32_e32 v13, v38, v83
	v_fmac_f32_e32 v12, v41, v83
	v_fmac_f32_e32 v10, v44, v83
	v_cvt_f32_i32_sdwa v33, sext(v34) dst_sel:DWORD dst_unused:UNUSED_PAD src0_sel:BYTE_3
	v_fmac_f32_e32 v11, v36, v32
	v_fmac_f32_e32 v13, v39, v32
	v_fmac_f32_e32 v12, v42, v32
	v_fmac_f32_e32 v10, v45, v32
	s_waitcnt vmcnt(2)
	v_cvt_f32_i32_sdwa v32, sext(v6) dst_sel:DWORD dst_unused:UNUSED_PAD src0_sel:BYTE_0
	v_fmac_f32_e32 v11, v16, v33
	v_fmac_f32_e32 v13, v17, v33
	v_fmac_f32_e32 v12, v18, v33
	v_fmac_f32_e32 v10, v19, v33
	v_cvt_f32_i32_sdwa v16, sext(v6) dst_sel:DWORD dst_unused:UNUSED_PAD src0_sel:BYTE_1
	v_fmac_f32_e32 v11, v46, v32
	v_fmac_f32_e32 v13, v49, v32
	v_fmac_f32_e32 v12, v52, v32
	v_fmac_f32_e32 v10, v55, v32
	v_cvt_f32_i32_sdwa v17, sext(v6) dst_sel:DWORD dst_unused:UNUSED_PAD src0_sel:BYTE_2
	v_fmac_f32_e32 v11, v47, v16
	v_fmac_f32_e32 v13, v50, v16
	v_fmac_f32_e32 v12, v53, v16
	v_fmac_f32_e32 v10, v56, v16
	v_cvt_f32_i32_sdwa v6, sext(v6) dst_sel:DWORD dst_unused:UNUSED_PAD src0_sel:BYTE_3
	v_fmac_f32_e32 v11, v48, v17
	v_fmac_f32_e32 v13, v51, v17
	v_fmac_f32_e32 v12, v54, v17
	v_fmac_f32_e32 v10, v57, v17
	s_waitcnt vmcnt(1)
	v_cvt_f32_i32_sdwa v16, sext(v35) dst_sel:DWORD dst_unused:UNUSED_PAD src0_sel:BYTE_0
	v_fmac_f32_e32 v11, v20, v6
	v_fmac_f32_e32 v13, v21, v6
	v_fmac_f32_e32 v12, v22, v6
	v_fmac_f32_e32 v10, v23, v6
	;; [unrolled: 21-line block ×3, first 2 shown]
	v_cvt_f32_i32_sdwa v6, sext(v1) dst_sel:DWORD dst_unused:UNUSED_PAD src0_sel:BYTE_1
	v_fmac_f32_e32 v11, v70, v16
	v_fmac_f32_e32 v13, v73, v16
	;; [unrolled: 1-line block ×4, first 2 shown]
	v_cvt_f32_i32_sdwa v16, sext(v1) dst_sel:DWORD dst_unused:UNUSED_PAD src0_sel:BYTE_2
	v_fmac_f32_e32 v11, v71, v6
	v_fmac_f32_e32 v13, v74, v6
	;; [unrolled: 1-line block ×4, first 2 shown]
	v_cvt_f32_i32_sdwa v1, sext(v1) dst_sel:DWORD dst_unused:UNUSED_PAD src0_sel:BYTE_3
	v_fmac_f32_e32 v11, v72, v16
	v_fmac_f32_e32 v13, v75, v16
	;; [unrolled: 1-line block ×8, first 2 shown]
	s_andn2_b32 exec_lo, exec_lo, s8
	s_cbranch_execnz .LBB78_21
; %bb.22:
	s_or_b32 exec_lo, exec_lo, s8
.LBB78_23:
	s_or_b32 exec_lo, exec_lo, s3
.LBB78_24:
	s_or_b32 exec_lo, exec_lo, s1
	s_cbranch_execz .LBB78_26
	s_branch .LBB78_37
.LBB78_25:
                                        ; implicit-def: $vgpr10
                                        ; implicit-def: $vgpr12
                                        ; implicit-def: $vgpr13
                                        ; implicit-def: $vgpr11
.LBB78_26:
	v_mov_b32_e32 v10, 0
	v_mov_b32_e32 v12, 0
	;; [unrolled: 1-line block ×4, first 2 shown]
	s_and_saveexec_b32 s1, s0
	s_cbranch_execz .LBB78_36
; %bb.27:
	v_add_nc_u32_e32 v1, v15, v9
	v_not_b32_e32 v5, v15
	v_mov_b32_e32 v11, 0
	v_mov_b32_e32 v13, 0
	v_mov_b32_e32 v12, 0
	v_subrev_nc_u32_e32 v1, s18, v1
	v_mov_b32_e32 v10, 0
	s_mov_b32 s0, exec_lo
	v_add_nc_u32_e32 v1, 32, v1
	v_max_i32_e32 v1, v1, v14
	v_add3_u32 v1, s18, v1, v5
	v_sub_nc_u32_e32 v5, v1, v9
	v_and_b32_e32 v1, 0x60, v5
	v_cmpx_ne_u32_e32 0x60, v1
	s_cbranch_execz .LBB78_31
; %bb.28:
	v_lshrrev_b32_e32 v1, 5, v5
	v_mov_b32_e32 v10, 0
	v_mov_b32_e32 v12, 0
	;; [unrolled: 1-line block ×4, first 2 shown]
	v_add_nc_u32_e32 v1, 1, v1
	s_mov_b32 s3, 0
	v_and_b32_e32 v1, 3, v1
	v_sub_nc_u32_e32 v6, 0, v1
.LBB78_29:                              ; =>This Inner Loop Header: Depth=1
	v_ashrrev_i32_e32 v1, 31, v0
	v_add_co_u32 v6, s8, v6, 1
	s_or_b32 s3, s8, s3
	v_lshlrev_b64 v[7:8], 2, v[0:1]
	v_add_nc_u32_e32 v0, 32, v0
	v_add_co_u32 v7, vcc_lo, s12, v7
	v_add_co_ci_u32_e64 v8, null, s13, v8, vcc_lo
	global_load_dword v1, v[7:8], off
	s_waitcnt vmcnt(0)
	v_subrev_nc_u32_e32 v1, s18, v1
	v_lshlrev_b32_e32 v1, 2, v1
	v_ashrrev_i32_e32 v8, 31, v1
	v_add_co_u32 v7, vcc_lo, s6, v1
	v_add_co_ci_u32_e64 v8, null, s7, v8, vcc_lo
	global_load_dwordx4 v[15:18], v[2:3], off
	global_load_dword v1, v[7:8], off
	v_add_co_u32 v2, vcc_lo, 0x200, v2
	v_add_co_ci_u32_e64 v3, null, 0, v3, vcc_lo
	s_waitcnt vmcnt(1)
	v_cvt_f32_i32_sdwa v7, sext(v15) dst_sel:DWORD dst_unused:UNUSED_PAD src0_sel:BYTE_0
	v_cvt_f32_i32_sdwa v8, sext(v15) dst_sel:DWORD dst_unused:UNUSED_PAD src0_sel:BYTE_1
	v_cvt_f32_i32_sdwa v19, sext(v15) dst_sel:DWORD dst_unused:UNUSED_PAD src0_sel:BYTE_2
	v_cvt_f32_i32_sdwa v15, sext(v15) dst_sel:DWORD dst_unused:UNUSED_PAD src0_sel:BYTE_3
	s_waitcnt vmcnt(0)
	v_cvt_f32_i32_sdwa v29, sext(v1) dst_sel:DWORD dst_unused:UNUSED_PAD src0_sel:BYTE_0
	v_cvt_f32_i32_sdwa v20, sext(v16) dst_sel:DWORD dst_unused:UNUSED_PAD src0_sel:BYTE_0
	v_cvt_f32_i32_sdwa v21, sext(v16) dst_sel:DWORD dst_unused:UNUSED_PAD src0_sel:BYTE_1
	v_cvt_f32_i32_sdwa v22, sext(v16) dst_sel:DWORD dst_unused:UNUSED_PAD src0_sel:BYTE_2
	v_cvt_f32_i32_sdwa v16, sext(v16) dst_sel:DWORD dst_unused:UNUSED_PAD src0_sel:BYTE_3
	v_cvt_f32_i32_sdwa v30, sext(v1) dst_sel:DWORD dst_unused:UNUSED_PAD src0_sel:BYTE_1
	v_fmac_f32_e32 v11, v7, v29
	v_fmac_f32_e32 v13, v8, v29
	;; [unrolled: 1-line block ×4, first 2 shown]
	v_cvt_f32_i32_sdwa v23, sext(v17) dst_sel:DWORD dst_unused:UNUSED_PAD src0_sel:BYTE_0
	v_cvt_f32_i32_sdwa v24, sext(v17) dst_sel:DWORD dst_unused:UNUSED_PAD src0_sel:BYTE_1
	v_cvt_f32_i32_sdwa v25, sext(v17) dst_sel:DWORD dst_unused:UNUSED_PAD src0_sel:BYTE_2
	v_cvt_f32_i32_sdwa v17, sext(v17) dst_sel:DWORD dst_unused:UNUSED_PAD src0_sel:BYTE_3
	v_cvt_f32_i32_sdwa v7, sext(v1) dst_sel:DWORD dst_unused:UNUSED_PAD src0_sel:BYTE_2
	v_fmac_f32_e32 v11, v20, v30
	v_fmac_f32_e32 v13, v21, v30
	;; [unrolled: 1-line block ×4, first 2 shown]
	v_cvt_f32_i32_sdwa v26, sext(v18) dst_sel:DWORD dst_unused:UNUSED_PAD src0_sel:BYTE_0
	v_cvt_f32_i32_sdwa v27, sext(v18) dst_sel:DWORD dst_unused:UNUSED_PAD src0_sel:BYTE_1
	v_cvt_f32_i32_sdwa v28, sext(v18) dst_sel:DWORD dst_unused:UNUSED_PAD src0_sel:BYTE_2
	v_cvt_f32_i32_sdwa v18, sext(v18) dst_sel:DWORD dst_unused:UNUSED_PAD src0_sel:BYTE_3
	v_cvt_f32_i32_sdwa v1, sext(v1) dst_sel:DWORD dst_unused:UNUSED_PAD src0_sel:BYTE_3
	v_fmac_f32_e32 v11, v23, v7
	v_fmac_f32_e32 v13, v24, v7
	;; [unrolled: 1-line block ×8, first 2 shown]
	s_andn2_b32 exec_lo, exec_lo, s3
	s_cbranch_execnz .LBB78_29
; %bb.30:
	s_or_b32 exec_lo, exec_lo, s3
.LBB78_31:
	s_or_b32 exec_lo, exec_lo, s0
	s_mov_b32 s0, exec_lo
	v_cmpx_lt_u32_e32 0x5f, v5
	s_cbranch_execz .LBB78_35
; %bb.32:
	s_mov_b32 s3, 0
.LBB78_33:                              ; =>This Inner Loop Header: Depth=1
	v_ashrrev_i32_e32 v1, 31, v0
	v_lshlrev_b64 v[5:6], 2, v[0:1]
	v_add_nc_u32_e32 v0, 0x80, v0
	v_add_co_u32 v5, vcc_lo, s12, v5
	v_add_co_ci_u32_e64 v6, null, s13, v6, vcc_lo
	s_clause 0x3
	global_load_dword v1, v[5:6], off
	global_load_dword v27, v[5:6], off offset:128
	global_load_dword v28, v[5:6], off offset:256
	;; [unrolled: 1-line block ×3, first 2 shown]
	s_clause 0x3
	global_load_dwordx4 v[5:8], v[2:3], off
	global_load_dwordx4 v[15:18], v[2:3], off offset:512
	global_load_dwordx4 v[19:22], v[2:3], off offset:1024
	;; [unrolled: 1-line block ×3, first 2 shown]
	s_waitcnt vmcnt(7)
	v_subrev_nc_u32_e32 v1, s18, v1
	s_waitcnt vmcnt(6)
	v_subrev_nc_u32_e32 v30, s18, v27
	;; [unrolled: 2-line block ×3, first 2 shown]
	s_waitcnt vmcnt(3)
	v_cvt_f32_i32_sdwa v32, sext(v5) dst_sel:DWORD dst_unused:UNUSED_PAD src0_sel:BYTE_2
	v_lshlrev_b32_e32 v1, 2, v1
	v_cvt_f32_i32_sdwa v33, sext(v6) dst_sel:DWORD dst_unused:UNUSED_PAD src0_sel:BYTE_0
	v_cvt_f32_i32_sdwa v34, sext(v6) dst_sel:DWORD dst_unused:UNUSED_PAD src0_sel:BYTE_1
	v_cvt_f32_i32_sdwa v35, sext(v6) dst_sel:DWORD dst_unused:UNUSED_PAD src0_sel:BYTE_2
	v_cvt_f32_i32_sdwa v6, sext(v6) dst_sel:DWORD dst_unused:UNUSED_PAD src0_sel:BYTE_3
	v_ashrrev_i32_e32 v28, 31, v1
	v_add_co_u32 v27, vcc_lo, s6, v1
	v_subrev_nc_u32_e32 v1, s18, v29
	v_cvt_f32_i32_sdwa v36, sext(v7) dst_sel:DWORD dst_unused:UNUSED_PAD src0_sel:BYTE_0
	v_add_co_ci_u32_e64 v28, null, s7, v28, vcc_lo
	v_cvt_f32_i32_sdwa v37, sext(v7) dst_sel:DWORD dst_unused:UNUSED_PAD src0_sel:BYTE_1
	v_lshlrev_b32_e32 v1, 2, v1
	v_cvt_f32_i32_sdwa v38, sext(v7) dst_sel:DWORD dst_unused:UNUSED_PAD src0_sel:BYTE_2
	global_load_dword v29, v[27:28], off
	v_lshlrev_b32_e32 v27, 2, v30
	v_cvt_f32_i32_sdwa v7, sext(v7) dst_sel:DWORD dst_unused:UNUSED_PAD src0_sel:BYTE_3
	v_cvt_f32_i32_sdwa v39, sext(v8) dst_sel:DWORD dst_unused:UNUSED_PAD src0_sel:BYTE_0
	v_cvt_f32_i32_sdwa v40, sext(v8) dst_sel:DWORD dst_unused:UNUSED_PAD src0_sel:BYTE_1
	v_cvt_f32_i32_sdwa v41, sext(v8) dst_sel:DWORD dst_unused:UNUSED_PAD src0_sel:BYTE_2
	v_ashrrev_i32_e32 v28, 31, v27
	v_add_co_u32 v27, vcc_lo, s6, v27
	v_cvt_f32_i32_sdwa v8, sext(v8) dst_sel:DWORD dst_unused:UNUSED_PAD src0_sel:BYTE_3
	s_waitcnt vmcnt(3)
	v_cvt_f32_i32_sdwa v42, sext(v15) dst_sel:DWORD dst_unused:UNUSED_PAD src0_sel:BYTE_0
	v_add_co_ci_u32_e64 v28, null, s7, v28, vcc_lo
	v_cvt_f32_i32_sdwa v43, sext(v15) dst_sel:DWORD dst_unused:UNUSED_PAD src0_sel:BYTE_1
	v_cvt_f32_i32_sdwa v44, sext(v15) dst_sel:DWORD dst_unused:UNUSED_PAD src0_sel:BYTE_2
	v_cvt_f32_i32_sdwa v15, sext(v15) dst_sel:DWORD dst_unused:UNUSED_PAD src0_sel:BYTE_3
	global_load_dword v30, v[27:28], off
	v_lshlrev_b32_e32 v27, 2, v31
	v_cvt_f32_i32_sdwa v45, sext(v16) dst_sel:DWORD dst_unused:UNUSED_PAD src0_sel:BYTE_0
	v_cvt_f32_i32_sdwa v46, sext(v16) dst_sel:DWORD dst_unused:UNUSED_PAD src0_sel:BYTE_1
	v_cvt_f32_i32_sdwa v47, sext(v16) dst_sel:DWORD dst_unused:UNUSED_PAD src0_sel:BYTE_2
	v_cvt_f32_i32_sdwa v16, sext(v16) dst_sel:DWORD dst_unused:UNUSED_PAD src0_sel:BYTE_3
	v_ashrrev_i32_e32 v28, 31, v27
	v_add_co_u32 v27, vcc_lo, s6, v27
	v_cvt_f32_i32_sdwa v48, sext(v17) dst_sel:DWORD dst_unused:UNUSED_PAD src0_sel:BYTE_0
	v_cvt_f32_i32_sdwa v49, sext(v17) dst_sel:DWORD dst_unused:UNUSED_PAD src0_sel:BYTE_1
	v_add_co_ci_u32_e64 v28, null, s7, v28, vcc_lo
	v_cvt_f32_i32_sdwa v50, sext(v17) dst_sel:DWORD dst_unused:UNUSED_PAD src0_sel:BYTE_2
	v_cvt_f32_i32_sdwa v17, sext(v17) dst_sel:DWORD dst_unused:UNUSED_PAD src0_sel:BYTE_3
	v_cvt_f32_i32_sdwa v51, sext(v18) dst_sel:DWORD dst_unused:UNUSED_PAD src0_sel:BYTE_0
	global_load_dword v31, v[27:28], off
	v_ashrrev_i32_e32 v28, 31, v1
	v_add_co_u32 v27, vcc_lo, s6, v1
	v_cvt_f32_i32_sdwa v52, sext(v18) dst_sel:DWORD dst_unused:UNUSED_PAD src0_sel:BYTE_1
	v_cvt_f32_i32_sdwa v53, sext(v18) dst_sel:DWORD dst_unused:UNUSED_PAD src0_sel:BYTE_2
	v_add_co_ci_u32_e64 v28, null, s7, v28, vcc_lo
	v_cvt_f32_i32_sdwa v18, sext(v18) dst_sel:DWORD dst_unused:UNUSED_PAD src0_sel:BYTE_3
	s_waitcnt vmcnt(4)
	v_cvt_f32_i32_sdwa v54, sext(v19) dst_sel:DWORD dst_unused:UNUSED_PAD src0_sel:BYTE_0
	v_cvt_f32_i32_sdwa v55, sext(v19) dst_sel:DWORD dst_unused:UNUSED_PAD src0_sel:BYTE_1
	global_load_dword v1, v[27:28], off
	v_cvt_f32_i32_sdwa v27, sext(v5) dst_sel:DWORD dst_unused:UNUSED_PAD src0_sel:BYTE_0
	v_cvt_f32_i32_sdwa v28, sext(v5) dst_sel:DWORD dst_unused:UNUSED_PAD src0_sel:BYTE_1
	v_cvt_f32_i32_sdwa v5, sext(v5) dst_sel:DWORD dst_unused:UNUSED_PAD src0_sel:BYTE_3
	v_cvt_f32_i32_sdwa v56, sext(v19) dst_sel:DWORD dst_unused:UNUSED_PAD src0_sel:BYTE_2
	v_cvt_f32_i32_sdwa v19, sext(v19) dst_sel:DWORD dst_unused:UNUSED_PAD src0_sel:BYTE_3
	v_cvt_f32_i32_sdwa v57, sext(v20) dst_sel:DWORD dst_unused:UNUSED_PAD src0_sel:BYTE_0
	v_cvt_f32_i32_sdwa v58, sext(v20) dst_sel:DWORD dst_unused:UNUSED_PAD src0_sel:BYTE_1
	v_cvt_f32_i32_sdwa v59, sext(v20) dst_sel:DWORD dst_unused:UNUSED_PAD src0_sel:BYTE_2
	v_cvt_f32_i32_sdwa v20, sext(v20) dst_sel:DWORD dst_unused:UNUSED_PAD src0_sel:BYTE_3
	v_cvt_f32_i32_sdwa v60, sext(v21) dst_sel:DWORD dst_unused:UNUSED_PAD src0_sel:BYTE_0
	v_cvt_f32_i32_sdwa v61, sext(v21) dst_sel:DWORD dst_unused:UNUSED_PAD src0_sel:BYTE_1
	;; [unrolled: 4-line block ×3, first 2 shown]
	v_cvt_f32_i32_sdwa v65, sext(v22) dst_sel:DWORD dst_unused:UNUSED_PAD src0_sel:BYTE_2
	v_cvt_f32_i32_sdwa v22, sext(v22) dst_sel:DWORD dst_unused:UNUSED_PAD src0_sel:BYTE_3
	s_waitcnt vmcnt(4)
	v_cvt_f32_i32_sdwa v66, sext(v23) dst_sel:DWORD dst_unused:UNUSED_PAD src0_sel:BYTE_0
	v_cvt_f32_i32_sdwa v67, sext(v23) dst_sel:DWORD dst_unused:UNUSED_PAD src0_sel:BYTE_1
	v_cvt_f32_i32_sdwa v68, sext(v23) dst_sel:DWORD dst_unused:UNUSED_PAD src0_sel:BYTE_2
	v_cvt_f32_i32_sdwa v23, sext(v23) dst_sel:DWORD dst_unused:UNUSED_PAD src0_sel:BYTE_3
	v_cvt_f32_i32_sdwa v69, sext(v24) dst_sel:DWORD dst_unused:UNUSED_PAD src0_sel:BYTE_0
	v_cvt_f32_i32_sdwa v70, sext(v24) dst_sel:DWORD dst_unused:UNUSED_PAD src0_sel:BYTE_1
	v_cvt_f32_i32_sdwa v71, sext(v24) dst_sel:DWORD dst_unused:UNUSED_PAD src0_sel:BYTE_2
	v_cvt_f32_i32_sdwa v24, sext(v24) dst_sel:DWORD dst_unused:UNUSED_PAD src0_sel:BYTE_3
	;; [unrolled: 4-line block ×4, first 2 shown]
	v_add_co_u32 v2, vcc_lo, 0x800, v2
	v_add_co_ci_u32_e64 v3, null, 0, v3, vcc_lo
	v_cmp_ge_i32_e32 vcc_lo, v0, v14
	s_or_b32 s3, vcc_lo, s3
	s_waitcnt vmcnt(3)
	v_cvt_f32_i32_sdwa v78, sext(v29) dst_sel:DWORD dst_unused:UNUSED_PAD src0_sel:BYTE_0
	v_cvt_f32_i32_sdwa v79, sext(v29) dst_sel:DWORD dst_unused:UNUSED_PAD src0_sel:BYTE_1
	v_fmac_f32_e32 v11, v27, v78
	v_fmac_f32_e32 v13, v28, v78
	v_fmac_f32_e32 v12, v32, v78
	v_fmac_f32_e32 v10, v5, v78
	v_cvt_f32_i32_sdwa v5, sext(v29) dst_sel:DWORD dst_unused:UNUSED_PAD src0_sel:BYTE_2
	v_fmac_f32_e32 v11, v33, v79
	v_fmac_f32_e32 v13, v34, v79
	v_fmac_f32_e32 v12, v35, v79
	v_fmac_f32_e32 v10, v6, v79
	v_cvt_f32_i32_sdwa v6, sext(v29) dst_sel:DWORD dst_unused:UNUSED_PAD src0_sel:BYTE_3
	v_fmac_f32_e32 v11, v36, v5
	v_fmac_f32_e32 v13, v37, v5
	v_fmac_f32_e32 v12, v38, v5
	v_fmac_f32_e32 v10, v7, v5
	s_waitcnt vmcnt(2)
	v_cvt_f32_i32_sdwa v5, sext(v30) dst_sel:DWORD dst_unused:UNUSED_PAD src0_sel:BYTE_0
	v_fmac_f32_e32 v11, v39, v6
	v_fmac_f32_e32 v13, v40, v6
	v_fmac_f32_e32 v12, v41, v6
	v_fmac_f32_e32 v10, v8, v6
	v_cvt_f32_i32_sdwa v6, sext(v30) dst_sel:DWORD dst_unused:UNUSED_PAD src0_sel:BYTE_1
	v_fmac_f32_e32 v11, v42, v5
	v_fmac_f32_e32 v13, v43, v5
	v_fmac_f32_e32 v12, v44, v5
	v_fmac_f32_e32 v10, v15, v5
	v_cvt_f32_i32_sdwa v5, sext(v30) dst_sel:DWORD dst_unused:UNUSED_PAD src0_sel:BYTE_2
	v_fmac_f32_e32 v11, v45, v6
	v_fmac_f32_e32 v13, v46, v6
	v_fmac_f32_e32 v12, v47, v6
	v_fmac_f32_e32 v10, v16, v6
	v_cvt_f32_i32_sdwa v6, sext(v30) dst_sel:DWORD dst_unused:UNUSED_PAD src0_sel:BYTE_3
	v_fmac_f32_e32 v11, v48, v5
	v_fmac_f32_e32 v13, v49, v5
	v_fmac_f32_e32 v12, v50, v5
	v_fmac_f32_e32 v10, v17, v5
	s_waitcnt vmcnt(1)
	v_cvt_f32_i32_sdwa v5, sext(v31) dst_sel:DWORD dst_unused:UNUSED_PAD src0_sel:BYTE_0
	v_fmac_f32_e32 v11, v51, v6
	v_fmac_f32_e32 v13, v52, v6
	v_fmac_f32_e32 v12, v53, v6
	v_fmac_f32_e32 v10, v18, v6
	;; [unrolled: 21-line block ×3, first 2 shown]
	v_cvt_f32_i32_sdwa v6, sext(v1) dst_sel:DWORD dst_unused:UNUSED_PAD src0_sel:BYTE_1
	v_fmac_f32_e32 v11, v66, v5
	v_fmac_f32_e32 v13, v67, v5
	v_fmac_f32_e32 v12, v68, v5
	v_fmac_f32_e32 v10, v23, v5
	v_cvt_f32_i32_sdwa v5, sext(v1) dst_sel:DWORD dst_unused:UNUSED_PAD src0_sel:BYTE_2
	v_fmac_f32_e32 v11, v69, v6
	v_fmac_f32_e32 v13, v70, v6
	;; [unrolled: 1-line block ×4, first 2 shown]
	v_cvt_f32_i32_sdwa v1, sext(v1) dst_sel:DWORD dst_unused:UNUSED_PAD src0_sel:BYTE_3
	v_fmac_f32_e32 v11, v72, v5
	v_fmac_f32_e32 v13, v73, v5
	v_fmac_f32_e32 v12, v74, v5
	v_fmac_f32_e32 v10, v25, v5
	v_fmac_f32_e32 v11, v75, v1
	v_fmac_f32_e32 v13, v76, v1
	v_fmac_f32_e32 v12, v77, v1
	v_fmac_f32_e32 v10, v26, v1
	s_andn2_b32 exec_lo, exec_lo, s3
	s_cbranch_execnz .LBB78_33
; %bb.34:
	s_or_b32 exec_lo, exec_lo, s3
.LBB78_35:
	s_or_b32 exec_lo, exec_lo, s0
.LBB78_36:
	s_or_b32 exec_lo, exec_lo, s1
.LBB78_37:
	v_mbcnt_lo_u32_b32 v0, -1, 0
	s_mov_b32 s3, -1
	v_xor_b32_e32 v1, 16, v0
	v_xor_b32_e32 v6, 8, v0
	v_cmp_gt_i32_e32 vcc_lo, 32, v1
	v_cndmask_b32_e32 v1, v0, v1, vcc_lo
	v_cmp_gt_i32_e32 vcc_lo, 32, v6
	v_lshlrev_b32_e32 v1, 2, v1
	v_cndmask_b32_e32 v6, v0, v6, vcc_lo
	ds_bpermute_b32 v2, v1, v11
	ds_bpermute_b32 v3, v1, v13
	;; [unrolled: 1-line block ×4, first 2 shown]
	v_lshlrev_b32_e32 v6, 2, v6
	s_waitcnt lgkmcnt(3)
	v_add_f32_e32 v2, v11, v2
	s_waitcnt lgkmcnt(2)
	v_add_f32_e32 v3, v13, v3
	;; [unrolled: 2-line block ×4, first 2 shown]
	v_xor_b32_e32 v11, 4, v0
	ds_bpermute_b32 v7, v6, v2
	ds_bpermute_b32 v8, v6, v3
	;; [unrolled: 1-line block ×4, first 2 shown]
	v_cmp_gt_i32_e32 vcc_lo, 32, v11
	v_cndmask_b32_e32 v11, v0, v11, vcc_lo
	v_lshlrev_b32_e32 v11, 2, v11
	s_waitcnt lgkmcnt(3)
	v_add_f32_e32 v2, v2, v7
	s_waitcnt lgkmcnt(2)
	v_add_f32_e32 v3, v3, v8
	;; [unrolled: 2-line block ×4, first 2 shown]
	ds_bpermute_b32 v6, v11, v2
	ds_bpermute_b32 v7, v11, v3
	;; [unrolled: 1-line block ×4, first 2 shown]
	v_xor_b32_e32 v11, 2, v0
	v_cmp_gt_i32_e32 vcc_lo, 32, v11
	v_cndmask_b32_e32 v11, v0, v11, vcc_lo
	v_lshlrev_b32_e32 v11, 2, v11
	s_waitcnt lgkmcnt(3)
	v_add_f32_e32 v2, v2, v6
	s_waitcnt lgkmcnt(2)
	v_add_f32_e32 v3, v3, v7
	;; [unrolled: 2-line block ×4, first 2 shown]
	ds_bpermute_b32 v1, v11, v2
	ds_bpermute_b32 v7, v11, v3
	;; [unrolled: 1-line block ×4, first 2 shown]
	v_xor_b32_e32 v11, 1, v0
	v_cmp_gt_i32_e32 vcc_lo, 32, v11
	v_cndmask_b32_e32 v0, v0, v11, vcc_lo
	v_cmp_eq_u32_e32 vcc_lo, 31, v9
	v_lshlrev_b32_e32 v11, 2, v0
	s_waitcnt lgkmcnt(3)
	v_add_f32_e32 v0, v2, v1
	s_waitcnt lgkmcnt(2)
	v_add_f32_e32 v1, v3, v7
	;; [unrolled: 2-line block ×4, first 2 shown]
	ds_bpermute_b32 v5, v11, v0
	ds_bpermute_b32 v6, v11, v1
	;; [unrolled: 1-line block ×4, first 2 shown]
	s_and_b32 exec_lo, exec_lo, vcc_lo
	s_cbranch_execz .LBB78_10
; %bb.38:
	s_load_dwordx2 s[0:1], s[4:5], 0x50
	s_waitcnt lgkmcnt(0)
	v_add_f32_e32 v0, v0, v5
	v_add_f32_e32 v1, v1, v6
	v_add_f32_e32 v2, v2, v7
	v_add_f32_e32 v3, v3, v8
	v_cmp_eq_f32_e64 s4, s2, 0
	v_mul_f32_e32 v0, s16, v0
	v_mul_f32_e32 v1, s16, v1
	;; [unrolled: 1-line block ×4, first 2 shown]
	v_lshlrev_b32_e32 v4, 2, v4
	s_and_b32 vcc_lo, exec_lo, s4
	s_cbranch_vccz .LBB78_40
; %bb.39:
	v_ashrrev_i32_e32 v5, 31, v4
	s_mov_b32 s3, 0
	v_lshlrev_b64 v[5:6], 2, v[4:5]
	v_add_co_u32 v5, vcc_lo, s0, v5
	v_add_co_ci_u32_e64 v6, null, s1, v6, vcc_lo
	global_store_dwordx4 v[5:6], v[0:3], off
.LBB78_40:
	s_andn2_b32 vcc_lo, exec_lo, s3
	s_cbranch_vccnz .LBB78_10
; %bb.41:
	v_ashrrev_i32_e32 v5, 31, v4
	v_lshlrev_b64 v[4:5], 2, v[4:5]
	v_add_co_u32 v8, vcc_lo, s0, v4
	v_add_co_ci_u32_e64 v9, null, s1, v5, vcc_lo
	global_load_dwordx4 v[4:7], v[8:9], off
	s_waitcnt vmcnt(0)
	v_fmac_f32_e32 v0, s2, v4
	v_fmac_f32_e32 v1, s2, v5
	;; [unrolled: 1-line block ×4, first 2 shown]
	global_store_dwordx4 v[8:9], v[0:3], off
	s_endpgm
	.section	.rodata,"a",@progbits
	.p2align	6, 0x0
	.amdhsa_kernel _ZN9rocsparseL18bsrxmvn_4x4_kernelILj128ELj32EfiiaafEEvT3_20rocsparse_direction_NS_24const_host_device_scalarIT1_EES1_PKS1_PKT2_SA_S7_PKT4_PKT5_S5_PT6_21rocsparse_index_base_b
		.amdhsa_group_segment_fixed_size 0
		.amdhsa_private_segment_fixed_size 0
		.amdhsa_kernarg_size 96
		.amdhsa_user_sgpr_count 6
		.amdhsa_user_sgpr_private_segment_buffer 1
		.amdhsa_user_sgpr_dispatch_ptr 0
		.amdhsa_user_sgpr_queue_ptr 0
		.amdhsa_user_sgpr_kernarg_segment_ptr 1
		.amdhsa_user_sgpr_dispatch_id 0
		.amdhsa_user_sgpr_flat_scratch_init 0
		.amdhsa_user_sgpr_private_segment_size 0
		.amdhsa_wavefront_size32 1
		.amdhsa_uses_dynamic_stack 0
		.amdhsa_system_sgpr_private_segment_wavefront_offset 0
		.amdhsa_system_sgpr_workgroup_id_x 1
		.amdhsa_system_sgpr_workgroup_id_y 0
		.amdhsa_system_sgpr_workgroup_id_z 0
		.amdhsa_system_sgpr_workgroup_info 0
		.amdhsa_system_vgpr_workitem_id 0
		.amdhsa_next_free_vgpr 84
		.amdhsa_next_free_sgpr 20
		.amdhsa_reserve_vcc 1
		.amdhsa_reserve_flat_scratch 0
		.amdhsa_float_round_mode_32 0
		.amdhsa_float_round_mode_16_64 0
		.amdhsa_float_denorm_mode_32 3
		.amdhsa_float_denorm_mode_16_64 3
		.amdhsa_dx10_clamp 1
		.amdhsa_ieee_mode 1
		.amdhsa_fp16_overflow 0
		.amdhsa_workgroup_processor_mode 1
		.amdhsa_memory_ordered 1
		.amdhsa_forward_progress 1
		.amdhsa_shared_vgpr_count 0
		.amdhsa_exception_fp_ieee_invalid_op 0
		.amdhsa_exception_fp_denorm_src 0
		.amdhsa_exception_fp_ieee_div_zero 0
		.amdhsa_exception_fp_ieee_overflow 0
		.amdhsa_exception_fp_ieee_underflow 0
		.amdhsa_exception_fp_ieee_inexact 0
		.amdhsa_exception_int_div_zero 0
	.end_amdhsa_kernel
	.section	.text._ZN9rocsparseL18bsrxmvn_4x4_kernelILj128ELj32EfiiaafEEvT3_20rocsparse_direction_NS_24const_host_device_scalarIT1_EES1_PKS1_PKT2_SA_S7_PKT4_PKT5_S5_PT6_21rocsparse_index_base_b,"axG",@progbits,_ZN9rocsparseL18bsrxmvn_4x4_kernelILj128ELj32EfiiaafEEvT3_20rocsparse_direction_NS_24const_host_device_scalarIT1_EES1_PKS1_PKT2_SA_S7_PKT4_PKT5_S5_PT6_21rocsparse_index_base_b,comdat
.Lfunc_end78:
	.size	_ZN9rocsparseL18bsrxmvn_4x4_kernelILj128ELj32EfiiaafEEvT3_20rocsparse_direction_NS_24const_host_device_scalarIT1_EES1_PKS1_PKT2_SA_S7_PKT4_PKT5_S5_PT6_21rocsparse_index_base_b, .Lfunc_end78-_ZN9rocsparseL18bsrxmvn_4x4_kernelILj128ELj32EfiiaafEEvT3_20rocsparse_direction_NS_24const_host_device_scalarIT1_EES1_PKS1_PKT2_SA_S7_PKT4_PKT5_S5_PT6_21rocsparse_index_base_b
                                        ; -- End function
	.set _ZN9rocsparseL18bsrxmvn_4x4_kernelILj128ELj32EfiiaafEEvT3_20rocsparse_direction_NS_24const_host_device_scalarIT1_EES1_PKS1_PKT2_SA_S7_PKT4_PKT5_S5_PT6_21rocsparse_index_base_b.num_vgpr, 84
	.set _ZN9rocsparseL18bsrxmvn_4x4_kernelILj128ELj32EfiiaafEEvT3_20rocsparse_direction_NS_24const_host_device_scalarIT1_EES1_PKS1_PKT2_SA_S7_PKT4_PKT5_S5_PT6_21rocsparse_index_base_b.num_agpr, 0
	.set _ZN9rocsparseL18bsrxmvn_4x4_kernelILj128ELj32EfiiaafEEvT3_20rocsparse_direction_NS_24const_host_device_scalarIT1_EES1_PKS1_PKT2_SA_S7_PKT4_PKT5_S5_PT6_21rocsparse_index_base_b.numbered_sgpr, 20
	.set _ZN9rocsparseL18bsrxmvn_4x4_kernelILj128ELj32EfiiaafEEvT3_20rocsparse_direction_NS_24const_host_device_scalarIT1_EES1_PKS1_PKT2_SA_S7_PKT4_PKT5_S5_PT6_21rocsparse_index_base_b.num_named_barrier, 0
	.set _ZN9rocsparseL18bsrxmvn_4x4_kernelILj128ELj32EfiiaafEEvT3_20rocsparse_direction_NS_24const_host_device_scalarIT1_EES1_PKS1_PKT2_SA_S7_PKT4_PKT5_S5_PT6_21rocsparse_index_base_b.private_seg_size, 0
	.set _ZN9rocsparseL18bsrxmvn_4x4_kernelILj128ELj32EfiiaafEEvT3_20rocsparse_direction_NS_24const_host_device_scalarIT1_EES1_PKS1_PKT2_SA_S7_PKT4_PKT5_S5_PT6_21rocsparse_index_base_b.uses_vcc, 1
	.set _ZN9rocsparseL18bsrxmvn_4x4_kernelILj128ELj32EfiiaafEEvT3_20rocsparse_direction_NS_24const_host_device_scalarIT1_EES1_PKS1_PKT2_SA_S7_PKT4_PKT5_S5_PT6_21rocsparse_index_base_b.uses_flat_scratch, 0
	.set _ZN9rocsparseL18bsrxmvn_4x4_kernelILj128ELj32EfiiaafEEvT3_20rocsparse_direction_NS_24const_host_device_scalarIT1_EES1_PKS1_PKT2_SA_S7_PKT4_PKT5_S5_PT6_21rocsparse_index_base_b.has_dyn_sized_stack, 0
	.set _ZN9rocsparseL18bsrxmvn_4x4_kernelILj128ELj32EfiiaafEEvT3_20rocsparse_direction_NS_24const_host_device_scalarIT1_EES1_PKS1_PKT2_SA_S7_PKT4_PKT5_S5_PT6_21rocsparse_index_base_b.has_recursion, 0
	.set _ZN9rocsparseL18bsrxmvn_4x4_kernelILj128ELj32EfiiaafEEvT3_20rocsparse_direction_NS_24const_host_device_scalarIT1_EES1_PKS1_PKT2_SA_S7_PKT4_PKT5_S5_PT6_21rocsparse_index_base_b.has_indirect_call, 0
	.section	.AMDGPU.csdata,"",@progbits
; Kernel info:
; codeLenInByte = 4600
; TotalNumSgprs: 22
; NumVgprs: 84
; ScratchSize: 0
; MemoryBound: 0
; FloatMode: 240
; IeeeMode: 1
; LDSByteSize: 0 bytes/workgroup (compile time only)
; SGPRBlocks: 0
; VGPRBlocks: 10
; NumSGPRsForWavesPerEU: 22
; NumVGPRsForWavesPerEU: 84
; Occupancy: 10
; WaveLimiterHint : 1
; COMPUTE_PGM_RSRC2:SCRATCH_EN: 0
; COMPUTE_PGM_RSRC2:USER_SGPR: 6
; COMPUTE_PGM_RSRC2:TRAP_HANDLER: 0
; COMPUTE_PGM_RSRC2:TGID_X_EN: 1
; COMPUTE_PGM_RSRC2:TGID_Y_EN: 0
; COMPUTE_PGM_RSRC2:TGID_Z_EN: 0
; COMPUTE_PGM_RSRC2:TIDIG_COMP_CNT: 0
	.section	.text._ZN9rocsparseL18bsrxmvn_4x4_kernelILj128ELj64EfiiaafEEvT3_20rocsparse_direction_NS_24const_host_device_scalarIT1_EES1_PKS1_PKT2_SA_S7_PKT4_PKT5_S5_PT6_21rocsparse_index_base_b,"axG",@progbits,_ZN9rocsparseL18bsrxmvn_4x4_kernelILj128ELj64EfiiaafEEvT3_20rocsparse_direction_NS_24const_host_device_scalarIT1_EES1_PKS1_PKT2_SA_S7_PKT4_PKT5_S5_PT6_21rocsparse_index_base_b,comdat
	.globl	_ZN9rocsparseL18bsrxmvn_4x4_kernelILj128ELj64EfiiaafEEvT3_20rocsparse_direction_NS_24const_host_device_scalarIT1_EES1_PKS1_PKT2_SA_S7_PKT4_PKT5_S5_PT6_21rocsparse_index_base_b ; -- Begin function _ZN9rocsparseL18bsrxmvn_4x4_kernelILj128ELj64EfiiaafEEvT3_20rocsparse_direction_NS_24const_host_device_scalarIT1_EES1_PKS1_PKT2_SA_S7_PKT4_PKT5_S5_PT6_21rocsparse_index_base_b
	.p2align	8
	.type	_ZN9rocsparseL18bsrxmvn_4x4_kernelILj128ELj64EfiiaafEEvT3_20rocsparse_direction_NS_24const_host_device_scalarIT1_EES1_PKS1_PKT2_SA_S7_PKT4_PKT5_S5_PT6_21rocsparse_index_base_b,@function
_ZN9rocsparseL18bsrxmvn_4x4_kernelILj128ELj64EfiiaafEEvT3_20rocsparse_direction_NS_24const_host_device_scalarIT1_EES1_PKS1_PKT2_SA_S7_PKT4_PKT5_S5_PT6_21rocsparse_index_base_b: ; @_ZN9rocsparseL18bsrxmvn_4x4_kernelILj128ELj64EfiiaafEEvT3_20rocsparse_direction_NS_24const_host_device_scalarIT1_EES1_PKS1_PKT2_SA_S7_PKT4_PKT5_S5_PT6_21rocsparse_index_base_b
; %bb.0:
	s_clause 0x2
	s_load_dwordx2 s[18:19], s[4:5], 0x58
	s_load_dwordx2 s[16:17], s[4:5], 0x8
	;; [unrolled: 1-line block ×3, first 2 shown]
	s_waitcnt lgkmcnt(0)
	s_bitcmp1_b32 s19, 0
	s_cselect_b32 s0, -1, 0
	s_and_b32 vcc_lo, exec_lo, s0
	s_xor_b32 s0, s0, -1
	s_cbranch_vccnz .LBB79_2
; %bb.1:
	s_load_dword s16, s[16:17], 0x0
.LBB79_2:
	s_andn2_b32 vcc_lo, exec_lo, s0
	s_cbranch_vccnz .LBB79_4
; %bb.3:
	s_load_dword s2, s[2:3], 0x0
.LBB79_4:
	s_waitcnt lgkmcnt(0)
	v_cmp_neq_f32_e64 s0, s16, 0
	v_cmp_neq_f32_e64 s1, s2, 1.0
	s_mov_b32 s3, 0
	s_or_b32 s0, s0, s1
	s_andn2_b32 vcc_lo, exec_lo, s0
	s_cbranch_vccnz .LBB79_10
; %bb.5:
	s_clause 0x1
	s_load_dwordx2 s[8:9], s[4:5], 0x18
	s_load_dwordx2 s[0:1], s[4:5], 0x0
	v_lshrrev_b32_e32 v1, 6, v0
	v_lshl_or_b32 v4, s6, 1, v1
	s_waitcnt lgkmcnt(0)
	s_cmp_lg_u64 s[8:9], 0
	s_cbranch_scc0 .LBB79_11
; %bb.6:
	s_load_dword s3, s[4:5], 0x10
	s_mov_b32 s6, 0
                                        ; implicit-def: $vgpr1
	s_waitcnt lgkmcnt(0)
	v_cmp_gt_i32_e32 vcc_lo, s3, v4
	s_mov_b32 s3, 0
	s_and_saveexec_b32 s7, vcc_lo
	s_xor_b32 s7, exec_lo, s7
	s_cbranch_execz .LBB79_8
; %bb.7:
	v_ashrrev_i32_e32 v5, 31, v4
	s_mov_b32 s3, exec_lo
	v_lshlrev_b64 v[1:2], 2, v[4:5]
	v_add_co_u32 v1, vcc_lo, s8, v1
	v_add_co_ci_u32_e64 v2, null, s9, v2, vcc_lo
	global_load_dword v1, v[1:2], off
	s_waitcnt vmcnt(0)
	v_subrev_nc_u32_e32 v1, s18, v1
.LBB79_8:
	s_or_b32 exec_lo, exec_lo, s7
	s_and_b32 vcc_lo, exec_lo, s6
	s_cbranch_vccz .LBB79_12
.LBB79_9:
	v_cmp_gt_i32_e32 vcc_lo, s0, v4
	s_andn2_b32 s0, s3, exec_lo
	s_and_b32 s3, vcc_lo, exec_lo
	s_or_b32 s3, s0, s3
	s_and_saveexec_b32 s0, s3
	s_cbranch_execnz .LBB79_13
.LBB79_10:
	s_endpgm
.LBB79_11:
                                        ; implicit-def: $vgpr1
	s_cbranch_execnz .LBB79_9
.LBB79_12:
	v_mov_b32_e32 v4, v1
	s_and_saveexec_b32 s0, s3
	s_cbranch_execz .LBB79_10
.LBB79_13:
	s_load_dwordx8 s[8:15], s[4:5], 0x20
	v_ashrrev_i32_e32 v5, 31, v4
	v_and_b32_e32 v9, 63, v0
	s_load_dwordx2 s[6:7], s[4:5], 0x40
	v_lshlrev_b64 v[1:2], 2, v[4:5]
	s_waitcnt lgkmcnt(0)
	v_add_co_u32 v5, vcc_lo, s8, v1
	v_add_co_ci_u32_e64 v6, null, s9, v2, vcc_lo
	v_add_co_u32 v1, vcc_lo, s10, v1
	v_add_co_ci_u32_e64 v2, null, s11, v2, vcc_lo
	global_load_dword v15, v[5:6], off
	v_add_co_u32 v3, vcc_lo, v5, 4
	v_add_co_ci_u32_e64 v5, null, 0, v6, vcc_lo
	s_cmp_eq_u64 s[10:11], 0
	s_cselect_b32 vcc_lo, -1, 0
	s_cmp_eq_u32 s1, 1
	v_cndmask_b32_e32 v2, v2, v5, vcc_lo
	v_cndmask_b32_e32 v1, v1, v3, vcc_lo
	global_load_dword v5, v[1:2], off
	s_waitcnt vmcnt(1)
	v_subrev_nc_u32_e32 v0, s18, v15
	v_add_nc_u32_e32 v0, v0, v9
	v_ashrrev_i32_e32 v1, 31, v0
	s_waitcnt vmcnt(0)
	v_subrev_nc_u32_e32 v14, s18, v5
	v_lshlrev_b64 v[2:3], 4, v[0:1]
	v_cmp_lt_i32_e64 s0, v0, v14
	v_add_co_u32 v2, vcc_lo, s14, v2
	v_add_co_ci_u32_e64 v3, null, s15, v3, vcc_lo
	s_cbranch_scc1 .LBB79_25
; %bb.14:
	v_mov_b32_e32 v10, 0
	v_mov_b32_e32 v12, 0
	;; [unrolled: 1-line block ×4, first 2 shown]
	s_and_saveexec_b32 s1, s0
	s_cbranch_execz .LBB79_24
; %bb.15:
	v_add_nc_u32_e32 v1, v15, v9
	v_not_b32_e32 v5, v15
	v_mov_b32_e32 v8, v3
	v_mov_b32_e32 v11, 0
	;; [unrolled: 1-line block ×3, first 2 shown]
	v_subrev_nc_u32_e32 v1, s18, v1
	v_mov_b32_e32 v12, 0
	v_mov_b32_e32 v10, 0
	;; [unrolled: 1-line block ×3, first 2 shown]
	s_mov_b32 s3, exec_lo
	v_add_nc_u32_e32 v1, 64, v1
	v_max_i32_e32 v1, v1, v14
	v_add3_u32 v1, s18, v1, v5
	v_mov_b32_e32 v5, v0
	v_sub_nc_u32_e32 v1, v1, v9
	v_and_b32_e32 v6, 0xc0, v1
	v_cmpx_ne_u32_e32 0xc0, v6
	s_cbranch_execz .LBB79_19
; %bb.16:
	v_lshrrev_b32_e32 v5, 6, v1
	v_mov_b32_e32 v8, v3
	v_mov_b32_e32 v10, 0
	;; [unrolled: 1-line block ×4, first 2 shown]
	v_add_nc_u32_e32 v5, 1, v5
	v_mov_b32_e32 v13, 0
	v_mov_b32_e32 v11, 0
	s_mov_b32 s8, 0
	v_and_b32_e32 v6, 3, v5
	v_mov_b32_e32 v5, v0
	v_sub_nc_u32_e32 v16, 0, v6
.LBB79_17:                              ; =>This Inner Loop Header: Depth=1
	v_ashrrev_i32_e32 v6, 31, v5
	v_add_co_u32 v16, s9, v16, 1
	s_or_b32 s8, s9, s8
	v_lshlrev_b64 v[17:18], 2, v[5:6]
	v_add_nc_u32_e32 v5, 64, v5
	v_add_co_u32 v17, vcc_lo, s12, v17
	v_add_co_ci_u32_e64 v18, null, s13, v18, vcc_lo
	global_load_dword v6, v[17:18], off
	s_waitcnt vmcnt(0)
	v_subrev_nc_u32_e32 v6, s18, v6
	v_lshlrev_b32_e32 v6, 2, v6
	v_ashrrev_i32_e32 v17, 31, v6
	v_add_co_u32 v21, vcc_lo, s6, v6
	v_add_co_ci_u32_e64 v22, null, s7, v17, vcc_lo
	global_load_dwordx4 v[17:20], v[7:8], off
	global_load_dword v6, v[21:22], off
	v_add_co_u32 v7, vcc_lo, 0x400, v7
	v_add_co_ci_u32_e64 v8, null, 0, v8, vcc_lo
	s_waitcnt vmcnt(1)
	v_cvt_f32_i32_sdwa v21, sext(v17) dst_sel:DWORD dst_unused:UNUSED_PAD src0_sel:BYTE_0
	v_cvt_f32_i32_sdwa v24, sext(v18) dst_sel:DWORD dst_unused:UNUSED_PAD src0_sel:BYTE_0
	;; [unrolled: 1-line block ×4, first 2 shown]
	s_waitcnt vmcnt(0)
	v_cvt_f32_i32_sdwa v33, sext(v6) dst_sel:DWORD dst_unused:UNUSED_PAD src0_sel:BYTE_0
	v_cvt_f32_i32_sdwa v22, sext(v17) dst_sel:DWORD dst_unused:UNUSED_PAD src0_sel:BYTE_1
	v_cvt_f32_i32_sdwa v25, sext(v18) dst_sel:DWORD dst_unused:UNUSED_PAD src0_sel:BYTE_1
	;; [unrolled: 1-line block ×5, first 2 shown]
	v_fmac_f32_e32 v11, v21, v33
	v_fmac_f32_e32 v13, v24, v33
	;; [unrolled: 1-line block ×4, first 2 shown]
	v_cvt_f32_i32_sdwa v23, sext(v17) dst_sel:DWORD dst_unused:UNUSED_PAD src0_sel:BYTE_2
	v_cvt_f32_i32_sdwa v26, sext(v18) dst_sel:DWORD dst_unused:UNUSED_PAD src0_sel:BYTE_2
	;; [unrolled: 1-line block ×5, first 2 shown]
	v_fmac_f32_e32 v11, v22, v34
	v_fmac_f32_e32 v13, v25, v34
	;; [unrolled: 1-line block ×4, first 2 shown]
	v_cvt_f32_i32_sdwa v17, sext(v17) dst_sel:DWORD dst_unused:UNUSED_PAD src0_sel:BYTE_3
	v_cvt_f32_i32_sdwa v18, sext(v18) dst_sel:DWORD dst_unused:UNUSED_PAD src0_sel:BYTE_3
	v_cvt_f32_i32_sdwa v19, sext(v19) dst_sel:DWORD dst_unused:UNUSED_PAD src0_sel:BYTE_3
	v_cvt_f32_i32_sdwa v20, sext(v20) dst_sel:DWORD dst_unused:UNUSED_PAD src0_sel:BYTE_3
	v_cvt_f32_i32_sdwa v6, sext(v6) dst_sel:DWORD dst_unused:UNUSED_PAD src0_sel:BYTE_3
	v_fmac_f32_e32 v11, v23, v21
	v_fmac_f32_e32 v13, v26, v21
	;; [unrolled: 1-line block ×8, first 2 shown]
	s_andn2_b32 exec_lo, exec_lo, s8
	s_cbranch_execnz .LBB79_17
; %bb.18:
	s_or_b32 exec_lo, exec_lo, s8
.LBB79_19:
	s_or_b32 exec_lo, exec_lo, s3
	s_mov_b32 s3, exec_lo
	v_cmpx_lt_u32_e32 0xbf, v1
	s_cbranch_execz .LBB79_23
; %bb.20:
	s_mov_b32 s8, 0
.LBB79_21:                              ; =>This Inner Loop Header: Depth=1
	v_ashrrev_i32_e32 v6, 31, v5
	v_lshlrev_b64 v[16:17], 2, v[5:6]
	v_add_nc_u32_e32 v5, 0x100, v5
	v_add_co_u32 v16, vcc_lo, s12, v16
	v_add_co_ci_u32_e64 v17, null, s13, v17, vcc_lo
	v_add_co_u32 v28, vcc_lo, 0x800, v7
	v_add_co_ci_u32_e64 v29, null, 0, v8, vcc_lo
	s_clause 0x3
	global_load_dword v1, v[16:17], off
	global_load_dword v6, v[16:17], off offset:256
	global_load_dword v32, v[16:17], off offset:512
	;; [unrolled: 1-line block ×3, first 2 shown]
	s_clause 0x3
	global_load_dwordx4 v[16:19], v[7:8], off
	global_load_dwordx4 v[20:23], v[7:8], off offset:1024
	global_load_dwordx4 v[24:27], v[28:29], off
	global_load_dwordx4 v[28:31], v[28:29], off offset:1024
	s_waitcnt vmcnt(7)
	v_subrev_nc_u32_e32 v1, s18, v1
	s_waitcnt vmcnt(6)
	v_subrev_nc_u32_e32 v6, s18, v6
	;; [unrolled: 2-line block ×3, first 2 shown]
	s_waitcnt vmcnt(3)
	v_cvt_f32_i32_sdwa v37, sext(v17) dst_sel:DWORD dst_unused:UNUSED_PAD src0_sel:BYTE_0
	v_lshlrev_b32_e32 v1, 2, v1
	v_lshlrev_b32_e32 v6, 2, v6
	v_cvt_f32_i32_sdwa v40, sext(v18) dst_sel:DWORD dst_unused:UNUSED_PAD src0_sel:BYTE_0
	v_cvt_f32_i32_sdwa v43, sext(v19) dst_sel:DWORD dst_unused:UNUSED_PAD src0_sel:BYTE_0
	v_cvt_f32_i32_sdwa v38, sext(v17) dst_sel:DWORD dst_unused:UNUSED_PAD src0_sel:BYTE_1
	v_ashrrev_i32_e32 v33, 31, v1
	v_add_co_u32 v32, vcc_lo, s6, v1
	v_subrev_nc_u32_e32 v1, s18, v34
	v_cvt_f32_i32_sdwa v41, sext(v18) dst_sel:DWORD dst_unused:UNUSED_PAD src0_sel:BYTE_1
	v_add_co_ci_u32_e64 v33, null, s7, v33, vcc_lo
	v_cvt_f32_i32_sdwa v44, sext(v19) dst_sel:DWORD dst_unused:UNUSED_PAD src0_sel:BYTE_1
	v_lshlrev_b32_e32 v1, 2, v1
	v_cvt_f32_i32_sdwa v36, sext(v16) dst_sel:DWORD dst_unused:UNUSED_PAD src0_sel:BYTE_2
	global_load_dword v34, v[32:33], off
	v_ashrrev_i32_e32 v33, 31, v6
	v_add_co_u32 v32, vcc_lo, s6, v6
	v_cvt_f32_i32_sdwa v39, sext(v17) dst_sel:DWORD dst_unused:UNUSED_PAD src0_sel:BYTE_2
	v_cvt_f32_i32_sdwa v42, sext(v18) dst_sel:DWORD dst_unused:UNUSED_PAD src0_sel:BYTE_2
	v_add_co_ci_u32_e64 v33, null, s7, v33, vcc_lo
	v_cvt_f32_i32_sdwa v45, sext(v19) dst_sel:DWORD dst_unused:UNUSED_PAD src0_sel:BYTE_2
	v_cvt_f32_i32_sdwa v17, sext(v17) dst_sel:DWORD dst_unused:UNUSED_PAD src0_sel:BYTE_3
	v_cvt_f32_i32_sdwa v18, sext(v18) dst_sel:DWORD dst_unused:UNUSED_PAD src0_sel:BYTE_3
	global_load_dword v6, v[32:33], off
	v_lshlrev_b32_e32 v32, 2, v35
	v_cvt_f32_i32_sdwa v19, sext(v19) dst_sel:DWORD dst_unused:UNUSED_PAD src0_sel:BYTE_3
	s_waitcnt vmcnt(4)
	v_cvt_f32_i32_sdwa v46, sext(v20) dst_sel:DWORD dst_unused:UNUSED_PAD src0_sel:BYTE_0
	v_cvt_f32_i32_sdwa v49, sext(v21) dst_sel:DWORD dst_unused:UNUSED_PAD src0_sel:BYTE_0
	;; [unrolled: 1-line block ×3, first 2 shown]
	v_ashrrev_i32_e32 v33, 31, v32
	v_add_co_u32 v32, vcc_lo, s6, v32
	v_cvt_f32_i32_sdwa v55, sext(v23) dst_sel:DWORD dst_unused:UNUSED_PAD src0_sel:BYTE_0
	v_cvt_f32_i32_sdwa v47, sext(v20) dst_sel:DWORD dst_unused:UNUSED_PAD src0_sel:BYTE_1
	v_add_co_ci_u32_e64 v33, null, s7, v33, vcc_lo
	v_cvt_f32_i32_sdwa v50, sext(v21) dst_sel:DWORD dst_unused:UNUSED_PAD src0_sel:BYTE_1
	v_cvt_f32_i32_sdwa v53, sext(v22) dst_sel:DWORD dst_unused:UNUSED_PAD src0_sel:BYTE_1
	;; [unrolled: 1-line block ×3, first 2 shown]
	global_load_dword v35, v[32:33], off
	v_ashrrev_i32_e32 v33, 31, v1
	v_add_co_u32 v32, vcc_lo, s6, v1
	v_cvt_f32_i32_sdwa v48, sext(v20) dst_sel:DWORD dst_unused:UNUSED_PAD src0_sel:BYTE_2
	v_cvt_f32_i32_sdwa v51, sext(v21) dst_sel:DWORD dst_unused:UNUSED_PAD src0_sel:BYTE_2
	v_add_co_ci_u32_e64 v33, null, s7, v33, vcc_lo
	v_cvt_f32_i32_sdwa v54, sext(v22) dst_sel:DWORD dst_unused:UNUSED_PAD src0_sel:BYTE_2
	v_cvt_f32_i32_sdwa v57, sext(v23) dst_sel:DWORD dst_unused:UNUSED_PAD src0_sel:BYTE_2
	v_cvt_f32_i32_sdwa v20, sext(v20) dst_sel:DWORD dst_unused:UNUSED_PAD src0_sel:BYTE_3
	global_load_dword v1, v[32:33], off
	v_cvt_f32_i32_sdwa v32, sext(v16) dst_sel:DWORD dst_unused:UNUSED_PAD src0_sel:BYTE_0
	v_cvt_f32_i32_sdwa v33, sext(v16) dst_sel:DWORD dst_unused:UNUSED_PAD src0_sel:BYTE_1
	v_cvt_f32_i32_sdwa v16, sext(v16) dst_sel:DWORD dst_unused:UNUSED_PAD src0_sel:BYTE_3
	v_cvt_f32_i32_sdwa v21, sext(v21) dst_sel:DWORD dst_unused:UNUSED_PAD src0_sel:BYTE_3
	;; [unrolled: 1-line block ×4, first 2 shown]
	s_waitcnt vmcnt(5)
	v_cvt_f32_i32_sdwa v58, sext(v24) dst_sel:DWORD dst_unused:UNUSED_PAD src0_sel:BYTE_0
	v_cvt_f32_i32_sdwa v61, sext(v25) dst_sel:DWORD dst_unused:UNUSED_PAD src0_sel:BYTE_0
	;; [unrolled: 1-line block ×4, first 2 shown]
	v_cvt_f32_i32_sdwa v59, sext(v24) dst_sel:DWORD dst_unused:UNUSED_PAD src0_sel:BYTE_1
	v_cvt_f32_i32_sdwa v62, sext(v25) dst_sel:DWORD dst_unused:UNUSED_PAD src0_sel:BYTE_1
	;; [unrolled: 1-line block ×4, first 2 shown]
	v_cvt_f32_i32_sdwa v60, sext(v24) dst_sel:DWORD dst_unused:UNUSED_PAD src0_sel:BYTE_2
	v_cvt_f32_i32_sdwa v63, sext(v25) dst_sel:DWORD dst_unused:UNUSED_PAD src0_sel:BYTE_2
	;; [unrolled: 1-line block ×4, first 2 shown]
	v_cvt_f32_i32_sdwa v24, sext(v24) dst_sel:DWORD dst_unused:UNUSED_PAD src0_sel:BYTE_3
	v_cvt_f32_i32_sdwa v25, sext(v25) dst_sel:DWORD dst_unused:UNUSED_PAD src0_sel:BYTE_3
	;; [unrolled: 1-line block ×4, first 2 shown]
	s_waitcnt vmcnt(4)
	v_cvt_f32_i32_sdwa v70, sext(v28) dst_sel:DWORD dst_unused:UNUSED_PAD src0_sel:BYTE_0
	v_cvt_f32_i32_sdwa v73, sext(v29) dst_sel:DWORD dst_unused:UNUSED_PAD src0_sel:BYTE_0
	;; [unrolled: 1-line block ×4, first 2 shown]
	v_cvt_f32_i32_sdwa v71, sext(v28) dst_sel:DWORD dst_unused:UNUSED_PAD src0_sel:BYTE_1
	v_cvt_f32_i32_sdwa v74, sext(v29) dst_sel:DWORD dst_unused:UNUSED_PAD src0_sel:BYTE_1
	;; [unrolled: 1-line block ×4, first 2 shown]
	v_cvt_f32_i32_sdwa v72, sext(v28) dst_sel:DWORD dst_unused:UNUSED_PAD src0_sel:BYTE_2
	v_cvt_f32_i32_sdwa v75, sext(v29) dst_sel:DWORD dst_unused:UNUSED_PAD src0_sel:BYTE_2
	;; [unrolled: 1-line block ×4, first 2 shown]
	v_cvt_f32_i32_sdwa v28, sext(v28) dst_sel:DWORD dst_unused:UNUSED_PAD src0_sel:BYTE_3
	v_cvt_f32_i32_sdwa v29, sext(v29) dst_sel:DWORD dst_unused:UNUSED_PAD src0_sel:BYTE_3
	;; [unrolled: 1-line block ×4, first 2 shown]
	v_add_co_u32 v7, vcc_lo, 0x1000, v7
	v_add_co_ci_u32_e64 v8, null, 0, v8, vcc_lo
	v_cmp_ge_i32_e32 vcc_lo, v5, v14
	s_or_b32 s8, vcc_lo, s8
	s_waitcnt vmcnt(3)
	v_cvt_f32_i32_sdwa v82, sext(v34) dst_sel:DWORD dst_unused:UNUSED_PAD src0_sel:BYTE_0
	v_cvt_f32_i32_sdwa v83, sext(v34) dst_sel:DWORD dst_unused:UNUSED_PAD src0_sel:BYTE_1
	v_fmac_f32_e32 v11, v32, v82
	v_fmac_f32_e32 v13, v37, v82
	v_fmac_f32_e32 v12, v40, v82
	v_fmac_f32_e32 v10, v43, v82
	v_cvt_f32_i32_sdwa v32, sext(v34) dst_sel:DWORD dst_unused:UNUSED_PAD src0_sel:BYTE_2
	v_fmac_f32_e32 v11, v33, v83
	v_fmac_f32_e32 v13, v38, v83
	v_fmac_f32_e32 v12, v41, v83
	v_fmac_f32_e32 v10, v44, v83
	v_cvt_f32_i32_sdwa v33, sext(v34) dst_sel:DWORD dst_unused:UNUSED_PAD src0_sel:BYTE_3
	v_fmac_f32_e32 v11, v36, v32
	v_fmac_f32_e32 v13, v39, v32
	v_fmac_f32_e32 v12, v42, v32
	v_fmac_f32_e32 v10, v45, v32
	s_waitcnt vmcnt(2)
	v_cvt_f32_i32_sdwa v32, sext(v6) dst_sel:DWORD dst_unused:UNUSED_PAD src0_sel:BYTE_0
	v_fmac_f32_e32 v11, v16, v33
	v_fmac_f32_e32 v13, v17, v33
	v_fmac_f32_e32 v12, v18, v33
	v_fmac_f32_e32 v10, v19, v33
	v_cvt_f32_i32_sdwa v16, sext(v6) dst_sel:DWORD dst_unused:UNUSED_PAD src0_sel:BYTE_1
	v_fmac_f32_e32 v11, v46, v32
	v_fmac_f32_e32 v13, v49, v32
	v_fmac_f32_e32 v12, v52, v32
	v_fmac_f32_e32 v10, v55, v32
	v_cvt_f32_i32_sdwa v17, sext(v6) dst_sel:DWORD dst_unused:UNUSED_PAD src0_sel:BYTE_2
	v_fmac_f32_e32 v11, v47, v16
	v_fmac_f32_e32 v13, v50, v16
	v_fmac_f32_e32 v12, v53, v16
	v_fmac_f32_e32 v10, v56, v16
	v_cvt_f32_i32_sdwa v6, sext(v6) dst_sel:DWORD dst_unused:UNUSED_PAD src0_sel:BYTE_3
	v_fmac_f32_e32 v11, v48, v17
	v_fmac_f32_e32 v13, v51, v17
	v_fmac_f32_e32 v12, v54, v17
	v_fmac_f32_e32 v10, v57, v17
	s_waitcnt vmcnt(1)
	v_cvt_f32_i32_sdwa v16, sext(v35) dst_sel:DWORD dst_unused:UNUSED_PAD src0_sel:BYTE_0
	v_fmac_f32_e32 v11, v20, v6
	v_fmac_f32_e32 v13, v21, v6
	v_fmac_f32_e32 v12, v22, v6
	v_fmac_f32_e32 v10, v23, v6
	;; [unrolled: 21-line block ×3, first 2 shown]
	v_cvt_f32_i32_sdwa v6, sext(v1) dst_sel:DWORD dst_unused:UNUSED_PAD src0_sel:BYTE_1
	v_fmac_f32_e32 v11, v70, v16
	v_fmac_f32_e32 v13, v73, v16
	;; [unrolled: 1-line block ×4, first 2 shown]
	v_cvt_f32_i32_sdwa v16, sext(v1) dst_sel:DWORD dst_unused:UNUSED_PAD src0_sel:BYTE_2
	v_fmac_f32_e32 v11, v71, v6
	v_fmac_f32_e32 v13, v74, v6
	;; [unrolled: 1-line block ×4, first 2 shown]
	v_cvt_f32_i32_sdwa v1, sext(v1) dst_sel:DWORD dst_unused:UNUSED_PAD src0_sel:BYTE_3
	v_fmac_f32_e32 v11, v72, v16
	v_fmac_f32_e32 v13, v75, v16
	;; [unrolled: 1-line block ×8, first 2 shown]
	s_andn2_b32 exec_lo, exec_lo, s8
	s_cbranch_execnz .LBB79_21
; %bb.22:
	s_or_b32 exec_lo, exec_lo, s8
.LBB79_23:
	s_or_b32 exec_lo, exec_lo, s3
.LBB79_24:
	s_or_b32 exec_lo, exec_lo, s1
	s_cbranch_execz .LBB79_26
	s_branch .LBB79_37
.LBB79_25:
                                        ; implicit-def: $vgpr10
                                        ; implicit-def: $vgpr12
                                        ; implicit-def: $vgpr13
                                        ; implicit-def: $vgpr11
.LBB79_26:
	v_mov_b32_e32 v10, 0
	v_mov_b32_e32 v12, 0
	;; [unrolled: 1-line block ×4, first 2 shown]
	s_and_saveexec_b32 s1, s0
	s_cbranch_execz .LBB79_36
; %bb.27:
	v_add_nc_u32_e32 v1, v15, v9
	v_not_b32_e32 v5, v15
	v_mov_b32_e32 v11, 0
	v_mov_b32_e32 v13, 0
	;; [unrolled: 1-line block ×3, first 2 shown]
	v_subrev_nc_u32_e32 v1, s18, v1
	v_mov_b32_e32 v10, 0
	s_mov_b32 s0, exec_lo
	v_add_nc_u32_e32 v1, 64, v1
	v_max_i32_e32 v1, v1, v14
	v_add3_u32 v1, s18, v1, v5
	v_sub_nc_u32_e32 v5, v1, v9
	v_and_b32_e32 v1, 0xc0, v5
	v_cmpx_ne_u32_e32 0xc0, v1
	s_cbranch_execz .LBB79_31
; %bb.28:
	v_lshrrev_b32_e32 v1, 6, v5
	v_mov_b32_e32 v10, 0
	v_mov_b32_e32 v12, 0
	;; [unrolled: 1-line block ×4, first 2 shown]
	v_add_nc_u32_e32 v1, 1, v1
	s_mov_b32 s3, 0
	v_and_b32_e32 v1, 3, v1
	v_sub_nc_u32_e32 v6, 0, v1
.LBB79_29:                              ; =>This Inner Loop Header: Depth=1
	v_ashrrev_i32_e32 v1, 31, v0
	v_add_co_u32 v6, s8, v6, 1
	s_or_b32 s3, s8, s3
	v_lshlrev_b64 v[7:8], 2, v[0:1]
	v_add_nc_u32_e32 v0, 64, v0
	v_add_co_u32 v7, vcc_lo, s12, v7
	v_add_co_ci_u32_e64 v8, null, s13, v8, vcc_lo
	global_load_dword v1, v[7:8], off
	s_waitcnt vmcnt(0)
	v_subrev_nc_u32_e32 v1, s18, v1
	v_lshlrev_b32_e32 v1, 2, v1
	v_ashrrev_i32_e32 v8, 31, v1
	v_add_co_u32 v7, vcc_lo, s6, v1
	v_add_co_ci_u32_e64 v8, null, s7, v8, vcc_lo
	global_load_dwordx4 v[15:18], v[2:3], off
	global_load_dword v1, v[7:8], off
	v_add_co_u32 v2, vcc_lo, 0x400, v2
	v_add_co_ci_u32_e64 v3, null, 0, v3, vcc_lo
	s_waitcnt vmcnt(1)
	v_cvt_f32_i32_sdwa v7, sext(v15) dst_sel:DWORD dst_unused:UNUSED_PAD src0_sel:BYTE_0
	v_cvt_f32_i32_sdwa v8, sext(v15) dst_sel:DWORD dst_unused:UNUSED_PAD src0_sel:BYTE_1
	v_cvt_f32_i32_sdwa v19, sext(v15) dst_sel:DWORD dst_unused:UNUSED_PAD src0_sel:BYTE_2
	v_cvt_f32_i32_sdwa v15, sext(v15) dst_sel:DWORD dst_unused:UNUSED_PAD src0_sel:BYTE_3
	s_waitcnt vmcnt(0)
	v_cvt_f32_i32_sdwa v29, sext(v1) dst_sel:DWORD dst_unused:UNUSED_PAD src0_sel:BYTE_0
	v_cvt_f32_i32_sdwa v20, sext(v16) dst_sel:DWORD dst_unused:UNUSED_PAD src0_sel:BYTE_0
	v_cvt_f32_i32_sdwa v21, sext(v16) dst_sel:DWORD dst_unused:UNUSED_PAD src0_sel:BYTE_1
	v_cvt_f32_i32_sdwa v22, sext(v16) dst_sel:DWORD dst_unused:UNUSED_PAD src0_sel:BYTE_2
	v_cvt_f32_i32_sdwa v16, sext(v16) dst_sel:DWORD dst_unused:UNUSED_PAD src0_sel:BYTE_3
	v_cvt_f32_i32_sdwa v30, sext(v1) dst_sel:DWORD dst_unused:UNUSED_PAD src0_sel:BYTE_1
	v_fmac_f32_e32 v11, v7, v29
	v_fmac_f32_e32 v13, v8, v29
	;; [unrolled: 1-line block ×4, first 2 shown]
	v_cvt_f32_i32_sdwa v23, sext(v17) dst_sel:DWORD dst_unused:UNUSED_PAD src0_sel:BYTE_0
	v_cvt_f32_i32_sdwa v24, sext(v17) dst_sel:DWORD dst_unused:UNUSED_PAD src0_sel:BYTE_1
	v_cvt_f32_i32_sdwa v25, sext(v17) dst_sel:DWORD dst_unused:UNUSED_PAD src0_sel:BYTE_2
	v_cvt_f32_i32_sdwa v17, sext(v17) dst_sel:DWORD dst_unused:UNUSED_PAD src0_sel:BYTE_3
	v_cvt_f32_i32_sdwa v7, sext(v1) dst_sel:DWORD dst_unused:UNUSED_PAD src0_sel:BYTE_2
	v_fmac_f32_e32 v11, v20, v30
	v_fmac_f32_e32 v13, v21, v30
	;; [unrolled: 1-line block ×4, first 2 shown]
	v_cvt_f32_i32_sdwa v26, sext(v18) dst_sel:DWORD dst_unused:UNUSED_PAD src0_sel:BYTE_0
	v_cvt_f32_i32_sdwa v27, sext(v18) dst_sel:DWORD dst_unused:UNUSED_PAD src0_sel:BYTE_1
	v_cvt_f32_i32_sdwa v28, sext(v18) dst_sel:DWORD dst_unused:UNUSED_PAD src0_sel:BYTE_2
	v_cvt_f32_i32_sdwa v18, sext(v18) dst_sel:DWORD dst_unused:UNUSED_PAD src0_sel:BYTE_3
	v_cvt_f32_i32_sdwa v1, sext(v1) dst_sel:DWORD dst_unused:UNUSED_PAD src0_sel:BYTE_3
	v_fmac_f32_e32 v11, v23, v7
	v_fmac_f32_e32 v13, v24, v7
	v_fmac_f32_e32 v12, v25, v7
	v_fmac_f32_e32 v10, v17, v7
	v_fmac_f32_e32 v11, v26, v1
	v_fmac_f32_e32 v13, v27, v1
	v_fmac_f32_e32 v12, v28, v1
	v_fmac_f32_e32 v10, v18, v1
	s_andn2_b32 exec_lo, exec_lo, s3
	s_cbranch_execnz .LBB79_29
; %bb.30:
	s_or_b32 exec_lo, exec_lo, s3
.LBB79_31:
	s_or_b32 exec_lo, exec_lo, s0
	s_mov_b32 s0, exec_lo
	v_cmpx_lt_u32_e32 0xbf, v5
	s_cbranch_execz .LBB79_35
; %bb.32:
	s_mov_b32 s3, 0
.LBB79_33:                              ; =>This Inner Loop Header: Depth=1
	v_ashrrev_i32_e32 v1, 31, v0
	v_lshlrev_b64 v[5:6], 2, v[0:1]
	v_add_nc_u32_e32 v0, 0x100, v0
	v_add_co_u32 v5, vcc_lo, s12, v5
	v_add_co_ci_u32_e64 v6, null, s13, v6, vcc_lo
	v_add_co_u32 v23, vcc_lo, 0x800, v2
	v_add_co_ci_u32_e64 v24, null, 0, v3, vcc_lo
	s_clause 0x3
	global_load_dword v1, v[5:6], off
	global_load_dword v27, v[5:6], off offset:256
	global_load_dword v28, v[5:6], off offset:512
	;; [unrolled: 1-line block ×3, first 2 shown]
	s_clause 0x3
	global_load_dwordx4 v[5:8], v[2:3], off
	global_load_dwordx4 v[15:18], v[2:3], off offset:1024
	global_load_dwordx4 v[19:22], v[23:24], off
	global_load_dwordx4 v[23:26], v[23:24], off offset:1024
	s_waitcnt vmcnt(7)
	v_subrev_nc_u32_e32 v1, s18, v1
	s_waitcnt vmcnt(6)
	v_subrev_nc_u32_e32 v30, s18, v27
	;; [unrolled: 2-line block ×3, first 2 shown]
	s_waitcnt vmcnt(3)
	v_cvt_f32_i32_sdwa v32, sext(v5) dst_sel:DWORD dst_unused:UNUSED_PAD src0_sel:BYTE_2
	v_lshlrev_b32_e32 v1, 2, v1
	v_cvt_f32_i32_sdwa v33, sext(v6) dst_sel:DWORD dst_unused:UNUSED_PAD src0_sel:BYTE_0
	v_cvt_f32_i32_sdwa v34, sext(v6) dst_sel:DWORD dst_unused:UNUSED_PAD src0_sel:BYTE_1
	v_cvt_f32_i32_sdwa v35, sext(v6) dst_sel:DWORD dst_unused:UNUSED_PAD src0_sel:BYTE_2
	v_cvt_f32_i32_sdwa v6, sext(v6) dst_sel:DWORD dst_unused:UNUSED_PAD src0_sel:BYTE_3
	v_ashrrev_i32_e32 v28, 31, v1
	v_add_co_u32 v27, vcc_lo, s6, v1
	v_subrev_nc_u32_e32 v1, s18, v29
	v_cvt_f32_i32_sdwa v36, sext(v7) dst_sel:DWORD dst_unused:UNUSED_PAD src0_sel:BYTE_0
	v_add_co_ci_u32_e64 v28, null, s7, v28, vcc_lo
	v_cvt_f32_i32_sdwa v37, sext(v7) dst_sel:DWORD dst_unused:UNUSED_PAD src0_sel:BYTE_1
	v_lshlrev_b32_e32 v1, 2, v1
	v_cvt_f32_i32_sdwa v38, sext(v7) dst_sel:DWORD dst_unused:UNUSED_PAD src0_sel:BYTE_2
	global_load_dword v29, v[27:28], off
	v_lshlrev_b32_e32 v27, 2, v30
	v_cvt_f32_i32_sdwa v7, sext(v7) dst_sel:DWORD dst_unused:UNUSED_PAD src0_sel:BYTE_3
	v_cvt_f32_i32_sdwa v39, sext(v8) dst_sel:DWORD dst_unused:UNUSED_PAD src0_sel:BYTE_0
	v_cvt_f32_i32_sdwa v40, sext(v8) dst_sel:DWORD dst_unused:UNUSED_PAD src0_sel:BYTE_1
	v_cvt_f32_i32_sdwa v41, sext(v8) dst_sel:DWORD dst_unused:UNUSED_PAD src0_sel:BYTE_2
	v_ashrrev_i32_e32 v28, 31, v27
	v_add_co_u32 v27, vcc_lo, s6, v27
	v_cvt_f32_i32_sdwa v8, sext(v8) dst_sel:DWORD dst_unused:UNUSED_PAD src0_sel:BYTE_3
	s_waitcnt vmcnt(3)
	v_cvt_f32_i32_sdwa v42, sext(v15) dst_sel:DWORD dst_unused:UNUSED_PAD src0_sel:BYTE_0
	v_add_co_ci_u32_e64 v28, null, s7, v28, vcc_lo
	v_cvt_f32_i32_sdwa v43, sext(v15) dst_sel:DWORD dst_unused:UNUSED_PAD src0_sel:BYTE_1
	v_cvt_f32_i32_sdwa v44, sext(v15) dst_sel:DWORD dst_unused:UNUSED_PAD src0_sel:BYTE_2
	v_cvt_f32_i32_sdwa v15, sext(v15) dst_sel:DWORD dst_unused:UNUSED_PAD src0_sel:BYTE_3
	global_load_dword v30, v[27:28], off
	v_lshlrev_b32_e32 v27, 2, v31
	v_cvt_f32_i32_sdwa v45, sext(v16) dst_sel:DWORD dst_unused:UNUSED_PAD src0_sel:BYTE_0
	v_cvt_f32_i32_sdwa v46, sext(v16) dst_sel:DWORD dst_unused:UNUSED_PAD src0_sel:BYTE_1
	v_cvt_f32_i32_sdwa v47, sext(v16) dst_sel:DWORD dst_unused:UNUSED_PAD src0_sel:BYTE_2
	v_cvt_f32_i32_sdwa v16, sext(v16) dst_sel:DWORD dst_unused:UNUSED_PAD src0_sel:BYTE_3
	v_ashrrev_i32_e32 v28, 31, v27
	v_add_co_u32 v27, vcc_lo, s6, v27
	v_cvt_f32_i32_sdwa v48, sext(v17) dst_sel:DWORD dst_unused:UNUSED_PAD src0_sel:BYTE_0
	v_cvt_f32_i32_sdwa v49, sext(v17) dst_sel:DWORD dst_unused:UNUSED_PAD src0_sel:BYTE_1
	v_add_co_ci_u32_e64 v28, null, s7, v28, vcc_lo
	v_cvt_f32_i32_sdwa v50, sext(v17) dst_sel:DWORD dst_unused:UNUSED_PAD src0_sel:BYTE_2
	v_cvt_f32_i32_sdwa v17, sext(v17) dst_sel:DWORD dst_unused:UNUSED_PAD src0_sel:BYTE_3
	v_cvt_f32_i32_sdwa v51, sext(v18) dst_sel:DWORD dst_unused:UNUSED_PAD src0_sel:BYTE_0
	global_load_dword v31, v[27:28], off
	v_ashrrev_i32_e32 v28, 31, v1
	v_add_co_u32 v27, vcc_lo, s6, v1
	v_cvt_f32_i32_sdwa v52, sext(v18) dst_sel:DWORD dst_unused:UNUSED_PAD src0_sel:BYTE_1
	v_cvt_f32_i32_sdwa v53, sext(v18) dst_sel:DWORD dst_unused:UNUSED_PAD src0_sel:BYTE_2
	v_add_co_ci_u32_e64 v28, null, s7, v28, vcc_lo
	v_cvt_f32_i32_sdwa v18, sext(v18) dst_sel:DWORD dst_unused:UNUSED_PAD src0_sel:BYTE_3
	s_waitcnt vmcnt(4)
	v_cvt_f32_i32_sdwa v54, sext(v19) dst_sel:DWORD dst_unused:UNUSED_PAD src0_sel:BYTE_0
	v_cvt_f32_i32_sdwa v55, sext(v19) dst_sel:DWORD dst_unused:UNUSED_PAD src0_sel:BYTE_1
	global_load_dword v1, v[27:28], off
	v_cvt_f32_i32_sdwa v27, sext(v5) dst_sel:DWORD dst_unused:UNUSED_PAD src0_sel:BYTE_0
	v_cvt_f32_i32_sdwa v28, sext(v5) dst_sel:DWORD dst_unused:UNUSED_PAD src0_sel:BYTE_1
	v_cvt_f32_i32_sdwa v5, sext(v5) dst_sel:DWORD dst_unused:UNUSED_PAD src0_sel:BYTE_3
	v_cvt_f32_i32_sdwa v56, sext(v19) dst_sel:DWORD dst_unused:UNUSED_PAD src0_sel:BYTE_2
	v_cvt_f32_i32_sdwa v19, sext(v19) dst_sel:DWORD dst_unused:UNUSED_PAD src0_sel:BYTE_3
	v_cvt_f32_i32_sdwa v57, sext(v20) dst_sel:DWORD dst_unused:UNUSED_PAD src0_sel:BYTE_0
	v_cvt_f32_i32_sdwa v58, sext(v20) dst_sel:DWORD dst_unused:UNUSED_PAD src0_sel:BYTE_1
	v_cvt_f32_i32_sdwa v59, sext(v20) dst_sel:DWORD dst_unused:UNUSED_PAD src0_sel:BYTE_2
	v_cvt_f32_i32_sdwa v20, sext(v20) dst_sel:DWORD dst_unused:UNUSED_PAD src0_sel:BYTE_3
	v_cvt_f32_i32_sdwa v60, sext(v21) dst_sel:DWORD dst_unused:UNUSED_PAD src0_sel:BYTE_0
	v_cvt_f32_i32_sdwa v61, sext(v21) dst_sel:DWORD dst_unused:UNUSED_PAD src0_sel:BYTE_1
	;; [unrolled: 4-line block ×3, first 2 shown]
	v_cvt_f32_i32_sdwa v65, sext(v22) dst_sel:DWORD dst_unused:UNUSED_PAD src0_sel:BYTE_2
	v_cvt_f32_i32_sdwa v22, sext(v22) dst_sel:DWORD dst_unused:UNUSED_PAD src0_sel:BYTE_3
	s_waitcnt vmcnt(4)
	v_cvt_f32_i32_sdwa v66, sext(v23) dst_sel:DWORD dst_unused:UNUSED_PAD src0_sel:BYTE_0
	v_cvt_f32_i32_sdwa v67, sext(v23) dst_sel:DWORD dst_unused:UNUSED_PAD src0_sel:BYTE_1
	v_cvt_f32_i32_sdwa v68, sext(v23) dst_sel:DWORD dst_unused:UNUSED_PAD src0_sel:BYTE_2
	v_cvt_f32_i32_sdwa v23, sext(v23) dst_sel:DWORD dst_unused:UNUSED_PAD src0_sel:BYTE_3
	v_cvt_f32_i32_sdwa v69, sext(v24) dst_sel:DWORD dst_unused:UNUSED_PAD src0_sel:BYTE_0
	v_cvt_f32_i32_sdwa v70, sext(v24) dst_sel:DWORD dst_unused:UNUSED_PAD src0_sel:BYTE_1
	v_cvt_f32_i32_sdwa v71, sext(v24) dst_sel:DWORD dst_unused:UNUSED_PAD src0_sel:BYTE_2
	v_cvt_f32_i32_sdwa v24, sext(v24) dst_sel:DWORD dst_unused:UNUSED_PAD src0_sel:BYTE_3
	;; [unrolled: 4-line block ×4, first 2 shown]
	v_add_co_u32 v2, vcc_lo, 0x1000, v2
	v_add_co_ci_u32_e64 v3, null, 0, v3, vcc_lo
	v_cmp_ge_i32_e32 vcc_lo, v0, v14
	s_or_b32 s3, vcc_lo, s3
	s_waitcnt vmcnt(3)
	v_cvt_f32_i32_sdwa v78, sext(v29) dst_sel:DWORD dst_unused:UNUSED_PAD src0_sel:BYTE_0
	v_cvt_f32_i32_sdwa v79, sext(v29) dst_sel:DWORD dst_unused:UNUSED_PAD src0_sel:BYTE_1
	v_fmac_f32_e32 v11, v27, v78
	v_fmac_f32_e32 v13, v28, v78
	v_fmac_f32_e32 v12, v32, v78
	v_fmac_f32_e32 v10, v5, v78
	v_cvt_f32_i32_sdwa v5, sext(v29) dst_sel:DWORD dst_unused:UNUSED_PAD src0_sel:BYTE_2
	v_fmac_f32_e32 v11, v33, v79
	v_fmac_f32_e32 v13, v34, v79
	v_fmac_f32_e32 v12, v35, v79
	v_fmac_f32_e32 v10, v6, v79
	v_cvt_f32_i32_sdwa v6, sext(v29) dst_sel:DWORD dst_unused:UNUSED_PAD src0_sel:BYTE_3
	v_fmac_f32_e32 v11, v36, v5
	v_fmac_f32_e32 v13, v37, v5
	v_fmac_f32_e32 v12, v38, v5
	v_fmac_f32_e32 v10, v7, v5
	s_waitcnt vmcnt(2)
	v_cvt_f32_i32_sdwa v5, sext(v30) dst_sel:DWORD dst_unused:UNUSED_PAD src0_sel:BYTE_0
	v_fmac_f32_e32 v11, v39, v6
	v_fmac_f32_e32 v13, v40, v6
	v_fmac_f32_e32 v12, v41, v6
	v_fmac_f32_e32 v10, v8, v6
	v_cvt_f32_i32_sdwa v6, sext(v30) dst_sel:DWORD dst_unused:UNUSED_PAD src0_sel:BYTE_1
	v_fmac_f32_e32 v11, v42, v5
	v_fmac_f32_e32 v13, v43, v5
	v_fmac_f32_e32 v12, v44, v5
	v_fmac_f32_e32 v10, v15, v5
	v_cvt_f32_i32_sdwa v5, sext(v30) dst_sel:DWORD dst_unused:UNUSED_PAD src0_sel:BYTE_2
	v_fmac_f32_e32 v11, v45, v6
	v_fmac_f32_e32 v13, v46, v6
	v_fmac_f32_e32 v12, v47, v6
	v_fmac_f32_e32 v10, v16, v6
	v_cvt_f32_i32_sdwa v6, sext(v30) dst_sel:DWORD dst_unused:UNUSED_PAD src0_sel:BYTE_3
	v_fmac_f32_e32 v11, v48, v5
	v_fmac_f32_e32 v13, v49, v5
	v_fmac_f32_e32 v12, v50, v5
	v_fmac_f32_e32 v10, v17, v5
	s_waitcnt vmcnt(1)
	v_cvt_f32_i32_sdwa v5, sext(v31) dst_sel:DWORD dst_unused:UNUSED_PAD src0_sel:BYTE_0
	v_fmac_f32_e32 v11, v51, v6
	v_fmac_f32_e32 v13, v52, v6
	v_fmac_f32_e32 v12, v53, v6
	v_fmac_f32_e32 v10, v18, v6
	;; [unrolled: 21-line block ×3, first 2 shown]
	v_cvt_f32_i32_sdwa v6, sext(v1) dst_sel:DWORD dst_unused:UNUSED_PAD src0_sel:BYTE_1
	v_fmac_f32_e32 v11, v66, v5
	v_fmac_f32_e32 v13, v67, v5
	;; [unrolled: 1-line block ×4, first 2 shown]
	v_cvt_f32_i32_sdwa v5, sext(v1) dst_sel:DWORD dst_unused:UNUSED_PAD src0_sel:BYTE_2
	v_fmac_f32_e32 v11, v69, v6
	v_fmac_f32_e32 v13, v70, v6
	;; [unrolled: 1-line block ×4, first 2 shown]
	v_cvt_f32_i32_sdwa v1, sext(v1) dst_sel:DWORD dst_unused:UNUSED_PAD src0_sel:BYTE_3
	v_fmac_f32_e32 v11, v72, v5
	v_fmac_f32_e32 v13, v73, v5
	;; [unrolled: 1-line block ×8, first 2 shown]
	s_andn2_b32 exec_lo, exec_lo, s3
	s_cbranch_execnz .LBB79_33
; %bb.34:
	s_or_b32 exec_lo, exec_lo, s3
.LBB79_35:
	s_or_b32 exec_lo, exec_lo, s0
.LBB79_36:
	s_or_b32 exec_lo, exec_lo, s1
.LBB79_37:
	v_mbcnt_lo_u32_b32 v0, -1, 0
	s_mov_b32 s3, -1
	v_or_b32_e32 v1, 32, v0
	v_xor_b32_e32 v6, 16, v0
	v_cmp_gt_i32_e32 vcc_lo, 32, v1
	v_cndmask_b32_e32 v1, v0, v1, vcc_lo
	v_cmp_gt_i32_e32 vcc_lo, 32, v6
	v_lshlrev_b32_e32 v1, 2, v1
	v_cndmask_b32_e32 v6, v0, v6, vcc_lo
	ds_bpermute_b32 v2, v1, v11
	ds_bpermute_b32 v3, v1, v13
	;; [unrolled: 1-line block ×4, first 2 shown]
	v_lshlrev_b32_e32 v6, 2, v6
	s_waitcnt lgkmcnt(3)
	v_add_f32_e32 v2, v11, v2
	s_waitcnt lgkmcnt(2)
	v_add_f32_e32 v3, v13, v3
	;; [unrolled: 2-line block ×4, first 2 shown]
	v_xor_b32_e32 v11, 8, v0
	ds_bpermute_b32 v7, v6, v2
	ds_bpermute_b32 v8, v6, v3
	;; [unrolled: 1-line block ×4, first 2 shown]
	v_cmp_gt_i32_e32 vcc_lo, 32, v11
	v_cndmask_b32_e32 v11, v0, v11, vcc_lo
	v_lshlrev_b32_e32 v11, 2, v11
	s_waitcnt lgkmcnt(3)
	v_add_f32_e32 v2, v2, v7
	s_waitcnt lgkmcnt(2)
	v_add_f32_e32 v3, v3, v8
	s_waitcnt lgkmcnt(1)
	v_add_f32_e32 v5, v5, v10
	s_waitcnt lgkmcnt(0)
	v_add_f32_e32 v1, v1, v6
	ds_bpermute_b32 v6, v11, v2
	ds_bpermute_b32 v7, v11, v3
	ds_bpermute_b32 v8, v11, v5
	ds_bpermute_b32 v10, v11, v1
	v_xor_b32_e32 v11, 4, v0
	v_cmp_gt_i32_e32 vcc_lo, 32, v11
	v_cndmask_b32_e32 v11, v0, v11, vcc_lo
	v_lshlrev_b32_e32 v11, 2, v11
	s_waitcnt lgkmcnt(3)
	v_add_f32_e32 v2, v2, v6
	s_waitcnt lgkmcnt(2)
	v_add_f32_e32 v3, v3, v7
	s_waitcnt lgkmcnt(1)
	v_add_f32_e32 v5, v5, v8
	s_waitcnt lgkmcnt(0)
	v_add_f32_e32 v1, v1, v10
	ds_bpermute_b32 v6, v11, v2
	ds_bpermute_b32 v7, v11, v3
	ds_bpermute_b32 v8, v11, v5
	ds_bpermute_b32 v10, v11, v1
	v_xor_b32_e32 v11, 2, v0
	;; [unrolled: 16-line block ×3, first 2 shown]
	v_cmp_gt_i32_e32 vcc_lo, 32, v11
	v_cndmask_b32_e32 v0, v0, v11, vcc_lo
	v_cmp_eq_u32_e32 vcc_lo, 63, v9
	v_lshlrev_b32_e32 v11, 2, v0
	s_waitcnt lgkmcnt(3)
	v_add_f32_e32 v0, v2, v1
	s_waitcnt lgkmcnt(2)
	v_add_f32_e32 v1, v3, v7
	;; [unrolled: 2-line block ×4, first 2 shown]
	ds_bpermute_b32 v5, v11, v0
	ds_bpermute_b32 v6, v11, v1
	;; [unrolled: 1-line block ×4, first 2 shown]
	s_and_b32 exec_lo, exec_lo, vcc_lo
	s_cbranch_execz .LBB79_10
; %bb.38:
	s_load_dwordx2 s[0:1], s[4:5], 0x50
	s_waitcnt lgkmcnt(0)
	v_add_f32_e32 v0, v0, v5
	v_add_f32_e32 v1, v1, v6
	;; [unrolled: 1-line block ×4, first 2 shown]
	v_cmp_eq_f32_e64 s4, s2, 0
	v_mul_f32_e32 v0, s16, v0
	v_mul_f32_e32 v1, s16, v1
	;; [unrolled: 1-line block ×4, first 2 shown]
	v_lshlrev_b32_e32 v4, 2, v4
	s_and_b32 vcc_lo, exec_lo, s4
	s_cbranch_vccz .LBB79_40
; %bb.39:
	v_ashrrev_i32_e32 v5, 31, v4
	s_mov_b32 s3, 0
	v_lshlrev_b64 v[5:6], 2, v[4:5]
	v_add_co_u32 v5, vcc_lo, s0, v5
	v_add_co_ci_u32_e64 v6, null, s1, v6, vcc_lo
	global_store_dwordx4 v[5:6], v[0:3], off
.LBB79_40:
	s_andn2_b32 vcc_lo, exec_lo, s3
	s_cbranch_vccnz .LBB79_10
; %bb.41:
	v_ashrrev_i32_e32 v5, 31, v4
	v_lshlrev_b64 v[4:5], 2, v[4:5]
	v_add_co_u32 v8, vcc_lo, s0, v4
	v_add_co_ci_u32_e64 v9, null, s1, v5, vcc_lo
	global_load_dwordx4 v[4:7], v[8:9], off
	s_waitcnt vmcnt(0)
	v_fmac_f32_e32 v0, s2, v4
	v_fmac_f32_e32 v1, s2, v5
	;; [unrolled: 1-line block ×4, first 2 shown]
	global_store_dwordx4 v[8:9], v[0:3], off
	s_endpgm
	.section	.rodata,"a",@progbits
	.p2align	6, 0x0
	.amdhsa_kernel _ZN9rocsparseL18bsrxmvn_4x4_kernelILj128ELj64EfiiaafEEvT3_20rocsparse_direction_NS_24const_host_device_scalarIT1_EES1_PKS1_PKT2_SA_S7_PKT4_PKT5_S5_PT6_21rocsparse_index_base_b
		.amdhsa_group_segment_fixed_size 0
		.amdhsa_private_segment_fixed_size 0
		.amdhsa_kernarg_size 96
		.amdhsa_user_sgpr_count 6
		.amdhsa_user_sgpr_private_segment_buffer 1
		.amdhsa_user_sgpr_dispatch_ptr 0
		.amdhsa_user_sgpr_queue_ptr 0
		.amdhsa_user_sgpr_kernarg_segment_ptr 1
		.amdhsa_user_sgpr_dispatch_id 0
		.amdhsa_user_sgpr_flat_scratch_init 0
		.amdhsa_user_sgpr_private_segment_size 0
		.amdhsa_wavefront_size32 1
		.amdhsa_uses_dynamic_stack 0
		.amdhsa_system_sgpr_private_segment_wavefront_offset 0
		.amdhsa_system_sgpr_workgroup_id_x 1
		.amdhsa_system_sgpr_workgroup_id_y 0
		.amdhsa_system_sgpr_workgroup_id_z 0
		.amdhsa_system_sgpr_workgroup_info 0
		.amdhsa_system_vgpr_workitem_id 0
		.amdhsa_next_free_vgpr 84
		.amdhsa_next_free_sgpr 20
		.amdhsa_reserve_vcc 1
		.amdhsa_reserve_flat_scratch 0
		.amdhsa_float_round_mode_32 0
		.amdhsa_float_round_mode_16_64 0
		.amdhsa_float_denorm_mode_32 3
		.amdhsa_float_denorm_mode_16_64 3
		.amdhsa_dx10_clamp 1
		.amdhsa_ieee_mode 1
		.amdhsa_fp16_overflow 0
		.amdhsa_workgroup_processor_mode 1
		.amdhsa_memory_ordered 1
		.amdhsa_forward_progress 1
		.amdhsa_shared_vgpr_count 0
		.amdhsa_exception_fp_ieee_invalid_op 0
		.amdhsa_exception_fp_denorm_src 0
		.amdhsa_exception_fp_ieee_div_zero 0
		.amdhsa_exception_fp_ieee_overflow 0
		.amdhsa_exception_fp_ieee_underflow 0
		.amdhsa_exception_fp_ieee_inexact 0
		.amdhsa_exception_int_div_zero 0
	.end_amdhsa_kernel
	.section	.text._ZN9rocsparseL18bsrxmvn_4x4_kernelILj128ELj64EfiiaafEEvT3_20rocsparse_direction_NS_24const_host_device_scalarIT1_EES1_PKS1_PKT2_SA_S7_PKT4_PKT5_S5_PT6_21rocsparse_index_base_b,"axG",@progbits,_ZN9rocsparseL18bsrxmvn_4x4_kernelILj128ELj64EfiiaafEEvT3_20rocsparse_direction_NS_24const_host_device_scalarIT1_EES1_PKS1_PKT2_SA_S7_PKT4_PKT5_S5_PT6_21rocsparse_index_base_b,comdat
.Lfunc_end79:
	.size	_ZN9rocsparseL18bsrxmvn_4x4_kernelILj128ELj64EfiiaafEEvT3_20rocsparse_direction_NS_24const_host_device_scalarIT1_EES1_PKS1_PKT2_SA_S7_PKT4_PKT5_S5_PT6_21rocsparse_index_base_b, .Lfunc_end79-_ZN9rocsparseL18bsrxmvn_4x4_kernelILj128ELj64EfiiaafEEvT3_20rocsparse_direction_NS_24const_host_device_scalarIT1_EES1_PKS1_PKT2_SA_S7_PKT4_PKT5_S5_PT6_21rocsparse_index_base_b
                                        ; -- End function
	.set _ZN9rocsparseL18bsrxmvn_4x4_kernelILj128ELj64EfiiaafEEvT3_20rocsparse_direction_NS_24const_host_device_scalarIT1_EES1_PKS1_PKT2_SA_S7_PKT4_PKT5_S5_PT6_21rocsparse_index_base_b.num_vgpr, 84
	.set _ZN9rocsparseL18bsrxmvn_4x4_kernelILj128ELj64EfiiaafEEvT3_20rocsparse_direction_NS_24const_host_device_scalarIT1_EES1_PKS1_PKT2_SA_S7_PKT4_PKT5_S5_PT6_21rocsparse_index_base_b.num_agpr, 0
	.set _ZN9rocsparseL18bsrxmvn_4x4_kernelILj128ELj64EfiiaafEEvT3_20rocsparse_direction_NS_24const_host_device_scalarIT1_EES1_PKS1_PKT2_SA_S7_PKT4_PKT5_S5_PT6_21rocsparse_index_base_b.numbered_sgpr, 20
	.set _ZN9rocsparseL18bsrxmvn_4x4_kernelILj128ELj64EfiiaafEEvT3_20rocsparse_direction_NS_24const_host_device_scalarIT1_EES1_PKS1_PKT2_SA_S7_PKT4_PKT5_S5_PT6_21rocsparse_index_base_b.num_named_barrier, 0
	.set _ZN9rocsparseL18bsrxmvn_4x4_kernelILj128ELj64EfiiaafEEvT3_20rocsparse_direction_NS_24const_host_device_scalarIT1_EES1_PKS1_PKT2_SA_S7_PKT4_PKT5_S5_PT6_21rocsparse_index_base_b.private_seg_size, 0
	.set _ZN9rocsparseL18bsrxmvn_4x4_kernelILj128ELj64EfiiaafEEvT3_20rocsparse_direction_NS_24const_host_device_scalarIT1_EES1_PKS1_PKT2_SA_S7_PKT4_PKT5_S5_PT6_21rocsparse_index_base_b.uses_vcc, 1
	.set _ZN9rocsparseL18bsrxmvn_4x4_kernelILj128ELj64EfiiaafEEvT3_20rocsparse_direction_NS_24const_host_device_scalarIT1_EES1_PKS1_PKT2_SA_S7_PKT4_PKT5_S5_PT6_21rocsparse_index_base_b.uses_flat_scratch, 0
	.set _ZN9rocsparseL18bsrxmvn_4x4_kernelILj128ELj64EfiiaafEEvT3_20rocsparse_direction_NS_24const_host_device_scalarIT1_EES1_PKS1_PKT2_SA_S7_PKT4_PKT5_S5_PT6_21rocsparse_index_base_b.has_dyn_sized_stack, 0
	.set _ZN9rocsparseL18bsrxmvn_4x4_kernelILj128ELj64EfiiaafEEvT3_20rocsparse_direction_NS_24const_host_device_scalarIT1_EES1_PKS1_PKT2_SA_S7_PKT4_PKT5_S5_PT6_21rocsparse_index_base_b.has_recursion, 0
	.set _ZN9rocsparseL18bsrxmvn_4x4_kernelILj128ELj64EfiiaafEEvT3_20rocsparse_direction_NS_24const_host_device_scalarIT1_EES1_PKS1_PKT2_SA_S7_PKT4_PKT5_S5_PT6_21rocsparse_index_base_b.has_indirect_call, 0
	.section	.AMDGPU.csdata,"",@progbits
; Kernel info:
; codeLenInByte = 4720
; TotalNumSgprs: 22
; NumVgprs: 84
; ScratchSize: 0
; MemoryBound: 0
; FloatMode: 240
; IeeeMode: 1
; LDSByteSize: 0 bytes/workgroup (compile time only)
; SGPRBlocks: 0
; VGPRBlocks: 10
; NumSGPRsForWavesPerEU: 22
; NumVGPRsForWavesPerEU: 84
; Occupancy: 10
; WaveLimiterHint : 1
; COMPUTE_PGM_RSRC2:SCRATCH_EN: 0
; COMPUTE_PGM_RSRC2:USER_SGPR: 6
; COMPUTE_PGM_RSRC2:TRAP_HANDLER: 0
; COMPUTE_PGM_RSRC2:TGID_X_EN: 1
; COMPUTE_PGM_RSRC2:TGID_Y_EN: 0
; COMPUTE_PGM_RSRC2:TGID_Z_EN: 0
; COMPUTE_PGM_RSRC2:TIDIG_COMP_CNT: 0
	.section	.text._ZN9rocsparseL18bsrxmvn_4x4_kernelILj128ELj4EfliaafEEvT3_20rocsparse_direction_NS_24const_host_device_scalarIT1_EES1_PKS1_PKT2_SA_S7_PKT4_PKT5_S5_PT6_21rocsparse_index_base_b,"axG",@progbits,_ZN9rocsparseL18bsrxmvn_4x4_kernelILj128ELj4EfliaafEEvT3_20rocsparse_direction_NS_24const_host_device_scalarIT1_EES1_PKS1_PKT2_SA_S7_PKT4_PKT5_S5_PT6_21rocsparse_index_base_b,comdat
	.globl	_ZN9rocsparseL18bsrxmvn_4x4_kernelILj128ELj4EfliaafEEvT3_20rocsparse_direction_NS_24const_host_device_scalarIT1_EES1_PKS1_PKT2_SA_S7_PKT4_PKT5_S5_PT6_21rocsparse_index_base_b ; -- Begin function _ZN9rocsparseL18bsrxmvn_4x4_kernelILj128ELj4EfliaafEEvT3_20rocsparse_direction_NS_24const_host_device_scalarIT1_EES1_PKS1_PKT2_SA_S7_PKT4_PKT5_S5_PT6_21rocsparse_index_base_b
	.p2align	8
	.type	_ZN9rocsparseL18bsrxmvn_4x4_kernelILj128ELj4EfliaafEEvT3_20rocsparse_direction_NS_24const_host_device_scalarIT1_EES1_PKS1_PKT2_SA_S7_PKT4_PKT5_S5_PT6_21rocsparse_index_base_b,@function
_ZN9rocsparseL18bsrxmvn_4x4_kernelILj128ELj4EfliaafEEvT3_20rocsparse_direction_NS_24const_host_device_scalarIT1_EES1_PKS1_PKT2_SA_S7_PKT4_PKT5_S5_PT6_21rocsparse_index_base_b: ; @_ZN9rocsparseL18bsrxmvn_4x4_kernelILj128ELj4EfliaafEEvT3_20rocsparse_direction_NS_24const_host_device_scalarIT1_EES1_PKS1_PKT2_SA_S7_PKT4_PKT5_S5_PT6_21rocsparse_index_base_b
; %bb.0:
	s_clause 0x2
	s_load_dwordx2 s[18:19], s[4:5], 0x58
	s_load_dwordx2 s[16:17], s[4:5], 0x8
	s_load_dwordx2 s[2:3], s[4:5], 0x48
	s_waitcnt lgkmcnt(0)
	s_bitcmp1_b32 s19, 0
	s_cselect_b32 s0, -1, 0
	s_and_b32 vcc_lo, exec_lo, s0
	s_xor_b32 s0, s0, -1
	s_cbranch_vccnz .LBB80_2
; %bb.1:
	s_load_dword s16, s[16:17], 0x0
.LBB80_2:
	s_andn2_b32 vcc_lo, exec_lo, s0
	s_cbranch_vccnz .LBB80_4
; %bb.3:
	s_load_dword s2, s[2:3], 0x0
.LBB80_4:
	s_waitcnt lgkmcnt(0)
	v_cmp_neq_f32_e64 s0, s16, 0
	v_cmp_neq_f32_e64 s1, s2, 1.0
	s_mov_b32 s3, 0
	s_or_b32 s0, s0, s1
	s_andn2_b32 vcc_lo, exec_lo, s0
	s_cbranch_vccnz .LBB80_10
; %bb.5:
	s_clause 0x1
	s_load_dwordx2 s[8:9], s[4:5], 0x18
	s_load_dwordx2 s[0:1], s[4:5], 0x0
	v_lshrrev_b32_e32 v1, 2, v0
	v_lshl_or_b32 v4, s6, 5, v1
	s_waitcnt lgkmcnt(0)
	s_cmp_lg_u64 s[8:9], 0
	s_cbranch_scc0 .LBB80_11
; %bb.6:
	s_load_dword s3, s[4:5], 0x10
	s_mov_b32 s6, 0
                                        ; implicit-def: $vgpr1
	s_waitcnt lgkmcnt(0)
	v_cmp_gt_i32_e32 vcc_lo, s3, v4
	s_mov_b32 s3, 0
	s_and_saveexec_b32 s7, vcc_lo
	s_xor_b32 s7, exec_lo, s7
	s_cbranch_execz .LBB80_8
; %bb.7:
	v_ashrrev_i32_e32 v5, 31, v4
	s_mov_b32 s3, exec_lo
	v_lshlrev_b64 v[1:2], 2, v[4:5]
	v_add_co_u32 v1, vcc_lo, s8, v1
	v_add_co_ci_u32_e64 v2, null, s9, v2, vcc_lo
	global_load_dword v1, v[1:2], off
	s_waitcnt vmcnt(0)
	v_subrev_nc_u32_e32 v1, s18, v1
.LBB80_8:
	s_or_b32 exec_lo, exec_lo, s7
	s_and_b32 vcc_lo, exec_lo, s6
	s_cbranch_vccz .LBB80_12
.LBB80_9:
	v_cmp_gt_i32_e32 vcc_lo, s0, v4
	s_andn2_b32 s0, s3, exec_lo
	s_and_b32 s3, vcc_lo, exec_lo
	s_or_b32 s3, s0, s3
	s_and_saveexec_b32 s0, s3
	s_cbranch_execnz .LBB80_13
.LBB80_10:
	s_endpgm
.LBB80_11:
                                        ; implicit-def: $vgpr1
	s_cbranch_execnz .LBB80_9
.LBB80_12:
	v_mov_b32_e32 v4, v1
	s_and_saveexec_b32 s0, s3
	s_cbranch_execz .LBB80_10
.LBB80_13:
	s_load_dwordx8 s[8:15], s[4:5], 0x20
	v_ashrrev_i32_e32 v5, 31, v4
	v_and_b32_e32 v21, 3, v0
	s_load_dwordx2 s[6:7], s[4:5], 0x40
	v_mov_b32_e32 v22, 0
	v_lshlrev_b64 v[1:2], 3, v[4:5]
	s_waitcnt lgkmcnt(0)
	v_add_co_u32 v5, vcc_lo, s8, v1
	v_add_co_ci_u32_e64 v6, null, s9, v2, vcc_lo
	v_add_co_u32 v1, vcc_lo, s10, v1
	v_add_co_ci_u32_e64 v2, null, s11, v2, vcc_lo
	v_add_co_u32 v3, vcc_lo, v5, 8
	global_load_dwordx2 v[9:10], v[5:6], off
	v_add_co_ci_u32_e64 v7, null, 0, v6, vcc_lo
	s_cmp_eq_u64 s[10:11], 0
	s_cselect_b32 vcc_lo, -1, 0
	s_cmp_eq_u32 s1, 1
	v_cndmask_b32_e32 v2, v2, v7, vcc_lo
	v_cndmask_b32_e32 v1, v1, v3, vcc_lo
	global_load_dwordx2 v[2:3], v[1:2], off
	s_waitcnt vmcnt(1)
	v_sub_co_u32 v0, vcc_lo, v9, s18
	v_subrev_co_ci_u32_e64 v1, null, 0, v10, vcc_lo
	v_add_co_u32 v0, vcc_lo, v0, v21
	v_add_co_ci_u32_e64 v1, null, 0, v1, vcc_lo
	v_lshlrev_b64 v[5:6], 4, v[0:1]
	s_waitcnt vmcnt(0)
	v_sub_co_u32 v2, vcc_lo, v2, s18
	v_subrev_co_ci_u32_e64 v3, null, 0, v3, vcc_lo
	v_add_co_u32 v5, vcc_lo, s14, v5
	v_cmp_lt_i64_e64 s0, v[0:1], v[2:3]
	v_add_co_ci_u32_e64 v6, null, s15, v6, vcc_lo
	s_cbranch_scc1 .LBB80_25
; %bb.14:
	v_mov_b32_e32 v23, 0
	v_mov_b32_e32 v24, 0
	;; [unrolled: 1-line block ×3, first 2 shown]
	s_and_saveexec_b32 s1, s0
	s_cbranch_execz .LBB80_24
; %bb.15:
	v_or_b32_e32 v7, 4, v21
	v_not_b32_e32 v12, v9
	v_not_b32_e32 v11, v10
	v_sub_co_u32 v7, s3, v7, s18
	v_sub_co_ci_u32_e64 v8, null, 0, 0, s3
	v_sub_co_u32 v13, s3, s18, v21
	v_add_co_u32 v7, vcc_lo, v7, v9
	v_add_co_ci_u32_e64 v8, null, v8, v10, vcc_lo
	v_sub_co_ci_u32_e64 v14, null, 0, 0, s3
	s_mov_b32 s3, exec_lo
	v_cmp_gt_i64_e32 vcc_lo, v[7:8], v[2:3]
	v_cndmask_b32_e32 v16, v3, v8, vcc_lo
	v_cndmask_b32_e32 v7, v2, v7, vcc_lo
	v_add_co_u32 v8, vcc_lo, v13, v12
	v_add_co_ci_u32_e64 v11, null, v14, v11, vcc_lo
	v_mov_b32_e32 v14, v6
	v_add_co_u32 v15, vcc_lo, v8, v7
	v_mov_b32_e32 v8, 0
	v_add_co_ci_u32_e64 v16, null, v11, v16, vcc_lo
	v_mov_b32_e32 v12, v1
	v_and_b32_e32 v7, 12, v15
	v_mov_b32_e32 v24, v8
	v_mov_b32_e32 v23, v8
	;; [unrolled: 1-line block ×5, first 2 shown]
	v_cmpx_ne_u64_e32 12, v[7:8]
	s_cbranch_execz .LBB80_19
; %bb.16:
	v_lshrrev_b32_e32 v7, 2, v15
	v_mov_b32_e32 v14, v6
	v_mov_b32_e32 v12, v1
	;; [unrolled: 1-line block ×4, first 2 shown]
	v_add_nc_u32_e32 v17, 1, v7
	v_lshlrev_b64 v[7:8], 2, v[0:1]
	v_mov_b32_e32 v11, v0
	v_mov_b32_e32 v23, 0
	;; [unrolled: 1-line block ×3, first 2 shown]
	v_and_b32_e32 v19, 3, v17
	v_add_co_u32 v17, vcc_lo, s12, v7
	v_add_co_ci_u32_e64 v18, null, s13, v8, vcc_lo
	v_sub_co_u32 v19, s8, 0, v19
	v_sub_co_ci_u32_e64 v20, null, 0, 0, s8
	v_mov_b32_e32 v8, 0
	s_mov_b32 s8, 0
.LBB80_17:                              ; =>This Inner Loop Header: Depth=1
	global_load_dword v7, v[17:18], off
	s_waitcnt vmcnt(0)
	v_subrev_nc_u32_e32 v7, s18, v7
	v_lshlrev_b32_e32 v7, 2, v7
	v_ashrrev_i32_e32 v25, 31, v7
	v_add_co_u32 v29, vcc_lo, s6, v7
	v_add_co_ci_u32_e64 v30, null, s7, v25, vcc_lo
	global_load_dwordx4 v[25:28], v[13:14], off
	global_load_dword v7, v[29:30], off
	v_add_co_u32 v13, vcc_lo, v13, 64
	v_add_co_ci_u32_e64 v14, null, 0, v14, vcc_lo
	v_add_co_u32 v11, vcc_lo, v11, 4
	v_add_co_ci_u32_e64 v12, null, 0, v12, vcc_lo
	;; [unrolled: 2-line block ×4, first 2 shown]
	v_cmp_eq_u64_e32 vcc_lo, 0, v[19:20]
	s_or_b32 s8, vcc_lo, s8
	s_waitcnt vmcnt(1)
	v_cvt_f32_i32_sdwa v29, sext(v25) dst_sel:DWORD dst_unused:UNUSED_PAD src0_sel:BYTE_0
	v_cvt_f32_i32_sdwa v32, sext(v26) dst_sel:DWORD dst_unused:UNUSED_PAD src0_sel:BYTE_0
	;; [unrolled: 1-line block ×4, first 2 shown]
	s_waitcnt vmcnt(0)
	v_cvt_f32_i32_sdwa v41, sext(v7) dst_sel:DWORD dst_unused:UNUSED_PAD src0_sel:BYTE_0
	v_cvt_f32_i32_sdwa v30, sext(v25) dst_sel:DWORD dst_unused:UNUSED_PAD src0_sel:BYTE_1
	v_cvt_f32_i32_sdwa v33, sext(v26) dst_sel:DWORD dst_unused:UNUSED_PAD src0_sel:BYTE_1
	v_cvt_f32_i32_sdwa v36, sext(v27) dst_sel:DWORD dst_unused:UNUSED_PAD src0_sel:BYTE_1
	v_cvt_f32_i32_sdwa v39, sext(v28) dst_sel:DWORD dst_unused:UNUSED_PAD src0_sel:BYTE_1
	v_cvt_f32_i32_sdwa v42, sext(v7) dst_sel:DWORD dst_unused:UNUSED_PAD src0_sel:BYTE_1
	v_fmac_f32_e32 v8, v29, v41
	v_fmac_f32_e32 v24, v32, v41
	v_fmac_f32_e32 v23, v35, v41
	v_fmac_f32_e32 v22, v38, v41
	v_cvt_f32_i32_sdwa v31, sext(v25) dst_sel:DWORD dst_unused:UNUSED_PAD src0_sel:BYTE_2
	v_cvt_f32_i32_sdwa v34, sext(v26) dst_sel:DWORD dst_unused:UNUSED_PAD src0_sel:BYTE_2
	;; [unrolled: 1-line block ×5, first 2 shown]
	v_fmac_f32_e32 v8, v30, v42
	v_fmac_f32_e32 v24, v33, v42
	;; [unrolled: 1-line block ×4, first 2 shown]
	v_cvt_f32_i32_sdwa v25, sext(v25) dst_sel:DWORD dst_unused:UNUSED_PAD src0_sel:BYTE_3
	v_cvt_f32_i32_sdwa v26, sext(v26) dst_sel:DWORD dst_unused:UNUSED_PAD src0_sel:BYTE_3
	;; [unrolled: 1-line block ×5, first 2 shown]
	v_fmac_f32_e32 v8, v31, v29
	v_fmac_f32_e32 v24, v34, v29
	;; [unrolled: 1-line block ×8, first 2 shown]
	s_andn2_b32 exec_lo, exec_lo, s8
	s_cbranch_execnz .LBB80_17
; %bb.18:
	s_or_b32 exec_lo, exec_lo, s8
.LBB80_19:
	s_or_b32 exec_lo, exec_lo, s3
	s_mov_b32 s3, exec_lo
	v_cmpx_lt_u64_e32 11, v[15:16]
	s_cbranch_execz .LBB80_23
; %bb.20:
	v_lshlrev_b64 v[15:16], 2, v[11:12]
	s_mov_b32 s8, 0
	v_add_co_u32 v7, vcc_lo, s12, v15
	v_add_co_ci_u32_e64 v16, null, s13, v16, vcc_lo
	v_add_co_u32 v15, vcc_lo, v7, 32
	v_add_co_ci_u32_e64 v16, null, 0, v16, vcc_lo
.LBB80_21:                              ; =>This Inner Loop Header: Depth=1
	s_clause 0x3
	global_load_dword v7, v[15:16], off offset:-32
	global_load_dword v37, v[15:16], off offset:-16
	global_load_dword v38, v[15:16], off
	global_load_dword v39, v[15:16], off offset:16
	s_clause 0x3
	global_load_dwordx4 v[17:20], v[13:14], off
	global_load_dwordx4 v[25:28], v[13:14], off offset:64
	global_load_dwordx4 v[29:32], v[13:14], off offset:128
	;; [unrolled: 1-line block ×3, first 2 shown]
	s_waitcnt vmcnt(7)
	v_subrev_nc_u32_e32 v7, s18, v7
	s_waitcnt vmcnt(6)
	v_subrev_nc_u32_e32 v40, s18, v37
	;; [unrolled: 2-line block ×3, first 2 shown]
	s_waitcnt vmcnt(3)
	v_cvt_f32_i32_sdwa v43, sext(v18) dst_sel:DWORD dst_unused:UNUSED_PAD src0_sel:BYTE_0
	v_lshlrev_b32_e32 v7, 2, v7
	v_cvt_f32_i32_sdwa v46, sext(v19) dst_sel:DWORD dst_unused:UNUSED_PAD src0_sel:BYTE_0
	v_cvt_f32_i32_sdwa v49, sext(v20) dst_sel:DWORD dst_unused:UNUSED_PAD src0_sel:BYTE_0
	v_cvt_f32_i32_sdwa v44, sext(v18) dst_sel:DWORD dst_unused:UNUSED_PAD src0_sel:BYTE_1
	v_cvt_f32_i32_sdwa v47, sext(v19) dst_sel:DWORD dst_unused:UNUSED_PAD src0_sel:BYTE_1
	v_ashrrev_i32_e32 v38, 31, v7
	v_add_co_u32 v37, vcc_lo, s6, v7
	v_subrev_nc_u32_e32 v7, s18, v39
	v_cvt_f32_i32_sdwa v50, sext(v20) dst_sel:DWORD dst_unused:UNUSED_PAD src0_sel:BYTE_1
	v_add_co_ci_u32_e64 v38, null, s7, v38, vcc_lo
	v_cvt_f32_i32_sdwa v42, sext(v17) dst_sel:DWORD dst_unused:UNUSED_PAD src0_sel:BYTE_2
	v_lshlrev_b32_e32 v7, 2, v7
	v_cvt_f32_i32_sdwa v45, sext(v18) dst_sel:DWORD dst_unused:UNUSED_PAD src0_sel:BYTE_2
	global_load_dword v39, v[37:38], off
	v_lshlrev_b32_e32 v37, 2, v40
	v_cvt_f32_i32_sdwa v48, sext(v19) dst_sel:DWORD dst_unused:UNUSED_PAD src0_sel:BYTE_2
	v_cvt_f32_i32_sdwa v51, sext(v20) dst_sel:DWORD dst_unused:UNUSED_PAD src0_sel:BYTE_2
	v_cvt_f32_i32_sdwa v18, sext(v18) dst_sel:DWORD dst_unused:UNUSED_PAD src0_sel:BYTE_3
	v_cvt_f32_i32_sdwa v19, sext(v19) dst_sel:DWORD dst_unused:UNUSED_PAD src0_sel:BYTE_3
	v_ashrrev_i32_e32 v38, 31, v37
	v_add_co_u32 v37, vcc_lo, s6, v37
	v_cvt_f32_i32_sdwa v20, sext(v20) dst_sel:DWORD dst_unused:UNUSED_PAD src0_sel:BYTE_3
	s_waitcnt vmcnt(3)
	v_cvt_f32_i32_sdwa v52, sext(v25) dst_sel:DWORD dst_unused:UNUSED_PAD src0_sel:BYTE_0
	v_add_co_ci_u32_e64 v38, null, s7, v38, vcc_lo
	v_cvt_f32_i32_sdwa v55, sext(v26) dst_sel:DWORD dst_unused:UNUSED_PAD src0_sel:BYTE_0
	v_cvt_f32_i32_sdwa v58, sext(v27) dst_sel:DWORD dst_unused:UNUSED_PAD src0_sel:BYTE_0
	;; [unrolled: 1-line block ×3, first 2 shown]
	global_load_dword v40, v[37:38], off
	v_lshlrev_b32_e32 v37, 2, v41
	v_cvt_f32_i32_sdwa v53, sext(v25) dst_sel:DWORD dst_unused:UNUSED_PAD src0_sel:BYTE_1
	v_cvt_f32_i32_sdwa v56, sext(v26) dst_sel:DWORD dst_unused:UNUSED_PAD src0_sel:BYTE_1
	;; [unrolled: 1-line block ×4, first 2 shown]
	v_ashrrev_i32_e32 v38, 31, v37
	v_add_co_u32 v37, vcc_lo, s6, v37
	v_cvt_f32_i32_sdwa v54, sext(v25) dst_sel:DWORD dst_unused:UNUSED_PAD src0_sel:BYTE_2
	v_cvt_f32_i32_sdwa v57, sext(v26) dst_sel:DWORD dst_unused:UNUSED_PAD src0_sel:BYTE_2
	v_add_co_ci_u32_e64 v38, null, s7, v38, vcc_lo
	v_cvt_f32_i32_sdwa v60, sext(v27) dst_sel:DWORD dst_unused:UNUSED_PAD src0_sel:BYTE_2
	v_cvt_f32_i32_sdwa v63, sext(v28) dst_sel:DWORD dst_unused:UNUSED_PAD src0_sel:BYTE_2
	v_cvt_f32_i32_sdwa v25, sext(v25) dst_sel:DWORD dst_unused:UNUSED_PAD src0_sel:BYTE_3
	global_load_dword v41, v[37:38], off
	v_ashrrev_i32_e32 v38, 31, v7
	v_add_co_u32 v37, vcc_lo, s6, v7
	v_cvt_f32_i32_sdwa v26, sext(v26) dst_sel:DWORD dst_unused:UNUSED_PAD src0_sel:BYTE_3
	v_cvt_f32_i32_sdwa v27, sext(v27) dst_sel:DWORD dst_unused:UNUSED_PAD src0_sel:BYTE_3
	v_add_co_ci_u32_e64 v38, null, s7, v38, vcc_lo
	v_cvt_f32_i32_sdwa v28, sext(v28) dst_sel:DWORD dst_unused:UNUSED_PAD src0_sel:BYTE_3
	s_waitcnt vmcnt(4)
	v_cvt_f32_i32_sdwa v64, sext(v29) dst_sel:DWORD dst_unused:UNUSED_PAD src0_sel:BYTE_0
	v_cvt_f32_i32_sdwa v67, sext(v30) dst_sel:DWORD dst_unused:UNUSED_PAD src0_sel:BYTE_0
	global_load_dword v7, v[37:38], off
	v_cvt_f32_i32_sdwa v37, sext(v17) dst_sel:DWORD dst_unused:UNUSED_PAD src0_sel:BYTE_0
	v_cvt_f32_i32_sdwa v38, sext(v17) dst_sel:DWORD dst_unused:UNUSED_PAD src0_sel:BYTE_1
	v_cvt_f32_i32_sdwa v17, sext(v17) dst_sel:DWORD dst_unused:UNUSED_PAD src0_sel:BYTE_3
	v_cvt_f32_i32_sdwa v70, sext(v31) dst_sel:DWORD dst_unused:UNUSED_PAD src0_sel:BYTE_0
	v_cvt_f32_i32_sdwa v73, sext(v32) dst_sel:DWORD dst_unused:UNUSED_PAD src0_sel:BYTE_0
	v_cvt_f32_i32_sdwa v65, sext(v29) dst_sel:DWORD dst_unused:UNUSED_PAD src0_sel:BYTE_1
	v_cvt_f32_i32_sdwa v68, sext(v30) dst_sel:DWORD dst_unused:UNUSED_PAD src0_sel:BYTE_1
	;; [unrolled: 1-line block ×4, first 2 shown]
	v_cvt_f32_i32_sdwa v66, sext(v29) dst_sel:DWORD dst_unused:UNUSED_PAD src0_sel:BYTE_2
	v_cvt_f32_i32_sdwa v69, sext(v30) dst_sel:DWORD dst_unused:UNUSED_PAD src0_sel:BYTE_2
	;; [unrolled: 1-line block ×4, first 2 shown]
	v_cvt_f32_i32_sdwa v29, sext(v29) dst_sel:DWORD dst_unused:UNUSED_PAD src0_sel:BYTE_3
	v_cvt_f32_i32_sdwa v30, sext(v30) dst_sel:DWORD dst_unused:UNUSED_PAD src0_sel:BYTE_3
	;; [unrolled: 1-line block ×4, first 2 shown]
	s_waitcnt vmcnt(4)
	v_cvt_f32_i32_sdwa v76, sext(v33) dst_sel:DWORD dst_unused:UNUSED_PAD src0_sel:BYTE_0
	v_cvt_f32_i32_sdwa v79, sext(v34) dst_sel:DWORD dst_unused:UNUSED_PAD src0_sel:BYTE_0
	;; [unrolled: 1-line block ×4, first 2 shown]
	v_cvt_f32_i32_sdwa v77, sext(v33) dst_sel:DWORD dst_unused:UNUSED_PAD src0_sel:BYTE_1
	v_cvt_f32_i32_sdwa v80, sext(v34) dst_sel:DWORD dst_unused:UNUSED_PAD src0_sel:BYTE_1
	;; [unrolled: 1-line block ×4, first 2 shown]
	v_add_co_u32 v13, vcc_lo, 0x100, v13
	v_add_co_ci_u32_e64 v14, null, 0, v14, vcc_lo
	v_add_co_u32 v11, vcc_lo, v11, 16
	v_cvt_f32_i32_sdwa v78, sext(v33) dst_sel:DWORD dst_unused:UNUSED_PAD src0_sel:BYTE_2
	v_cvt_f32_i32_sdwa v81, sext(v34) dst_sel:DWORD dst_unused:UNUSED_PAD src0_sel:BYTE_2
	;; [unrolled: 1-line block ×4, first 2 shown]
	v_add_co_ci_u32_e64 v12, null, 0, v12, vcc_lo
	v_add_co_u32 v15, vcc_lo, v15, 64
	v_cvt_f32_i32_sdwa v33, sext(v33) dst_sel:DWORD dst_unused:UNUSED_PAD src0_sel:BYTE_3
	v_cvt_f32_i32_sdwa v34, sext(v34) dst_sel:DWORD dst_unused:UNUSED_PAD src0_sel:BYTE_3
	;; [unrolled: 1-line block ×4, first 2 shown]
	v_add_co_ci_u32_e64 v16, null, 0, v16, vcc_lo
	v_cmp_ge_i64_e32 vcc_lo, v[11:12], v[2:3]
	s_or_b32 s8, vcc_lo, s8
	s_waitcnt vmcnt(3)
	v_cvt_f32_i32_sdwa v88, sext(v39) dst_sel:DWORD dst_unused:UNUSED_PAD src0_sel:BYTE_0
	v_cvt_f32_i32_sdwa v89, sext(v39) dst_sel:DWORD dst_unused:UNUSED_PAD src0_sel:BYTE_1
	v_fmac_f32_e32 v8, v37, v88
	v_fmac_f32_e32 v24, v43, v88
	v_fmac_f32_e32 v23, v46, v88
	v_fmac_f32_e32 v22, v49, v88
	v_cvt_f32_i32_sdwa v37, sext(v39) dst_sel:DWORD dst_unused:UNUSED_PAD src0_sel:BYTE_2
	v_fmac_f32_e32 v8, v38, v89
	v_fmac_f32_e32 v24, v44, v89
	v_fmac_f32_e32 v23, v47, v89
	v_fmac_f32_e32 v22, v50, v89
	v_cvt_f32_i32_sdwa v38, sext(v39) dst_sel:DWORD dst_unused:UNUSED_PAD src0_sel:BYTE_3
	v_fmac_f32_e32 v8, v42, v37
	v_fmac_f32_e32 v24, v45, v37
	v_fmac_f32_e32 v23, v48, v37
	v_fmac_f32_e32 v22, v51, v37
	s_waitcnt vmcnt(2)
	v_cvt_f32_i32_sdwa v37, sext(v40) dst_sel:DWORD dst_unused:UNUSED_PAD src0_sel:BYTE_0
	v_fmac_f32_e32 v8, v17, v38
	v_fmac_f32_e32 v24, v18, v38
	v_fmac_f32_e32 v23, v19, v38
	v_fmac_f32_e32 v22, v20, v38
	v_cvt_f32_i32_sdwa v17, sext(v40) dst_sel:DWORD dst_unused:UNUSED_PAD src0_sel:BYTE_1
	v_fmac_f32_e32 v8, v52, v37
	v_fmac_f32_e32 v24, v55, v37
	v_fmac_f32_e32 v23, v58, v37
	v_fmac_f32_e32 v22, v61, v37
	v_cvt_f32_i32_sdwa v18, sext(v40) dst_sel:DWORD dst_unused:UNUSED_PAD src0_sel:BYTE_2
	v_fmac_f32_e32 v8, v53, v17
	v_fmac_f32_e32 v24, v56, v17
	v_fmac_f32_e32 v23, v59, v17
	v_fmac_f32_e32 v22, v62, v17
	v_cvt_f32_i32_sdwa v17, sext(v40) dst_sel:DWORD dst_unused:UNUSED_PAD src0_sel:BYTE_3
	v_fmac_f32_e32 v8, v54, v18
	v_fmac_f32_e32 v24, v57, v18
	v_fmac_f32_e32 v23, v60, v18
	v_fmac_f32_e32 v22, v63, v18
	s_waitcnt vmcnt(1)
	v_cvt_f32_i32_sdwa v18, sext(v41) dst_sel:DWORD dst_unused:UNUSED_PAD src0_sel:BYTE_0
	v_fmac_f32_e32 v8, v25, v17
	v_fmac_f32_e32 v24, v26, v17
	v_fmac_f32_e32 v23, v27, v17
	v_fmac_f32_e32 v22, v28, v17
	v_cvt_f32_i32_sdwa v17, sext(v41) dst_sel:DWORD dst_unused:UNUSED_PAD src0_sel:BYTE_1
	v_fmac_f32_e32 v8, v64, v18
	v_fmac_f32_e32 v24, v67, v18
	v_fmac_f32_e32 v23, v70, v18
	v_fmac_f32_e32 v22, v73, v18
	v_cvt_f32_i32_sdwa v18, sext(v41) dst_sel:DWORD dst_unused:UNUSED_PAD src0_sel:BYTE_2
	v_fmac_f32_e32 v8, v65, v17
	v_fmac_f32_e32 v24, v68, v17
	v_fmac_f32_e32 v23, v71, v17
	v_fmac_f32_e32 v22, v74, v17
	v_cvt_f32_i32_sdwa v17, sext(v41) dst_sel:DWORD dst_unused:UNUSED_PAD src0_sel:BYTE_3
	v_fmac_f32_e32 v8, v66, v18
	v_fmac_f32_e32 v24, v69, v18
	v_fmac_f32_e32 v23, v72, v18
	v_fmac_f32_e32 v22, v75, v18
	s_waitcnt vmcnt(0)
	v_cvt_f32_i32_sdwa v18, sext(v7) dst_sel:DWORD dst_unused:UNUSED_PAD src0_sel:BYTE_0
	v_fmac_f32_e32 v8, v29, v17
	v_fmac_f32_e32 v24, v30, v17
	v_fmac_f32_e32 v23, v31, v17
	v_fmac_f32_e32 v22, v32, v17
	v_cvt_f32_i32_sdwa v17, sext(v7) dst_sel:DWORD dst_unused:UNUSED_PAD src0_sel:BYTE_1
	v_fmac_f32_e32 v8, v76, v18
	v_fmac_f32_e32 v24, v79, v18
	;; [unrolled: 1-line block ×4, first 2 shown]
	v_cvt_f32_i32_sdwa v18, sext(v7) dst_sel:DWORD dst_unused:UNUSED_PAD src0_sel:BYTE_2
	v_fmac_f32_e32 v8, v77, v17
	v_fmac_f32_e32 v24, v80, v17
	;; [unrolled: 1-line block ×4, first 2 shown]
	v_cvt_f32_i32_sdwa v7, sext(v7) dst_sel:DWORD dst_unused:UNUSED_PAD src0_sel:BYTE_3
	v_fmac_f32_e32 v8, v78, v18
	v_fmac_f32_e32 v24, v81, v18
	;; [unrolled: 1-line block ×8, first 2 shown]
	s_andn2_b32 exec_lo, exec_lo, s8
	s_cbranch_execnz .LBB80_21
; %bb.22:
	s_or_b32 exec_lo, exec_lo, s8
.LBB80_23:
	s_or_b32 exec_lo, exec_lo, s3
.LBB80_24:
	s_or_b32 exec_lo, exec_lo, s1
	s_cbranch_execz .LBB80_26
	s_branch .LBB80_37
.LBB80_25:
                                        ; implicit-def: $vgpr22
                                        ; implicit-def: $vgpr23
                                        ; implicit-def: $vgpr24
                                        ; implicit-def: $vgpr8
.LBB80_26:
	v_mov_b32_e32 v22, 0
	v_mov_b32_e32 v23, 0
	;; [unrolled: 1-line block ×4, first 2 shown]
	s_and_saveexec_b32 s1, s0
	s_cbranch_execz .LBB80_36
; %bb.27:
	v_or_b32_e32 v7, 4, v21
	v_sub_co_u32 v7, s0, v7, s18
	v_sub_co_ci_u32_e64 v8, null, 0, 0, s0
	v_sub_co_u32 v11, s0, s18, v21
	v_add_co_u32 v7, vcc_lo, v7, v9
	v_add_co_ci_u32_e64 v8, null, v8, v10, vcc_lo
	v_not_b32_e32 v9, v9
	v_not_b32_e32 v10, v10
	v_sub_co_ci_u32_e64 v12, null, 0, 0, s0
	v_cmp_gt_i64_e32 vcc_lo, v[7:8], v[2:3]
	s_mov_b32 s0, exec_lo
	v_cndmask_b32_e32 v13, v3, v8, vcc_lo
	v_cndmask_b32_e32 v7, v2, v7, vcc_lo
	v_add_co_u32 v8, vcc_lo, v11, v9
	v_add_co_ci_u32_e64 v10, null, v12, v10, vcc_lo
	v_add_co_u32 v9, vcc_lo, v8, v7
	v_mov_b32_e32 v8, 0
	v_add_co_ci_u32_e64 v10, null, v10, v13, vcc_lo
	v_and_b32_e32 v7, 12, v9
	v_mov_b32_e32 v24, v8
	v_mov_b32_e32 v23, v8
	;; [unrolled: 1-line block ×3, first 2 shown]
	v_cmpx_ne_u64_e32 12, v[7:8]
	s_cbranch_execz .LBB80_31
; %bb.28:
	v_lshrrev_b32_e32 v7, 2, v9
	v_mov_b32_e32 v22, 0
	v_mov_b32_e32 v23, 0
	;; [unrolled: 1-line block ×3, first 2 shown]
	v_add_nc_u32_e32 v11, 1, v7
	v_lshlrev_b64 v[7:8], 2, v[0:1]
	v_and_b32_e32 v13, 3, v11
	v_add_co_u32 v11, vcc_lo, s12, v7
	v_add_co_ci_u32_e64 v12, null, s13, v8, vcc_lo
	v_sub_co_u32 v13, s3, 0, v13
	v_sub_co_ci_u32_e64 v14, null, 0, 0, s3
	v_mov_b32_e32 v8, 0
	s_mov_b32 s3, 0
.LBB80_29:                              ; =>This Inner Loop Header: Depth=1
	global_load_dword v7, v[11:12], off
	s_waitcnt vmcnt(0)
	v_subrev_nc_u32_e32 v7, s18, v7
	v_lshlrev_b32_e32 v7, 2, v7
	v_ashrrev_i32_e32 v15, 31, v7
	v_add_co_u32 v19, vcc_lo, s6, v7
	v_add_co_ci_u32_e64 v20, null, s7, v15, vcc_lo
	global_load_dwordx4 v[15:18], v[5:6], off
	global_load_dword v7, v[19:20], off
	v_add_co_u32 v5, vcc_lo, v5, 64
	v_add_co_ci_u32_e64 v6, null, 0, v6, vcc_lo
	v_add_co_u32 v0, vcc_lo, v0, 4
	v_add_co_ci_u32_e64 v1, null, 0, v1, vcc_lo
	;; [unrolled: 2-line block ×4, first 2 shown]
	v_cmp_eq_u64_e32 vcc_lo, 0, v[13:14]
	s_or_b32 s3, vcc_lo, s3
	s_waitcnt vmcnt(1)
	v_cvt_f32_i32_sdwa v19, sext(v15) dst_sel:DWORD dst_unused:UNUSED_PAD src0_sel:BYTE_0
	v_cvt_f32_i32_sdwa v20, sext(v15) dst_sel:DWORD dst_unused:UNUSED_PAD src0_sel:BYTE_1
	v_cvt_f32_i32_sdwa v25, sext(v15) dst_sel:DWORD dst_unused:UNUSED_PAD src0_sel:BYTE_2
	v_cvt_f32_i32_sdwa v15, sext(v15) dst_sel:DWORD dst_unused:UNUSED_PAD src0_sel:BYTE_3
	s_waitcnt vmcnt(0)
	v_cvt_f32_i32_sdwa v35, sext(v7) dst_sel:DWORD dst_unused:UNUSED_PAD src0_sel:BYTE_0
	v_cvt_f32_i32_sdwa v26, sext(v16) dst_sel:DWORD dst_unused:UNUSED_PAD src0_sel:BYTE_0
	v_cvt_f32_i32_sdwa v27, sext(v16) dst_sel:DWORD dst_unused:UNUSED_PAD src0_sel:BYTE_1
	v_cvt_f32_i32_sdwa v28, sext(v16) dst_sel:DWORD dst_unused:UNUSED_PAD src0_sel:BYTE_2
	v_cvt_f32_i32_sdwa v16, sext(v16) dst_sel:DWORD dst_unused:UNUSED_PAD src0_sel:BYTE_3
	v_cvt_f32_i32_sdwa v36, sext(v7) dst_sel:DWORD dst_unused:UNUSED_PAD src0_sel:BYTE_1
	v_fmac_f32_e32 v8, v19, v35
	v_fmac_f32_e32 v24, v20, v35
	;; [unrolled: 1-line block ×4, first 2 shown]
	v_cvt_f32_i32_sdwa v29, sext(v17) dst_sel:DWORD dst_unused:UNUSED_PAD src0_sel:BYTE_0
	v_cvt_f32_i32_sdwa v30, sext(v17) dst_sel:DWORD dst_unused:UNUSED_PAD src0_sel:BYTE_1
	v_cvt_f32_i32_sdwa v31, sext(v17) dst_sel:DWORD dst_unused:UNUSED_PAD src0_sel:BYTE_2
	v_cvt_f32_i32_sdwa v17, sext(v17) dst_sel:DWORD dst_unused:UNUSED_PAD src0_sel:BYTE_3
	v_cvt_f32_i32_sdwa v15, sext(v7) dst_sel:DWORD dst_unused:UNUSED_PAD src0_sel:BYTE_2
	v_fmac_f32_e32 v8, v26, v36
	v_fmac_f32_e32 v24, v27, v36
	;; [unrolled: 1-line block ×4, first 2 shown]
	v_cvt_f32_i32_sdwa v32, sext(v18) dst_sel:DWORD dst_unused:UNUSED_PAD src0_sel:BYTE_0
	v_cvt_f32_i32_sdwa v33, sext(v18) dst_sel:DWORD dst_unused:UNUSED_PAD src0_sel:BYTE_1
	v_cvt_f32_i32_sdwa v34, sext(v18) dst_sel:DWORD dst_unused:UNUSED_PAD src0_sel:BYTE_2
	v_cvt_f32_i32_sdwa v18, sext(v18) dst_sel:DWORD dst_unused:UNUSED_PAD src0_sel:BYTE_3
	v_cvt_f32_i32_sdwa v7, sext(v7) dst_sel:DWORD dst_unused:UNUSED_PAD src0_sel:BYTE_3
	v_fmac_f32_e32 v8, v29, v15
	v_fmac_f32_e32 v24, v30, v15
	v_fmac_f32_e32 v23, v31, v15
	v_fmac_f32_e32 v22, v17, v15
	v_fmac_f32_e32 v8, v32, v7
	v_fmac_f32_e32 v24, v33, v7
	v_fmac_f32_e32 v23, v34, v7
	v_fmac_f32_e32 v22, v18, v7
	s_andn2_b32 exec_lo, exec_lo, s3
	s_cbranch_execnz .LBB80_29
; %bb.30:
	s_or_b32 exec_lo, exec_lo, s3
.LBB80_31:
	s_or_b32 exec_lo, exec_lo, s0
	s_mov_b32 s0, exec_lo
	v_cmpx_lt_u64_e32 11, v[9:10]
	s_cbranch_execz .LBB80_35
; %bb.32:
	v_lshlrev_b64 v[9:10], 2, v[0:1]
	s_mov_b32 s3, 0
	v_add_co_u32 v7, vcc_lo, s12, v9
	v_add_co_ci_u32_e64 v10, null, s13, v10, vcc_lo
	v_add_co_u32 v9, vcc_lo, v7, 32
	v_add_co_ci_u32_e64 v10, null, 0, v10, vcc_lo
.LBB80_33:                              ; =>This Inner Loop Header: Depth=1
	s_clause 0x3
	global_load_dword v7, v[9:10], off offset:-32
	global_load_dword v19, v[9:10], off offset:-16
	global_load_dword v20, v[9:10], off
	global_load_dword v33, v[9:10], off offset:16
	s_clause 0x3
	global_load_dwordx4 v[11:14], v[5:6], off
	global_load_dwordx4 v[15:18], v[5:6], off offset:64
	global_load_dwordx4 v[25:28], v[5:6], off offset:128
	;; [unrolled: 1-line block ×3, first 2 shown]
	s_waitcnt vmcnt(7)
	v_subrev_nc_u32_e32 v7, s18, v7
	s_waitcnt vmcnt(6)
	v_subrev_nc_u32_e32 v34, s18, v19
	;; [unrolled: 2-line block ×3, first 2 shown]
	s_waitcnt vmcnt(3)
	v_cvt_f32_i32_sdwa v36, sext(v11) dst_sel:DWORD dst_unused:UNUSED_PAD src0_sel:BYTE_2
	v_lshlrev_b32_e32 v7, 2, v7
	v_cvt_f32_i32_sdwa v37, sext(v12) dst_sel:DWORD dst_unused:UNUSED_PAD src0_sel:BYTE_0
	v_cvt_f32_i32_sdwa v38, sext(v12) dst_sel:DWORD dst_unused:UNUSED_PAD src0_sel:BYTE_1
	v_cvt_f32_i32_sdwa v39, sext(v12) dst_sel:DWORD dst_unused:UNUSED_PAD src0_sel:BYTE_2
	v_cvt_f32_i32_sdwa v12, sext(v12) dst_sel:DWORD dst_unused:UNUSED_PAD src0_sel:BYTE_3
	v_ashrrev_i32_e32 v20, 31, v7
	v_add_co_u32 v19, vcc_lo, s6, v7
	v_subrev_nc_u32_e32 v7, s18, v33
	v_cvt_f32_i32_sdwa v40, sext(v13) dst_sel:DWORD dst_unused:UNUSED_PAD src0_sel:BYTE_0
	v_add_co_ci_u32_e64 v20, null, s7, v20, vcc_lo
	v_cvt_f32_i32_sdwa v41, sext(v13) dst_sel:DWORD dst_unused:UNUSED_PAD src0_sel:BYTE_1
	v_lshlrev_b32_e32 v7, 2, v7
	v_cvt_f32_i32_sdwa v42, sext(v13) dst_sel:DWORD dst_unused:UNUSED_PAD src0_sel:BYTE_2
	global_load_dword v33, v[19:20], off
	v_lshlrev_b32_e32 v19, 2, v34
	v_cvt_f32_i32_sdwa v13, sext(v13) dst_sel:DWORD dst_unused:UNUSED_PAD src0_sel:BYTE_3
	v_cvt_f32_i32_sdwa v43, sext(v14) dst_sel:DWORD dst_unused:UNUSED_PAD src0_sel:BYTE_0
	v_cvt_f32_i32_sdwa v44, sext(v14) dst_sel:DWORD dst_unused:UNUSED_PAD src0_sel:BYTE_1
	v_cvt_f32_i32_sdwa v45, sext(v14) dst_sel:DWORD dst_unused:UNUSED_PAD src0_sel:BYTE_2
	v_ashrrev_i32_e32 v20, 31, v19
	v_add_co_u32 v19, vcc_lo, s6, v19
	v_cvt_f32_i32_sdwa v14, sext(v14) dst_sel:DWORD dst_unused:UNUSED_PAD src0_sel:BYTE_3
	s_waitcnt vmcnt(3)
	v_cvt_f32_i32_sdwa v46, sext(v15) dst_sel:DWORD dst_unused:UNUSED_PAD src0_sel:BYTE_0
	v_add_co_ci_u32_e64 v20, null, s7, v20, vcc_lo
	v_cvt_f32_i32_sdwa v47, sext(v15) dst_sel:DWORD dst_unused:UNUSED_PAD src0_sel:BYTE_1
	v_cvt_f32_i32_sdwa v48, sext(v15) dst_sel:DWORD dst_unused:UNUSED_PAD src0_sel:BYTE_2
	v_cvt_f32_i32_sdwa v15, sext(v15) dst_sel:DWORD dst_unused:UNUSED_PAD src0_sel:BYTE_3
	global_load_dword v34, v[19:20], off
	v_lshlrev_b32_e32 v19, 2, v35
	v_cvt_f32_i32_sdwa v49, sext(v16) dst_sel:DWORD dst_unused:UNUSED_PAD src0_sel:BYTE_0
	v_cvt_f32_i32_sdwa v50, sext(v16) dst_sel:DWORD dst_unused:UNUSED_PAD src0_sel:BYTE_1
	v_cvt_f32_i32_sdwa v51, sext(v16) dst_sel:DWORD dst_unused:UNUSED_PAD src0_sel:BYTE_2
	v_cvt_f32_i32_sdwa v16, sext(v16) dst_sel:DWORD dst_unused:UNUSED_PAD src0_sel:BYTE_3
	v_ashrrev_i32_e32 v20, 31, v19
	v_add_co_u32 v19, vcc_lo, s6, v19
	v_cvt_f32_i32_sdwa v52, sext(v17) dst_sel:DWORD dst_unused:UNUSED_PAD src0_sel:BYTE_0
	v_cvt_f32_i32_sdwa v53, sext(v17) dst_sel:DWORD dst_unused:UNUSED_PAD src0_sel:BYTE_1
	v_add_co_ci_u32_e64 v20, null, s7, v20, vcc_lo
	v_cvt_f32_i32_sdwa v54, sext(v17) dst_sel:DWORD dst_unused:UNUSED_PAD src0_sel:BYTE_2
	v_cvt_f32_i32_sdwa v17, sext(v17) dst_sel:DWORD dst_unused:UNUSED_PAD src0_sel:BYTE_3
	v_cvt_f32_i32_sdwa v55, sext(v18) dst_sel:DWORD dst_unused:UNUSED_PAD src0_sel:BYTE_0
	global_load_dword v35, v[19:20], off
	v_ashrrev_i32_e32 v20, 31, v7
	v_add_co_u32 v19, vcc_lo, s6, v7
	v_cvt_f32_i32_sdwa v56, sext(v18) dst_sel:DWORD dst_unused:UNUSED_PAD src0_sel:BYTE_1
	v_cvt_f32_i32_sdwa v57, sext(v18) dst_sel:DWORD dst_unused:UNUSED_PAD src0_sel:BYTE_2
	v_add_co_ci_u32_e64 v20, null, s7, v20, vcc_lo
	v_cvt_f32_i32_sdwa v18, sext(v18) dst_sel:DWORD dst_unused:UNUSED_PAD src0_sel:BYTE_3
	s_waitcnt vmcnt(4)
	v_cvt_f32_i32_sdwa v58, sext(v25) dst_sel:DWORD dst_unused:UNUSED_PAD src0_sel:BYTE_0
	v_cvt_f32_i32_sdwa v59, sext(v25) dst_sel:DWORD dst_unused:UNUSED_PAD src0_sel:BYTE_1
	global_load_dword v7, v[19:20], off
	v_cvt_f32_i32_sdwa v19, sext(v11) dst_sel:DWORD dst_unused:UNUSED_PAD src0_sel:BYTE_0
	v_cvt_f32_i32_sdwa v20, sext(v11) dst_sel:DWORD dst_unused:UNUSED_PAD src0_sel:BYTE_1
	v_cvt_f32_i32_sdwa v11, sext(v11) dst_sel:DWORD dst_unused:UNUSED_PAD src0_sel:BYTE_3
	v_cvt_f32_i32_sdwa v60, sext(v25) dst_sel:DWORD dst_unused:UNUSED_PAD src0_sel:BYTE_2
	v_cvt_f32_i32_sdwa v25, sext(v25) dst_sel:DWORD dst_unused:UNUSED_PAD src0_sel:BYTE_3
	v_cvt_f32_i32_sdwa v61, sext(v26) dst_sel:DWORD dst_unused:UNUSED_PAD src0_sel:BYTE_0
	v_cvt_f32_i32_sdwa v62, sext(v26) dst_sel:DWORD dst_unused:UNUSED_PAD src0_sel:BYTE_1
	v_cvt_f32_i32_sdwa v63, sext(v26) dst_sel:DWORD dst_unused:UNUSED_PAD src0_sel:BYTE_2
	v_cvt_f32_i32_sdwa v26, sext(v26) dst_sel:DWORD dst_unused:UNUSED_PAD src0_sel:BYTE_3
	v_cvt_f32_i32_sdwa v64, sext(v27) dst_sel:DWORD dst_unused:UNUSED_PAD src0_sel:BYTE_0
	v_cvt_f32_i32_sdwa v65, sext(v27) dst_sel:DWORD dst_unused:UNUSED_PAD src0_sel:BYTE_1
	;; [unrolled: 4-line block ×3, first 2 shown]
	v_cvt_f32_i32_sdwa v69, sext(v28) dst_sel:DWORD dst_unused:UNUSED_PAD src0_sel:BYTE_2
	v_cvt_f32_i32_sdwa v28, sext(v28) dst_sel:DWORD dst_unused:UNUSED_PAD src0_sel:BYTE_3
	s_waitcnt vmcnt(4)
	v_cvt_f32_i32_sdwa v70, sext(v29) dst_sel:DWORD dst_unused:UNUSED_PAD src0_sel:BYTE_0
	v_cvt_f32_i32_sdwa v71, sext(v29) dst_sel:DWORD dst_unused:UNUSED_PAD src0_sel:BYTE_1
	v_cvt_f32_i32_sdwa v72, sext(v29) dst_sel:DWORD dst_unused:UNUSED_PAD src0_sel:BYTE_2
	v_cvt_f32_i32_sdwa v29, sext(v29) dst_sel:DWORD dst_unused:UNUSED_PAD src0_sel:BYTE_3
	v_cvt_f32_i32_sdwa v73, sext(v30) dst_sel:DWORD dst_unused:UNUSED_PAD src0_sel:BYTE_0
	v_cvt_f32_i32_sdwa v74, sext(v30) dst_sel:DWORD dst_unused:UNUSED_PAD src0_sel:BYTE_1
	v_cvt_f32_i32_sdwa v75, sext(v30) dst_sel:DWORD dst_unused:UNUSED_PAD src0_sel:BYTE_2
	v_cvt_f32_i32_sdwa v30, sext(v30) dst_sel:DWORD dst_unused:UNUSED_PAD src0_sel:BYTE_3
	v_add_co_u32 v5, vcc_lo, 0x100, v5
	v_add_co_ci_u32_e64 v6, null, 0, v6, vcc_lo
	v_add_co_u32 v0, vcc_lo, v0, 16
	v_cvt_f32_i32_sdwa v76, sext(v31) dst_sel:DWORD dst_unused:UNUSED_PAD src0_sel:BYTE_0
	v_cvt_f32_i32_sdwa v77, sext(v31) dst_sel:DWORD dst_unused:UNUSED_PAD src0_sel:BYTE_1
	v_cvt_f32_i32_sdwa v78, sext(v31) dst_sel:DWORD dst_unused:UNUSED_PAD src0_sel:BYTE_2
	v_cvt_f32_i32_sdwa v31, sext(v31) dst_sel:DWORD dst_unused:UNUSED_PAD src0_sel:BYTE_3
	v_add_co_ci_u32_e64 v1, null, 0, v1, vcc_lo
	v_add_co_u32 v9, vcc_lo, v9, 64
	v_cvt_f32_i32_sdwa v79, sext(v32) dst_sel:DWORD dst_unused:UNUSED_PAD src0_sel:BYTE_0
	v_cvt_f32_i32_sdwa v80, sext(v32) dst_sel:DWORD dst_unused:UNUSED_PAD src0_sel:BYTE_1
	v_cvt_f32_i32_sdwa v81, sext(v32) dst_sel:DWORD dst_unused:UNUSED_PAD src0_sel:BYTE_2
	v_cvt_f32_i32_sdwa v32, sext(v32) dst_sel:DWORD dst_unused:UNUSED_PAD src0_sel:BYTE_3
	v_add_co_ci_u32_e64 v10, null, 0, v10, vcc_lo
	v_cmp_ge_i64_e32 vcc_lo, v[0:1], v[2:3]
	s_or_b32 s3, vcc_lo, s3
	s_waitcnt vmcnt(3)
	v_cvt_f32_i32_sdwa v82, sext(v33) dst_sel:DWORD dst_unused:UNUSED_PAD src0_sel:BYTE_0
	v_cvt_f32_i32_sdwa v83, sext(v33) dst_sel:DWORD dst_unused:UNUSED_PAD src0_sel:BYTE_1
	v_fmac_f32_e32 v8, v19, v82
	v_fmac_f32_e32 v24, v20, v82
	v_fmac_f32_e32 v23, v36, v82
	v_fmac_f32_e32 v22, v11, v82
	v_cvt_f32_i32_sdwa v11, sext(v33) dst_sel:DWORD dst_unused:UNUSED_PAD src0_sel:BYTE_2
	v_fmac_f32_e32 v8, v37, v83
	v_fmac_f32_e32 v24, v38, v83
	v_fmac_f32_e32 v23, v39, v83
	v_fmac_f32_e32 v22, v12, v83
	v_cvt_f32_i32_sdwa v12, sext(v33) dst_sel:DWORD dst_unused:UNUSED_PAD src0_sel:BYTE_3
	v_fmac_f32_e32 v8, v40, v11
	v_fmac_f32_e32 v24, v41, v11
	v_fmac_f32_e32 v23, v42, v11
	v_fmac_f32_e32 v22, v13, v11
	s_waitcnt vmcnt(2)
	v_cvt_f32_i32_sdwa v11, sext(v34) dst_sel:DWORD dst_unused:UNUSED_PAD src0_sel:BYTE_0
	v_fmac_f32_e32 v8, v43, v12
	v_fmac_f32_e32 v24, v44, v12
	v_fmac_f32_e32 v23, v45, v12
	v_fmac_f32_e32 v22, v14, v12
	v_cvt_f32_i32_sdwa v12, sext(v34) dst_sel:DWORD dst_unused:UNUSED_PAD src0_sel:BYTE_1
	v_fmac_f32_e32 v8, v46, v11
	v_fmac_f32_e32 v24, v47, v11
	v_fmac_f32_e32 v23, v48, v11
	v_fmac_f32_e32 v22, v15, v11
	v_cvt_f32_i32_sdwa v11, sext(v34) dst_sel:DWORD dst_unused:UNUSED_PAD src0_sel:BYTE_2
	v_fmac_f32_e32 v8, v49, v12
	v_fmac_f32_e32 v24, v50, v12
	v_fmac_f32_e32 v23, v51, v12
	v_fmac_f32_e32 v22, v16, v12
	v_cvt_f32_i32_sdwa v12, sext(v34) dst_sel:DWORD dst_unused:UNUSED_PAD src0_sel:BYTE_3
	v_fmac_f32_e32 v8, v52, v11
	v_fmac_f32_e32 v24, v53, v11
	v_fmac_f32_e32 v23, v54, v11
	v_fmac_f32_e32 v22, v17, v11
	s_waitcnt vmcnt(1)
	v_cvt_f32_i32_sdwa v11, sext(v35) dst_sel:DWORD dst_unused:UNUSED_PAD src0_sel:BYTE_0
	v_fmac_f32_e32 v8, v55, v12
	v_fmac_f32_e32 v24, v56, v12
	v_fmac_f32_e32 v23, v57, v12
	v_fmac_f32_e32 v22, v18, v12
	;; [unrolled: 21-line block ×3, first 2 shown]
	v_cvt_f32_i32_sdwa v12, sext(v7) dst_sel:DWORD dst_unused:UNUSED_PAD src0_sel:BYTE_1
	v_fmac_f32_e32 v8, v70, v11
	v_fmac_f32_e32 v24, v71, v11
	;; [unrolled: 1-line block ×4, first 2 shown]
	v_cvt_f32_i32_sdwa v11, sext(v7) dst_sel:DWORD dst_unused:UNUSED_PAD src0_sel:BYTE_2
	v_fmac_f32_e32 v8, v73, v12
	v_fmac_f32_e32 v24, v74, v12
	;; [unrolled: 1-line block ×4, first 2 shown]
	v_cvt_f32_i32_sdwa v7, sext(v7) dst_sel:DWORD dst_unused:UNUSED_PAD src0_sel:BYTE_3
	v_fmac_f32_e32 v8, v76, v11
	v_fmac_f32_e32 v24, v77, v11
	;; [unrolled: 1-line block ×8, first 2 shown]
	s_andn2_b32 exec_lo, exec_lo, s3
	s_cbranch_execnz .LBB80_33
; %bb.34:
	s_or_b32 exec_lo, exec_lo, s3
.LBB80_35:
	s_or_b32 exec_lo, exec_lo, s0
.LBB80_36:
	s_or_b32 exec_lo, exec_lo, s1
.LBB80_37:
	v_mbcnt_lo_u32_b32 v0, -1, 0
	s_mov_b32 s3, -1
	v_xor_b32_e32 v1, 2, v0
	v_cmp_gt_i32_e32 vcc_lo, 32, v1
	v_cndmask_b32_e32 v1, v0, v1, vcc_lo
	v_lshlrev_b32_e32 v1, 2, v1
	ds_bpermute_b32 v2, v1, v8
	ds_bpermute_b32 v3, v1, v24
	;; [unrolled: 1-line block ×4, first 2 shown]
	v_xor_b32_e32 v1, 1, v0
	v_cmp_gt_i32_e32 vcc_lo, 32, v1
	v_cndmask_b32_e32 v0, v0, v1, vcc_lo
	v_cmp_eq_u32_e32 vcc_lo, 3, v21
	v_lshlrev_b32_e32 v9, 2, v0
	s_waitcnt lgkmcnt(3)
	v_add_f32_e32 v0, v8, v2
	s_waitcnt lgkmcnt(2)
	v_add_f32_e32 v1, v24, v3
	;; [unrolled: 2-line block ×4, first 2 shown]
	ds_bpermute_b32 v5, v9, v0
	ds_bpermute_b32 v6, v9, v1
	ds_bpermute_b32 v7, v9, v2
	ds_bpermute_b32 v8, v9, v3
	s_and_b32 exec_lo, exec_lo, vcc_lo
	s_cbranch_execz .LBB80_10
; %bb.38:
	s_load_dwordx2 s[0:1], s[4:5], 0x50
	s_waitcnt lgkmcnt(0)
	v_add_f32_e32 v0, v0, v5
	v_add_f32_e32 v1, v1, v6
	;; [unrolled: 1-line block ×4, first 2 shown]
	v_cmp_eq_f32_e64 s4, s2, 0
	v_mul_f32_e32 v0, s16, v0
	v_mul_f32_e32 v1, s16, v1
	;; [unrolled: 1-line block ×4, first 2 shown]
	v_lshlrev_b32_e32 v4, 2, v4
	s_and_b32 vcc_lo, exec_lo, s4
	s_cbranch_vccz .LBB80_40
; %bb.39:
	v_ashrrev_i32_e32 v5, 31, v4
	s_mov_b32 s3, 0
	v_lshlrev_b64 v[5:6], 2, v[4:5]
	v_add_co_u32 v5, vcc_lo, s0, v5
	v_add_co_ci_u32_e64 v6, null, s1, v6, vcc_lo
	global_store_dwordx4 v[5:6], v[0:3], off
.LBB80_40:
	s_andn2_b32 vcc_lo, exec_lo, s3
	s_cbranch_vccnz .LBB80_10
; %bb.41:
	v_ashrrev_i32_e32 v5, 31, v4
	v_lshlrev_b64 v[4:5], 2, v[4:5]
	v_add_co_u32 v8, vcc_lo, s0, v4
	v_add_co_ci_u32_e64 v9, null, s1, v5, vcc_lo
	global_load_dwordx4 v[4:7], v[8:9], off
	s_waitcnt vmcnt(0)
	v_fmac_f32_e32 v0, s2, v4
	v_fmac_f32_e32 v1, s2, v5
	;; [unrolled: 1-line block ×4, first 2 shown]
	global_store_dwordx4 v[8:9], v[0:3], off
	s_endpgm
	.section	.rodata,"a",@progbits
	.p2align	6, 0x0
	.amdhsa_kernel _ZN9rocsparseL18bsrxmvn_4x4_kernelILj128ELj4EfliaafEEvT3_20rocsparse_direction_NS_24const_host_device_scalarIT1_EES1_PKS1_PKT2_SA_S7_PKT4_PKT5_S5_PT6_21rocsparse_index_base_b
		.amdhsa_group_segment_fixed_size 0
		.amdhsa_private_segment_fixed_size 0
		.amdhsa_kernarg_size 96
		.amdhsa_user_sgpr_count 6
		.amdhsa_user_sgpr_private_segment_buffer 1
		.amdhsa_user_sgpr_dispatch_ptr 0
		.amdhsa_user_sgpr_queue_ptr 0
		.amdhsa_user_sgpr_kernarg_segment_ptr 1
		.amdhsa_user_sgpr_dispatch_id 0
		.amdhsa_user_sgpr_flat_scratch_init 0
		.amdhsa_user_sgpr_private_segment_size 0
		.amdhsa_wavefront_size32 1
		.amdhsa_uses_dynamic_stack 0
		.amdhsa_system_sgpr_private_segment_wavefront_offset 0
		.amdhsa_system_sgpr_workgroup_id_x 1
		.amdhsa_system_sgpr_workgroup_id_y 0
		.amdhsa_system_sgpr_workgroup_id_z 0
		.amdhsa_system_sgpr_workgroup_info 0
		.amdhsa_system_vgpr_workitem_id 0
		.amdhsa_next_free_vgpr 90
		.amdhsa_next_free_sgpr 20
		.amdhsa_reserve_vcc 1
		.amdhsa_reserve_flat_scratch 0
		.amdhsa_float_round_mode_32 0
		.amdhsa_float_round_mode_16_64 0
		.amdhsa_float_denorm_mode_32 3
		.amdhsa_float_denorm_mode_16_64 3
		.amdhsa_dx10_clamp 1
		.amdhsa_ieee_mode 1
		.amdhsa_fp16_overflow 0
		.amdhsa_workgroup_processor_mode 1
		.amdhsa_memory_ordered 1
		.amdhsa_forward_progress 1
		.amdhsa_shared_vgpr_count 0
		.amdhsa_exception_fp_ieee_invalid_op 0
		.amdhsa_exception_fp_denorm_src 0
		.amdhsa_exception_fp_ieee_div_zero 0
		.amdhsa_exception_fp_ieee_overflow 0
		.amdhsa_exception_fp_ieee_underflow 0
		.amdhsa_exception_fp_ieee_inexact 0
		.amdhsa_exception_int_div_zero 0
	.end_amdhsa_kernel
	.section	.text._ZN9rocsparseL18bsrxmvn_4x4_kernelILj128ELj4EfliaafEEvT3_20rocsparse_direction_NS_24const_host_device_scalarIT1_EES1_PKS1_PKT2_SA_S7_PKT4_PKT5_S5_PT6_21rocsparse_index_base_b,"axG",@progbits,_ZN9rocsparseL18bsrxmvn_4x4_kernelILj128ELj4EfliaafEEvT3_20rocsparse_direction_NS_24const_host_device_scalarIT1_EES1_PKS1_PKT2_SA_S7_PKT4_PKT5_S5_PT6_21rocsparse_index_base_b,comdat
.Lfunc_end80:
	.size	_ZN9rocsparseL18bsrxmvn_4x4_kernelILj128ELj4EfliaafEEvT3_20rocsparse_direction_NS_24const_host_device_scalarIT1_EES1_PKS1_PKT2_SA_S7_PKT4_PKT5_S5_PT6_21rocsparse_index_base_b, .Lfunc_end80-_ZN9rocsparseL18bsrxmvn_4x4_kernelILj128ELj4EfliaafEEvT3_20rocsparse_direction_NS_24const_host_device_scalarIT1_EES1_PKS1_PKT2_SA_S7_PKT4_PKT5_S5_PT6_21rocsparse_index_base_b
                                        ; -- End function
	.set _ZN9rocsparseL18bsrxmvn_4x4_kernelILj128ELj4EfliaafEEvT3_20rocsparse_direction_NS_24const_host_device_scalarIT1_EES1_PKS1_PKT2_SA_S7_PKT4_PKT5_S5_PT6_21rocsparse_index_base_b.num_vgpr, 90
	.set _ZN9rocsparseL18bsrxmvn_4x4_kernelILj128ELj4EfliaafEEvT3_20rocsparse_direction_NS_24const_host_device_scalarIT1_EES1_PKS1_PKT2_SA_S7_PKT4_PKT5_S5_PT6_21rocsparse_index_base_b.num_agpr, 0
	.set _ZN9rocsparseL18bsrxmvn_4x4_kernelILj128ELj4EfliaafEEvT3_20rocsparse_direction_NS_24const_host_device_scalarIT1_EES1_PKS1_PKT2_SA_S7_PKT4_PKT5_S5_PT6_21rocsparse_index_base_b.numbered_sgpr, 20
	.set _ZN9rocsparseL18bsrxmvn_4x4_kernelILj128ELj4EfliaafEEvT3_20rocsparse_direction_NS_24const_host_device_scalarIT1_EES1_PKS1_PKT2_SA_S7_PKT4_PKT5_S5_PT6_21rocsparse_index_base_b.num_named_barrier, 0
	.set _ZN9rocsparseL18bsrxmvn_4x4_kernelILj128ELj4EfliaafEEvT3_20rocsparse_direction_NS_24const_host_device_scalarIT1_EES1_PKS1_PKT2_SA_S7_PKT4_PKT5_S5_PT6_21rocsparse_index_base_b.private_seg_size, 0
	.set _ZN9rocsparseL18bsrxmvn_4x4_kernelILj128ELj4EfliaafEEvT3_20rocsparse_direction_NS_24const_host_device_scalarIT1_EES1_PKS1_PKT2_SA_S7_PKT4_PKT5_S5_PT6_21rocsparse_index_base_b.uses_vcc, 1
	.set _ZN9rocsparseL18bsrxmvn_4x4_kernelILj128ELj4EfliaafEEvT3_20rocsparse_direction_NS_24const_host_device_scalarIT1_EES1_PKS1_PKT2_SA_S7_PKT4_PKT5_S5_PT6_21rocsparse_index_base_b.uses_flat_scratch, 0
	.set _ZN9rocsparseL18bsrxmvn_4x4_kernelILj128ELj4EfliaafEEvT3_20rocsparse_direction_NS_24const_host_device_scalarIT1_EES1_PKS1_PKT2_SA_S7_PKT4_PKT5_S5_PT6_21rocsparse_index_base_b.has_dyn_sized_stack, 0
	.set _ZN9rocsparseL18bsrxmvn_4x4_kernelILj128ELj4EfliaafEEvT3_20rocsparse_direction_NS_24const_host_device_scalarIT1_EES1_PKS1_PKT2_SA_S7_PKT4_PKT5_S5_PT6_21rocsparse_index_base_b.has_recursion, 0
	.set _ZN9rocsparseL18bsrxmvn_4x4_kernelILj128ELj4EfliaafEEvT3_20rocsparse_direction_NS_24const_host_device_scalarIT1_EES1_PKS1_PKT2_SA_S7_PKT4_PKT5_S5_PT6_21rocsparse_index_base_b.has_indirect_call, 0
	.section	.AMDGPU.csdata,"",@progbits
; Kernel info:
; codeLenInByte = 4680
; TotalNumSgprs: 22
; NumVgprs: 90
; ScratchSize: 0
; MemoryBound: 0
; FloatMode: 240
; IeeeMode: 1
; LDSByteSize: 0 bytes/workgroup (compile time only)
; SGPRBlocks: 0
; VGPRBlocks: 11
; NumSGPRsForWavesPerEU: 22
; NumVGPRsForWavesPerEU: 90
; Occupancy: 10
; WaveLimiterHint : 1
; COMPUTE_PGM_RSRC2:SCRATCH_EN: 0
; COMPUTE_PGM_RSRC2:USER_SGPR: 6
; COMPUTE_PGM_RSRC2:TRAP_HANDLER: 0
; COMPUTE_PGM_RSRC2:TGID_X_EN: 1
; COMPUTE_PGM_RSRC2:TGID_Y_EN: 0
; COMPUTE_PGM_RSRC2:TGID_Z_EN: 0
; COMPUTE_PGM_RSRC2:TIDIG_COMP_CNT: 0
	.section	.text._ZN9rocsparseL18bsrxmvn_4x4_kernelILj128ELj8EfliaafEEvT3_20rocsparse_direction_NS_24const_host_device_scalarIT1_EES1_PKS1_PKT2_SA_S7_PKT4_PKT5_S5_PT6_21rocsparse_index_base_b,"axG",@progbits,_ZN9rocsparseL18bsrxmvn_4x4_kernelILj128ELj8EfliaafEEvT3_20rocsparse_direction_NS_24const_host_device_scalarIT1_EES1_PKS1_PKT2_SA_S7_PKT4_PKT5_S5_PT6_21rocsparse_index_base_b,comdat
	.globl	_ZN9rocsparseL18bsrxmvn_4x4_kernelILj128ELj8EfliaafEEvT3_20rocsparse_direction_NS_24const_host_device_scalarIT1_EES1_PKS1_PKT2_SA_S7_PKT4_PKT5_S5_PT6_21rocsparse_index_base_b ; -- Begin function _ZN9rocsparseL18bsrxmvn_4x4_kernelILj128ELj8EfliaafEEvT3_20rocsparse_direction_NS_24const_host_device_scalarIT1_EES1_PKS1_PKT2_SA_S7_PKT4_PKT5_S5_PT6_21rocsparse_index_base_b
	.p2align	8
	.type	_ZN9rocsparseL18bsrxmvn_4x4_kernelILj128ELj8EfliaafEEvT3_20rocsparse_direction_NS_24const_host_device_scalarIT1_EES1_PKS1_PKT2_SA_S7_PKT4_PKT5_S5_PT6_21rocsparse_index_base_b,@function
_ZN9rocsparseL18bsrxmvn_4x4_kernelILj128ELj8EfliaafEEvT3_20rocsparse_direction_NS_24const_host_device_scalarIT1_EES1_PKS1_PKT2_SA_S7_PKT4_PKT5_S5_PT6_21rocsparse_index_base_b: ; @_ZN9rocsparseL18bsrxmvn_4x4_kernelILj128ELj8EfliaafEEvT3_20rocsparse_direction_NS_24const_host_device_scalarIT1_EES1_PKS1_PKT2_SA_S7_PKT4_PKT5_S5_PT6_21rocsparse_index_base_b
; %bb.0:
	s_clause 0x2
	s_load_dwordx2 s[18:19], s[4:5], 0x58
	s_load_dwordx2 s[16:17], s[4:5], 0x8
	;; [unrolled: 1-line block ×3, first 2 shown]
	s_waitcnt lgkmcnt(0)
	s_bitcmp1_b32 s19, 0
	s_cselect_b32 s0, -1, 0
	s_and_b32 vcc_lo, exec_lo, s0
	s_xor_b32 s0, s0, -1
	s_cbranch_vccnz .LBB81_2
; %bb.1:
	s_load_dword s16, s[16:17], 0x0
.LBB81_2:
	s_andn2_b32 vcc_lo, exec_lo, s0
	s_cbranch_vccnz .LBB81_4
; %bb.3:
	s_load_dword s2, s[2:3], 0x0
.LBB81_4:
	s_waitcnt lgkmcnt(0)
	v_cmp_neq_f32_e64 s0, s16, 0
	v_cmp_neq_f32_e64 s1, s2, 1.0
	s_mov_b32 s3, 0
	s_or_b32 s0, s0, s1
	s_andn2_b32 vcc_lo, exec_lo, s0
	s_cbranch_vccnz .LBB81_10
; %bb.5:
	s_clause 0x1
	s_load_dwordx2 s[8:9], s[4:5], 0x18
	s_load_dwordx2 s[0:1], s[4:5], 0x0
	v_lshrrev_b32_e32 v1, 3, v0
	v_lshl_or_b32 v4, s6, 4, v1
	s_waitcnt lgkmcnt(0)
	s_cmp_lg_u64 s[8:9], 0
	s_cbranch_scc0 .LBB81_11
; %bb.6:
	s_load_dword s3, s[4:5], 0x10
	s_mov_b32 s6, 0
                                        ; implicit-def: $vgpr1
	s_waitcnt lgkmcnt(0)
	v_cmp_gt_i32_e32 vcc_lo, s3, v4
	s_mov_b32 s3, 0
	s_and_saveexec_b32 s7, vcc_lo
	s_xor_b32 s7, exec_lo, s7
	s_cbranch_execz .LBB81_8
; %bb.7:
	v_ashrrev_i32_e32 v5, 31, v4
	s_mov_b32 s3, exec_lo
	v_lshlrev_b64 v[1:2], 2, v[4:5]
	v_add_co_u32 v1, vcc_lo, s8, v1
	v_add_co_ci_u32_e64 v2, null, s9, v2, vcc_lo
	global_load_dword v1, v[1:2], off
	s_waitcnt vmcnt(0)
	v_subrev_nc_u32_e32 v1, s18, v1
.LBB81_8:
	s_or_b32 exec_lo, exec_lo, s7
	s_and_b32 vcc_lo, exec_lo, s6
	s_cbranch_vccz .LBB81_12
.LBB81_9:
	v_cmp_gt_i32_e32 vcc_lo, s0, v4
	s_andn2_b32 s0, s3, exec_lo
	s_and_b32 s3, vcc_lo, exec_lo
	s_or_b32 s3, s0, s3
	s_and_saveexec_b32 s0, s3
	s_cbranch_execnz .LBB81_13
.LBB81_10:
	s_endpgm
.LBB81_11:
                                        ; implicit-def: $vgpr1
	s_cbranch_execnz .LBB81_9
.LBB81_12:
	v_mov_b32_e32 v4, v1
	s_and_saveexec_b32 s0, s3
	s_cbranch_execz .LBB81_10
.LBB81_13:
	s_load_dwordx8 s[8:15], s[4:5], 0x20
	v_ashrrev_i32_e32 v5, 31, v4
	v_and_b32_e32 v21, 7, v0
	s_load_dwordx2 s[6:7], s[4:5], 0x40
	v_mov_b32_e32 v22, 0
	v_lshlrev_b64 v[1:2], 3, v[4:5]
	s_waitcnt lgkmcnt(0)
	v_add_co_u32 v5, vcc_lo, s8, v1
	v_add_co_ci_u32_e64 v6, null, s9, v2, vcc_lo
	v_add_co_u32 v1, vcc_lo, s10, v1
	v_add_co_ci_u32_e64 v2, null, s11, v2, vcc_lo
	v_add_co_u32 v3, vcc_lo, v5, 8
	global_load_dwordx2 v[9:10], v[5:6], off
	v_add_co_ci_u32_e64 v7, null, 0, v6, vcc_lo
	s_cmp_eq_u64 s[10:11], 0
	s_cselect_b32 vcc_lo, -1, 0
	s_cmp_eq_u32 s1, 1
	v_cndmask_b32_e32 v2, v2, v7, vcc_lo
	v_cndmask_b32_e32 v1, v1, v3, vcc_lo
	global_load_dwordx2 v[2:3], v[1:2], off
	s_waitcnt vmcnt(1)
	v_sub_co_u32 v0, vcc_lo, v9, s18
	v_subrev_co_ci_u32_e64 v1, null, 0, v10, vcc_lo
	v_add_co_u32 v0, vcc_lo, v0, v21
	v_add_co_ci_u32_e64 v1, null, 0, v1, vcc_lo
	v_lshlrev_b64 v[5:6], 4, v[0:1]
	s_waitcnt vmcnt(0)
	v_sub_co_u32 v2, vcc_lo, v2, s18
	v_subrev_co_ci_u32_e64 v3, null, 0, v3, vcc_lo
	v_add_co_u32 v5, vcc_lo, s14, v5
	v_cmp_lt_i64_e64 s0, v[0:1], v[2:3]
	v_add_co_ci_u32_e64 v6, null, s15, v6, vcc_lo
	s_cbranch_scc1 .LBB81_25
; %bb.14:
	v_mov_b32_e32 v23, 0
	v_mov_b32_e32 v24, 0
	;; [unrolled: 1-line block ×3, first 2 shown]
	s_and_saveexec_b32 s1, s0
	s_cbranch_execz .LBB81_24
; %bb.15:
	v_or_b32_e32 v7, 8, v21
	v_not_b32_e32 v12, v9
	v_not_b32_e32 v11, v10
	v_sub_co_u32 v7, s3, v7, s18
	v_sub_co_ci_u32_e64 v8, null, 0, 0, s3
	v_sub_co_u32 v13, s3, s18, v21
	v_add_co_u32 v7, vcc_lo, v7, v9
	v_add_co_ci_u32_e64 v8, null, v8, v10, vcc_lo
	v_sub_co_ci_u32_e64 v14, null, 0, 0, s3
	s_mov_b32 s3, exec_lo
	v_cmp_gt_i64_e32 vcc_lo, v[7:8], v[2:3]
	v_cndmask_b32_e32 v16, v3, v8, vcc_lo
	v_cndmask_b32_e32 v7, v2, v7, vcc_lo
	v_add_co_u32 v8, vcc_lo, v13, v12
	v_add_co_ci_u32_e64 v11, null, v14, v11, vcc_lo
	v_mov_b32_e32 v14, v6
	v_add_co_u32 v15, vcc_lo, v8, v7
	v_mov_b32_e32 v8, 0
	v_add_co_ci_u32_e64 v16, null, v11, v16, vcc_lo
	v_mov_b32_e32 v12, v1
	v_and_b32_e32 v7, 24, v15
	v_mov_b32_e32 v24, v8
	v_mov_b32_e32 v23, v8
	;; [unrolled: 1-line block ×5, first 2 shown]
	v_cmpx_ne_u64_e32 24, v[7:8]
	s_cbranch_execz .LBB81_19
; %bb.16:
	v_lshrrev_b32_e32 v7, 3, v15
	v_mov_b32_e32 v14, v6
	v_mov_b32_e32 v12, v1
	;; [unrolled: 1-line block ×4, first 2 shown]
	v_add_nc_u32_e32 v17, 1, v7
	v_lshlrev_b64 v[7:8], 2, v[0:1]
	v_mov_b32_e32 v11, v0
	v_mov_b32_e32 v23, 0
	;; [unrolled: 1-line block ×3, first 2 shown]
	v_and_b32_e32 v19, 3, v17
	v_add_co_u32 v17, vcc_lo, s12, v7
	v_add_co_ci_u32_e64 v18, null, s13, v8, vcc_lo
	v_sub_co_u32 v19, s8, 0, v19
	v_sub_co_ci_u32_e64 v20, null, 0, 0, s8
	v_mov_b32_e32 v8, 0
	s_mov_b32 s8, 0
.LBB81_17:                              ; =>This Inner Loop Header: Depth=1
	global_load_dword v7, v[17:18], off
	s_waitcnt vmcnt(0)
	v_subrev_nc_u32_e32 v7, s18, v7
	v_lshlrev_b32_e32 v7, 2, v7
	v_ashrrev_i32_e32 v25, 31, v7
	v_add_co_u32 v29, vcc_lo, s6, v7
	v_add_co_ci_u32_e64 v30, null, s7, v25, vcc_lo
	global_load_dwordx4 v[25:28], v[13:14], off
	global_load_dword v7, v[29:30], off
	v_add_co_u32 v13, vcc_lo, 0x80, v13
	v_add_co_ci_u32_e64 v14, null, 0, v14, vcc_lo
	v_add_co_u32 v11, vcc_lo, v11, 8
	v_add_co_ci_u32_e64 v12, null, 0, v12, vcc_lo
	;; [unrolled: 2-line block ×4, first 2 shown]
	v_cmp_eq_u64_e32 vcc_lo, 0, v[19:20]
	s_or_b32 s8, vcc_lo, s8
	s_waitcnt vmcnt(1)
	v_cvt_f32_i32_sdwa v29, sext(v25) dst_sel:DWORD dst_unused:UNUSED_PAD src0_sel:BYTE_0
	v_cvt_f32_i32_sdwa v32, sext(v26) dst_sel:DWORD dst_unused:UNUSED_PAD src0_sel:BYTE_0
	;; [unrolled: 1-line block ×4, first 2 shown]
	s_waitcnt vmcnt(0)
	v_cvt_f32_i32_sdwa v41, sext(v7) dst_sel:DWORD dst_unused:UNUSED_PAD src0_sel:BYTE_0
	v_cvt_f32_i32_sdwa v30, sext(v25) dst_sel:DWORD dst_unused:UNUSED_PAD src0_sel:BYTE_1
	v_cvt_f32_i32_sdwa v33, sext(v26) dst_sel:DWORD dst_unused:UNUSED_PAD src0_sel:BYTE_1
	;; [unrolled: 1-line block ×5, first 2 shown]
	v_fmac_f32_e32 v8, v29, v41
	v_fmac_f32_e32 v24, v32, v41
	;; [unrolled: 1-line block ×4, first 2 shown]
	v_cvt_f32_i32_sdwa v31, sext(v25) dst_sel:DWORD dst_unused:UNUSED_PAD src0_sel:BYTE_2
	v_cvt_f32_i32_sdwa v34, sext(v26) dst_sel:DWORD dst_unused:UNUSED_PAD src0_sel:BYTE_2
	;; [unrolled: 1-line block ×5, first 2 shown]
	v_fmac_f32_e32 v8, v30, v42
	v_fmac_f32_e32 v24, v33, v42
	;; [unrolled: 1-line block ×4, first 2 shown]
	v_cvt_f32_i32_sdwa v25, sext(v25) dst_sel:DWORD dst_unused:UNUSED_PAD src0_sel:BYTE_3
	v_cvt_f32_i32_sdwa v26, sext(v26) dst_sel:DWORD dst_unused:UNUSED_PAD src0_sel:BYTE_3
	;; [unrolled: 1-line block ×5, first 2 shown]
	v_fmac_f32_e32 v8, v31, v29
	v_fmac_f32_e32 v24, v34, v29
	;; [unrolled: 1-line block ×8, first 2 shown]
	s_andn2_b32 exec_lo, exec_lo, s8
	s_cbranch_execnz .LBB81_17
; %bb.18:
	s_or_b32 exec_lo, exec_lo, s8
.LBB81_19:
	s_or_b32 exec_lo, exec_lo, s3
	s_mov_b32 s3, exec_lo
	v_cmpx_lt_u64_e32 23, v[15:16]
	s_cbranch_execz .LBB81_23
; %bb.20:
	v_lshlrev_b64 v[15:16], 2, v[11:12]
	s_mov_b32 s8, 0
	v_add_co_u32 v7, vcc_lo, s12, v15
	v_add_co_ci_u32_e64 v16, null, s13, v16, vcc_lo
	v_add_co_u32 v15, vcc_lo, v7, 64
	v_add_co_ci_u32_e64 v16, null, 0, v16, vcc_lo
.LBB81_21:                              ; =>This Inner Loop Header: Depth=1
	s_clause 0x3
	global_load_dword v7, v[15:16], off offset:-64
	global_load_dword v37, v[15:16], off offset:-32
	global_load_dword v38, v[15:16], off
	global_load_dword v39, v[15:16], off offset:32
	s_clause 0x3
	global_load_dwordx4 v[17:20], v[13:14], off
	global_load_dwordx4 v[25:28], v[13:14], off offset:128
	global_load_dwordx4 v[29:32], v[13:14], off offset:256
	;; [unrolled: 1-line block ×3, first 2 shown]
	s_waitcnt vmcnt(7)
	v_subrev_nc_u32_e32 v7, s18, v7
	s_waitcnt vmcnt(6)
	v_subrev_nc_u32_e32 v40, s18, v37
	;; [unrolled: 2-line block ×3, first 2 shown]
	s_waitcnt vmcnt(3)
	v_cvt_f32_i32_sdwa v43, sext(v18) dst_sel:DWORD dst_unused:UNUSED_PAD src0_sel:BYTE_0
	v_lshlrev_b32_e32 v7, 2, v7
	v_cvt_f32_i32_sdwa v46, sext(v19) dst_sel:DWORD dst_unused:UNUSED_PAD src0_sel:BYTE_0
	v_cvt_f32_i32_sdwa v49, sext(v20) dst_sel:DWORD dst_unused:UNUSED_PAD src0_sel:BYTE_0
	v_cvt_f32_i32_sdwa v44, sext(v18) dst_sel:DWORD dst_unused:UNUSED_PAD src0_sel:BYTE_1
	v_cvt_f32_i32_sdwa v47, sext(v19) dst_sel:DWORD dst_unused:UNUSED_PAD src0_sel:BYTE_1
	v_ashrrev_i32_e32 v38, 31, v7
	v_add_co_u32 v37, vcc_lo, s6, v7
	v_subrev_nc_u32_e32 v7, s18, v39
	v_cvt_f32_i32_sdwa v50, sext(v20) dst_sel:DWORD dst_unused:UNUSED_PAD src0_sel:BYTE_1
	v_add_co_ci_u32_e64 v38, null, s7, v38, vcc_lo
	v_cvt_f32_i32_sdwa v42, sext(v17) dst_sel:DWORD dst_unused:UNUSED_PAD src0_sel:BYTE_2
	v_lshlrev_b32_e32 v7, 2, v7
	v_cvt_f32_i32_sdwa v45, sext(v18) dst_sel:DWORD dst_unused:UNUSED_PAD src0_sel:BYTE_2
	global_load_dword v39, v[37:38], off
	v_lshlrev_b32_e32 v37, 2, v40
	v_cvt_f32_i32_sdwa v48, sext(v19) dst_sel:DWORD dst_unused:UNUSED_PAD src0_sel:BYTE_2
	v_cvt_f32_i32_sdwa v51, sext(v20) dst_sel:DWORD dst_unused:UNUSED_PAD src0_sel:BYTE_2
	v_cvt_f32_i32_sdwa v18, sext(v18) dst_sel:DWORD dst_unused:UNUSED_PAD src0_sel:BYTE_3
	v_cvt_f32_i32_sdwa v19, sext(v19) dst_sel:DWORD dst_unused:UNUSED_PAD src0_sel:BYTE_3
	v_ashrrev_i32_e32 v38, 31, v37
	v_add_co_u32 v37, vcc_lo, s6, v37
	v_cvt_f32_i32_sdwa v20, sext(v20) dst_sel:DWORD dst_unused:UNUSED_PAD src0_sel:BYTE_3
	s_waitcnt vmcnt(3)
	v_cvt_f32_i32_sdwa v52, sext(v25) dst_sel:DWORD dst_unused:UNUSED_PAD src0_sel:BYTE_0
	v_add_co_ci_u32_e64 v38, null, s7, v38, vcc_lo
	v_cvt_f32_i32_sdwa v55, sext(v26) dst_sel:DWORD dst_unused:UNUSED_PAD src0_sel:BYTE_0
	v_cvt_f32_i32_sdwa v58, sext(v27) dst_sel:DWORD dst_unused:UNUSED_PAD src0_sel:BYTE_0
	;; [unrolled: 1-line block ×3, first 2 shown]
	global_load_dword v40, v[37:38], off
	v_lshlrev_b32_e32 v37, 2, v41
	v_cvt_f32_i32_sdwa v53, sext(v25) dst_sel:DWORD dst_unused:UNUSED_PAD src0_sel:BYTE_1
	v_cvt_f32_i32_sdwa v56, sext(v26) dst_sel:DWORD dst_unused:UNUSED_PAD src0_sel:BYTE_1
	;; [unrolled: 1-line block ×4, first 2 shown]
	v_ashrrev_i32_e32 v38, 31, v37
	v_add_co_u32 v37, vcc_lo, s6, v37
	v_cvt_f32_i32_sdwa v54, sext(v25) dst_sel:DWORD dst_unused:UNUSED_PAD src0_sel:BYTE_2
	v_cvt_f32_i32_sdwa v57, sext(v26) dst_sel:DWORD dst_unused:UNUSED_PAD src0_sel:BYTE_2
	v_add_co_ci_u32_e64 v38, null, s7, v38, vcc_lo
	v_cvt_f32_i32_sdwa v60, sext(v27) dst_sel:DWORD dst_unused:UNUSED_PAD src0_sel:BYTE_2
	v_cvt_f32_i32_sdwa v63, sext(v28) dst_sel:DWORD dst_unused:UNUSED_PAD src0_sel:BYTE_2
	v_cvt_f32_i32_sdwa v25, sext(v25) dst_sel:DWORD dst_unused:UNUSED_PAD src0_sel:BYTE_3
	global_load_dword v41, v[37:38], off
	v_ashrrev_i32_e32 v38, 31, v7
	v_add_co_u32 v37, vcc_lo, s6, v7
	v_cvt_f32_i32_sdwa v26, sext(v26) dst_sel:DWORD dst_unused:UNUSED_PAD src0_sel:BYTE_3
	v_cvt_f32_i32_sdwa v27, sext(v27) dst_sel:DWORD dst_unused:UNUSED_PAD src0_sel:BYTE_3
	v_add_co_ci_u32_e64 v38, null, s7, v38, vcc_lo
	v_cvt_f32_i32_sdwa v28, sext(v28) dst_sel:DWORD dst_unused:UNUSED_PAD src0_sel:BYTE_3
	s_waitcnt vmcnt(4)
	v_cvt_f32_i32_sdwa v64, sext(v29) dst_sel:DWORD dst_unused:UNUSED_PAD src0_sel:BYTE_0
	v_cvt_f32_i32_sdwa v67, sext(v30) dst_sel:DWORD dst_unused:UNUSED_PAD src0_sel:BYTE_0
	global_load_dword v7, v[37:38], off
	v_cvt_f32_i32_sdwa v37, sext(v17) dst_sel:DWORD dst_unused:UNUSED_PAD src0_sel:BYTE_0
	v_cvt_f32_i32_sdwa v38, sext(v17) dst_sel:DWORD dst_unused:UNUSED_PAD src0_sel:BYTE_1
	v_cvt_f32_i32_sdwa v17, sext(v17) dst_sel:DWORD dst_unused:UNUSED_PAD src0_sel:BYTE_3
	v_cvt_f32_i32_sdwa v70, sext(v31) dst_sel:DWORD dst_unused:UNUSED_PAD src0_sel:BYTE_0
	v_cvt_f32_i32_sdwa v73, sext(v32) dst_sel:DWORD dst_unused:UNUSED_PAD src0_sel:BYTE_0
	v_cvt_f32_i32_sdwa v65, sext(v29) dst_sel:DWORD dst_unused:UNUSED_PAD src0_sel:BYTE_1
	v_cvt_f32_i32_sdwa v68, sext(v30) dst_sel:DWORD dst_unused:UNUSED_PAD src0_sel:BYTE_1
	;; [unrolled: 1-line block ×4, first 2 shown]
	v_cvt_f32_i32_sdwa v66, sext(v29) dst_sel:DWORD dst_unused:UNUSED_PAD src0_sel:BYTE_2
	v_cvt_f32_i32_sdwa v69, sext(v30) dst_sel:DWORD dst_unused:UNUSED_PAD src0_sel:BYTE_2
	v_cvt_f32_i32_sdwa v72, sext(v31) dst_sel:DWORD dst_unused:UNUSED_PAD src0_sel:BYTE_2
	v_cvt_f32_i32_sdwa v75, sext(v32) dst_sel:DWORD dst_unused:UNUSED_PAD src0_sel:BYTE_2
	v_cvt_f32_i32_sdwa v29, sext(v29) dst_sel:DWORD dst_unused:UNUSED_PAD src0_sel:BYTE_3
	v_cvt_f32_i32_sdwa v30, sext(v30) dst_sel:DWORD dst_unused:UNUSED_PAD src0_sel:BYTE_3
	;; [unrolled: 1-line block ×4, first 2 shown]
	s_waitcnt vmcnt(4)
	v_cvt_f32_i32_sdwa v76, sext(v33) dst_sel:DWORD dst_unused:UNUSED_PAD src0_sel:BYTE_0
	v_cvt_f32_i32_sdwa v79, sext(v34) dst_sel:DWORD dst_unused:UNUSED_PAD src0_sel:BYTE_0
	;; [unrolled: 1-line block ×4, first 2 shown]
	v_cvt_f32_i32_sdwa v77, sext(v33) dst_sel:DWORD dst_unused:UNUSED_PAD src0_sel:BYTE_1
	v_cvt_f32_i32_sdwa v80, sext(v34) dst_sel:DWORD dst_unused:UNUSED_PAD src0_sel:BYTE_1
	;; [unrolled: 1-line block ×4, first 2 shown]
	v_add_co_u32 v13, vcc_lo, 0x200, v13
	v_add_co_ci_u32_e64 v14, null, 0, v14, vcc_lo
	v_add_co_u32 v11, vcc_lo, v11, 32
	v_cvt_f32_i32_sdwa v78, sext(v33) dst_sel:DWORD dst_unused:UNUSED_PAD src0_sel:BYTE_2
	v_cvt_f32_i32_sdwa v81, sext(v34) dst_sel:DWORD dst_unused:UNUSED_PAD src0_sel:BYTE_2
	;; [unrolled: 1-line block ×4, first 2 shown]
	v_add_co_ci_u32_e64 v12, null, 0, v12, vcc_lo
	v_add_co_u32 v15, vcc_lo, 0x80, v15
	v_cvt_f32_i32_sdwa v33, sext(v33) dst_sel:DWORD dst_unused:UNUSED_PAD src0_sel:BYTE_3
	v_cvt_f32_i32_sdwa v34, sext(v34) dst_sel:DWORD dst_unused:UNUSED_PAD src0_sel:BYTE_3
	;; [unrolled: 1-line block ×4, first 2 shown]
	v_add_co_ci_u32_e64 v16, null, 0, v16, vcc_lo
	v_cmp_ge_i64_e32 vcc_lo, v[11:12], v[2:3]
	s_or_b32 s8, vcc_lo, s8
	s_waitcnt vmcnt(3)
	v_cvt_f32_i32_sdwa v88, sext(v39) dst_sel:DWORD dst_unused:UNUSED_PAD src0_sel:BYTE_0
	v_cvt_f32_i32_sdwa v89, sext(v39) dst_sel:DWORD dst_unused:UNUSED_PAD src0_sel:BYTE_1
	v_fmac_f32_e32 v8, v37, v88
	v_fmac_f32_e32 v24, v43, v88
	v_fmac_f32_e32 v23, v46, v88
	v_fmac_f32_e32 v22, v49, v88
	v_cvt_f32_i32_sdwa v37, sext(v39) dst_sel:DWORD dst_unused:UNUSED_PAD src0_sel:BYTE_2
	v_fmac_f32_e32 v8, v38, v89
	v_fmac_f32_e32 v24, v44, v89
	v_fmac_f32_e32 v23, v47, v89
	v_fmac_f32_e32 v22, v50, v89
	v_cvt_f32_i32_sdwa v38, sext(v39) dst_sel:DWORD dst_unused:UNUSED_PAD src0_sel:BYTE_3
	v_fmac_f32_e32 v8, v42, v37
	v_fmac_f32_e32 v24, v45, v37
	v_fmac_f32_e32 v23, v48, v37
	v_fmac_f32_e32 v22, v51, v37
	s_waitcnt vmcnt(2)
	v_cvt_f32_i32_sdwa v37, sext(v40) dst_sel:DWORD dst_unused:UNUSED_PAD src0_sel:BYTE_0
	v_fmac_f32_e32 v8, v17, v38
	v_fmac_f32_e32 v24, v18, v38
	v_fmac_f32_e32 v23, v19, v38
	v_fmac_f32_e32 v22, v20, v38
	v_cvt_f32_i32_sdwa v17, sext(v40) dst_sel:DWORD dst_unused:UNUSED_PAD src0_sel:BYTE_1
	v_fmac_f32_e32 v8, v52, v37
	v_fmac_f32_e32 v24, v55, v37
	v_fmac_f32_e32 v23, v58, v37
	v_fmac_f32_e32 v22, v61, v37
	v_cvt_f32_i32_sdwa v18, sext(v40) dst_sel:DWORD dst_unused:UNUSED_PAD src0_sel:BYTE_2
	v_fmac_f32_e32 v8, v53, v17
	v_fmac_f32_e32 v24, v56, v17
	v_fmac_f32_e32 v23, v59, v17
	v_fmac_f32_e32 v22, v62, v17
	v_cvt_f32_i32_sdwa v17, sext(v40) dst_sel:DWORD dst_unused:UNUSED_PAD src0_sel:BYTE_3
	v_fmac_f32_e32 v8, v54, v18
	v_fmac_f32_e32 v24, v57, v18
	v_fmac_f32_e32 v23, v60, v18
	v_fmac_f32_e32 v22, v63, v18
	s_waitcnt vmcnt(1)
	v_cvt_f32_i32_sdwa v18, sext(v41) dst_sel:DWORD dst_unused:UNUSED_PAD src0_sel:BYTE_0
	v_fmac_f32_e32 v8, v25, v17
	v_fmac_f32_e32 v24, v26, v17
	v_fmac_f32_e32 v23, v27, v17
	v_fmac_f32_e32 v22, v28, v17
	;; [unrolled: 21-line block ×3, first 2 shown]
	v_cvt_f32_i32_sdwa v17, sext(v7) dst_sel:DWORD dst_unused:UNUSED_PAD src0_sel:BYTE_1
	v_fmac_f32_e32 v8, v76, v18
	v_fmac_f32_e32 v24, v79, v18
	;; [unrolled: 1-line block ×4, first 2 shown]
	v_cvt_f32_i32_sdwa v18, sext(v7) dst_sel:DWORD dst_unused:UNUSED_PAD src0_sel:BYTE_2
	v_fmac_f32_e32 v8, v77, v17
	v_fmac_f32_e32 v24, v80, v17
	;; [unrolled: 1-line block ×4, first 2 shown]
	v_cvt_f32_i32_sdwa v7, sext(v7) dst_sel:DWORD dst_unused:UNUSED_PAD src0_sel:BYTE_3
	v_fmac_f32_e32 v8, v78, v18
	v_fmac_f32_e32 v24, v81, v18
	v_fmac_f32_e32 v23, v84, v18
	v_fmac_f32_e32 v22, v87, v18
	v_fmac_f32_e32 v8, v33, v7
	v_fmac_f32_e32 v24, v34, v7
	v_fmac_f32_e32 v23, v35, v7
	v_fmac_f32_e32 v22, v36, v7
	s_andn2_b32 exec_lo, exec_lo, s8
	s_cbranch_execnz .LBB81_21
; %bb.22:
	s_or_b32 exec_lo, exec_lo, s8
.LBB81_23:
	s_or_b32 exec_lo, exec_lo, s3
.LBB81_24:
	s_or_b32 exec_lo, exec_lo, s1
	s_cbranch_execz .LBB81_26
	s_branch .LBB81_37
.LBB81_25:
                                        ; implicit-def: $vgpr22
                                        ; implicit-def: $vgpr23
                                        ; implicit-def: $vgpr24
                                        ; implicit-def: $vgpr8
.LBB81_26:
	v_mov_b32_e32 v22, 0
	v_mov_b32_e32 v23, 0
	;; [unrolled: 1-line block ×4, first 2 shown]
	s_and_saveexec_b32 s1, s0
	s_cbranch_execz .LBB81_36
; %bb.27:
	v_or_b32_e32 v7, 8, v21
	v_sub_co_u32 v7, s0, v7, s18
	v_sub_co_ci_u32_e64 v8, null, 0, 0, s0
	v_sub_co_u32 v11, s0, s18, v21
	v_add_co_u32 v7, vcc_lo, v7, v9
	v_add_co_ci_u32_e64 v8, null, v8, v10, vcc_lo
	v_not_b32_e32 v9, v9
	v_not_b32_e32 v10, v10
	v_sub_co_ci_u32_e64 v12, null, 0, 0, s0
	v_cmp_gt_i64_e32 vcc_lo, v[7:8], v[2:3]
	s_mov_b32 s0, exec_lo
	v_cndmask_b32_e32 v13, v3, v8, vcc_lo
	v_cndmask_b32_e32 v7, v2, v7, vcc_lo
	v_add_co_u32 v8, vcc_lo, v11, v9
	v_add_co_ci_u32_e64 v10, null, v12, v10, vcc_lo
	v_add_co_u32 v9, vcc_lo, v8, v7
	v_mov_b32_e32 v8, 0
	v_add_co_ci_u32_e64 v10, null, v10, v13, vcc_lo
	v_and_b32_e32 v7, 24, v9
	v_mov_b32_e32 v24, v8
	v_mov_b32_e32 v23, v8
	v_mov_b32_e32 v22, v8
	v_cmpx_ne_u64_e32 24, v[7:8]
	s_cbranch_execz .LBB81_31
; %bb.28:
	v_lshrrev_b32_e32 v7, 3, v9
	v_mov_b32_e32 v22, 0
	v_mov_b32_e32 v23, 0
	;; [unrolled: 1-line block ×3, first 2 shown]
	v_add_nc_u32_e32 v11, 1, v7
	v_lshlrev_b64 v[7:8], 2, v[0:1]
	v_and_b32_e32 v13, 3, v11
	v_add_co_u32 v11, vcc_lo, s12, v7
	v_add_co_ci_u32_e64 v12, null, s13, v8, vcc_lo
	v_sub_co_u32 v13, s3, 0, v13
	v_sub_co_ci_u32_e64 v14, null, 0, 0, s3
	v_mov_b32_e32 v8, 0
	s_mov_b32 s3, 0
.LBB81_29:                              ; =>This Inner Loop Header: Depth=1
	global_load_dword v7, v[11:12], off
	s_waitcnt vmcnt(0)
	v_subrev_nc_u32_e32 v7, s18, v7
	v_lshlrev_b32_e32 v7, 2, v7
	v_ashrrev_i32_e32 v15, 31, v7
	v_add_co_u32 v19, vcc_lo, s6, v7
	v_add_co_ci_u32_e64 v20, null, s7, v15, vcc_lo
	global_load_dwordx4 v[15:18], v[5:6], off
	global_load_dword v7, v[19:20], off
	v_add_co_u32 v5, vcc_lo, 0x80, v5
	v_add_co_ci_u32_e64 v6, null, 0, v6, vcc_lo
	v_add_co_u32 v0, vcc_lo, v0, 8
	v_add_co_ci_u32_e64 v1, null, 0, v1, vcc_lo
	;; [unrolled: 2-line block ×4, first 2 shown]
	v_cmp_eq_u64_e32 vcc_lo, 0, v[13:14]
	s_or_b32 s3, vcc_lo, s3
	s_waitcnt vmcnt(1)
	v_cvt_f32_i32_sdwa v19, sext(v15) dst_sel:DWORD dst_unused:UNUSED_PAD src0_sel:BYTE_0
	v_cvt_f32_i32_sdwa v20, sext(v15) dst_sel:DWORD dst_unused:UNUSED_PAD src0_sel:BYTE_1
	v_cvt_f32_i32_sdwa v25, sext(v15) dst_sel:DWORD dst_unused:UNUSED_PAD src0_sel:BYTE_2
	v_cvt_f32_i32_sdwa v15, sext(v15) dst_sel:DWORD dst_unused:UNUSED_PAD src0_sel:BYTE_3
	s_waitcnt vmcnt(0)
	v_cvt_f32_i32_sdwa v35, sext(v7) dst_sel:DWORD dst_unused:UNUSED_PAD src0_sel:BYTE_0
	v_cvt_f32_i32_sdwa v26, sext(v16) dst_sel:DWORD dst_unused:UNUSED_PAD src0_sel:BYTE_0
	v_cvt_f32_i32_sdwa v27, sext(v16) dst_sel:DWORD dst_unused:UNUSED_PAD src0_sel:BYTE_1
	v_cvt_f32_i32_sdwa v28, sext(v16) dst_sel:DWORD dst_unused:UNUSED_PAD src0_sel:BYTE_2
	v_cvt_f32_i32_sdwa v16, sext(v16) dst_sel:DWORD dst_unused:UNUSED_PAD src0_sel:BYTE_3
	v_cvt_f32_i32_sdwa v36, sext(v7) dst_sel:DWORD dst_unused:UNUSED_PAD src0_sel:BYTE_1
	v_fmac_f32_e32 v8, v19, v35
	v_fmac_f32_e32 v24, v20, v35
	;; [unrolled: 1-line block ×4, first 2 shown]
	v_cvt_f32_i32_sdwa v29, sext(v17) dst_sel:DWORD dst_unused:UNUSED_PAD src0_sel:BYTE_0
	v_cvt_f32_i32_sdwa v30, sext(v17) dst_sel:DWORD dst_unused:UNUSED_PAD src0_sel:BYTE_1
	v_cvt_f32_i32_sdwa v31, sext(v17) dst_sel:DWORD dst_unused:UNUSED_PAD src0_sel:BYTE_2
	v_cvt_f32_i32_sdwa v17, sext(v17) dst_sel:DWORD dst_unused:UNUSED_PAD src0_sel:BYTE_3
	v_cvt_f32_i32_sdwa v15, sext(v7) dst_sel:DWORD dst_unused:UNUSED_PAD src0_sel:BYTE_2
	v_fmac_f32_e32 v8, v26, v36
	v_fmac_f32_e32 v24, v27, v36
	;; [unrolled: 1-line block ×4, first 2 shown]
	v_cvt_f32_i32_sdwa v32, sext(v18) dst_sel:DWORD dst_unused:UNUSED_PAD src0_sel:BYTE_0
	v_cvt_f32_i32_sdwa v33, sext(v18) dst_sel:DWORD dst_unused:UNUSED_PAD src0_sel:BYTE_1
	v_cvt_f32_i32_sdwa v34, sext(v18) dst_sel:DWORD dst_unused:UNUSED_PAD src0_sel:BYTE_2
	v_cvt_f32_i32_sdwa v18, sext(v18) dst_sel:DWORD dst_unused:UNUSED_PAD src0_sel:BYTE_3
	v_cvt_f32_i32_sdwa v7, sext(v7) dst_sel:DWORD dst_unused:UNUSED_PAD src0_sel:BYTE_3
	v_fmac_f32_e32 v8, v29, v15
	v_fmac_f32_e32 v24, v30, v15
	;; [unrolled: 1-line block ×8, first 2 shown]
	s_andn2_b32 exec_lo, exec_lo, s3
	s_cbranch_execnz .LBB81_29
; %bb.30:
	s_or_b32 exec_lo, exec_lo, s3
.LBB81_31:
	s_or_b32 exec_lo, exec_lo, s0
	s_mov_b32 s0, exec_lo
	v_cmpx_lt_u64_e32 23, v[9:10]
	s_cbranch_execz .LBB81_35
; %bb.32:
	v_lshlrev_b64 v[9:10], 2, v[0:1]
	s_mov_b32 s3, 0
	v_add_co_u32 v7, vcc_lo, s12, v9
	v_add_co_ci_u32_e64 v10, null, s13, v10, vcc_lo
	v_add_co_u32 v9, vcc_lo, v7, 64
	v_add_co_ci_u32_e64 v10, null, 0, v10, vcc_lo
.LBB81_33:                              ; =>This Inner Loop Header: Depth=1
	s_clause 0x3
	global_load_dword v7, v[9:10], off offset:-64
	global_load_dword v19, v[9:10], off offset:-32
	global_load_dword v20, v[9:10], off
	global_load_dword v33, v[9:10], off offset:32
	s_clause 0x3
	global_load_dwordx4 v[11:14], v[5:6], off
	global_load_dwordx4 v[15:18], v[5:6], off offset:128
	global_load_dwordx4 v[25:28], v[5:6], off offset:256
	global_load_dwordx4 v[29:32], v[5:6], off offset:384
	s_waitcnt vmcnt(7)
	v_subrev_nc_u32_e32 v7, s18, v7
	s_waitcnt vmcnt(6)
	v_subrev_nc_u32_e32 v34, s18, v19
	;; [unrolled: 2-line block ×3, first 2 shown]
	s_waitcnt vmcnt(3)
	v_cvt_f32_i32_sdwa v36, sext(v11) dst_sel:DWORD dst_unused:UNUSED_PAD src0_sel:BYTE_2
	v_lshlrev_b32_e32 v7, 2, v7
	v_cvt_f32_i32_sdwa v37, sext(v12) dst_sel:DWORD dst_unused:UNUSED_PAD src0_sel:BYTE_0
	v_cvt_f32_i32_sdwa v38, sext(v12) dst_sel:DWORD dst_unused:UNUSED_PAD src0_sel:BYTE_1
	v_cvt_f32_i32_sdwa v39, sext(v12) dst_sel:DWORD dst_unused:UNUSED_PAD src0_sel:BYTE_2
	v_cvt_f32_i32_sdwa v12, sext(v12) dst_sel:DWORD dst_unused:UNUSED_PAD src0_sel:BYTE_3
	v_ashrrev_i32_e32 v20, 31, v7
	v_add_co_u32 v19, vcc_lo, s6, v7
	v_subrev_nc_u32_e32 v7, s18, v33
	v_cvt_f32_i32_sdwa v40, sext(v13) dst_sel:DWORD dst_unused:UNUSED_PAD src0_sel:BYTE_0
	v_add_co_ci_u32_e64 v20, null, s7, v20, vcc_lo
	v_cvt_f32_i32_sdwa v41, sext(v13) dst_sel:DWORD dst_unused:UNUSED_PAD src0_sel:BYTE_1
	v_lshlrev_b32_e32 v7, 2, v7
	v_cvt_f32_i32_sdwa v42, sext(v13) dst_sel:DWORD dst_unused:UNUSED_PAD src0_sel:BYTE_2
	global_load_dword v33, v[19:20], off
	v_lshlrev_b32_e32 v19, 2, v34
	v_cvt_f32_i32_sdwa v13, sext(v13) dst_sel:DWORD dst_unused:UNUSED_PAD src0_sel:BYTE_3
	v_cvt_f32_i32_sdwa v43, sext(v14) dst_sel:DWORD dst_unused:UNUSED_PAD src0_sel:BYTE_0
	v_cvt_f32_i32_sdwa v44, sext(v14) dst_sel:DWORD dst_unused:UNUSED_PAD src0_sel:BYTE_1
	v_cvt_f32_i32_sdwa v45, sext(v14) dst_sel:DWORD dst_unused:UNUSED_PAD src0_sel:BYTE_2
	v_ashrrev_i32_e32 v20, 31, v19
	v_add_co_u32 v19, vcc_lo, s6, v19
	v_cvt_f32_i32_sdwa v14, sext(v14) dst_sel:DWORD dst_unused:UNUSED_PAD src0_sel:BYTE_3
	s_waitcnt vmcnt(3)
	v_cvt_f32_i32_sdwa v46, sext(v15) dst_sel:DWORD dst_unused:UNUSED_PAD src0_sel:BYTE_0
	v_add_co_ci_u32_e64 v20, null, s7, v20, vcc_lo
	v_cvt_f32_i32_sdwa v47, sext(v15) dst_sel:DWORD dst_unused:UNUSED_PAD src0_sel:BYTE_1
	v_cvt_f32_i32_sdwa v48, sext(v15) dst_sel:DWORD dst_unused:UNUSED_PAD src0_sel:BYTE_2
	v_cvt_f32_i32_sdwa v15, sext(v15) dst_sel:DWORD dst_unused:UNUSED_PAD src0_sel:BYTE_3
	global_load_dword v34, v[19:20], off
	v_lshlrev_b32_e32 v19, 2, v35
	v_cvt_f32_i32_sdwa v49, sext(v16) dst_sel:DWORD dst_unused:UNUSED_PAD src0_sel:BYTE_0
	v_cvt_f32_i32_sdwa v50, sext(v16) dst_sel:DWORD dst_unused:UNUSED_PAD src0_sel:BYTE_1
	v_cvt_f32_i32_sdwa v51, sext(v16) dst_sel:DWORD dst_unused:UNUSED_PAD src0_sel:BYTE_2
	v_cvt_f32_i32_sdwa v16, sext(v16) dst_sel:DWORD dst_unused:UNUSED_PAD src0_sel:BYTE_3
	v_ashrrev_i32_e32 v20, 31, v19
	v_add_co_u32 v19, vcc_lo, s6, v19
	v_cvt_f32_i32_sdwa v52, sext(v17) dst_sel:DWORD dst_unused:UNUSED_PAD src0_sel:BYTE_0
	v_cvt_f32_i32_sdwa v53, sext(v17) dst_sel:DWORD dst_unused:UNUSED_PAD src0_sel:BYTE_1
	v_add_co_ci_u32_e64 v20, null, s7, v20, vcc_lo
	v_cvt_f32_i32_sdwa v54, sext(v17) dst_sel:DWORD dst_unused:UNUSED_PAD src0_sel:BYTE_2
	v_cvt_f32_i32_sdwa v17, sext(v17) dst_sel:DWORD dst_unused:UNUSED_PAD src0_sel:BYTE_3
	v_cvt_f32_i32_sdwa v55, sext(v18) dst_sel:DWORD dst_unused:UNUSED_PAD src0_sel:BYTE_0
	global_load_dword v35, v[19:20], off
	v_ashrrev_i32_e32 v20, 31, v7
	v_add_co_u32 v19, vcc_lo, s6, v7
	v_cvt_f32_i32_sdwa v56, sext(v18) dst_sel:DWORD dst_unused:UNUSED_PAD src0_sel:BYTE_1
	v_cvt_f32_i32_sdwa v57, sext(v18) dst_sel:DWORD dst_unused:UNUSED_PAD src0_sel:BYTE_2
	v_add_co_ci_u32_e64 v20, null, s7, v20, vcc_lo
	v_cvt_f32_i32_sdwa v18, sext(v18) dst_sel:DWORD dst_unused:UNUSED_PAD src0_sel:BYTE_3
	s_waitcnt vmcnt(4)
	v_cvt_f32_i32_sdwa v58, sext(v25) dst_sel:DWORD dst_unused:UNUSED_PAD src0_sel:BYTE_0
	v_cvt_f32_i32_sdwa v59, sext(v25) dst_sel:DWORD dst_unused:UNUSED_PAD src0_sel:BYTE_1
	global_load_dword v7, v[19:20], off
	v_cvt_f32_i32_sdwa v19, sext(v11) dst_sel:DWORD dst_unused:UNUSED_PAD src0_sel:BYTE_0
	v_cvt_f32_i32_sdwa v20, sext(v11) dst_sel:DWORD dst_unused:UNUSED_PAD src0_sel:BYTE_1
	v_cvt_f32_i32_sdwa v11, sext(v11) dst_sel:DWORD dst_unused:UNUSED_PAD src0_sel:BYTE_3
	v_cvt_f32_i32_sdwa v60, sext(v25) dst_sel:DWORD dst_unused:UNUSED_PAD src0_sel:BYTE_2
	v_cvt_f32_i32_sdwa v25, sext(v25) dst_sel:DWORD dst_unused:UNUSED_PAD src0_sel:BYTE_3
	v_cvt_f32_i32_sdwa v61, sext(v26) dst_sel:DWORD dst_unused:UNUSED_PAD src0_sel:BYTE_0
	v_cvt_f32_i32_sdwa v62, sext(v26) dst_sel:DWORD dst_unused:UNUSED_PAD src0_sel:BYTE_1
	v_cvt_f32_i32_sdwa v63, sext(v26) dst_sel:DWORD dst_unused:UNUSED_PAD src0_sel:BYTE_2
	v_cvt_f32_i32_sdwa v26, sext(v26) dst_sel:DWORD dst_unused:UNUSED_PAD src0_sel:BYTE_3
	v_cvt_f32_i32_sdwa v64, sext(v27) dst_sel:DWORD dst_unused:UNUSED_PAD src0_sel:BYTE_0
	v_cvt_f32_i32_sdwa v65, sext(v27) dst_sel:DWORD dst_unused:UNUSED_PAD src0_sel:BYTE_1
	;; [unrolled: 4-line block ×3, first 2 shown]
	v_cvt_f32_i32_sdwa v69, sext(v28) dst_sel:DWORD dst_unused:UNUSED_PAD src0_sel:BYTE_2
	v_cvt_f32_i32_sdwa v28, sext(v28) dst_sel:DWORD dst_unused:UNUSED_PAD src0_sel:BYTE_3
	s_waitcnt vmcnt(4)
	v_cvt_f32_i32_sdwa v70, sext(v29) dst_sel:DWORD dst_unused:UNUSED_PAD src0_sel:BYTE_0
	v_cvt_f32_i32_sdwa v71, sext(v29) dst_sel:DWORD dst_unused:UNUSED_PAD src0_sel:BYTE_1
	v_cvt_f32_i32_sdwa v72, sext(v29) dst_sel:DWORD dst_unused:UNUSED_PAD src0_sel:BYTE_2
	v_cvt_f32_i32_sdwa v29, sext(v29) dst_sel:DWORD dst_unused:UNUSED_PAD src0_sel:BYTE_3
	v_cvt_f32_i32_sdwa v73, sext(v30) dst_sel:DWORD dst_unused:UNUSED_PAD src0_sel:BYTE_0
	v_cvt_f32_i32_sdwa v74, sext(v30) dst_sel:DWORD dst_unused:UNUSED_PAD src0_sel:BYTE_1
	v_cvt_f32_i32_sdwa v75, sext(v30) dst_sel:DWORD dst_unused:UNUSED_PAD src0_sel:BYTE_2
	v_cvt_f32_i32_sdwa v30, sext(v30) dst_sel:DWORD dst_unused:UNUSED_PAD src0_sel:BYTE_3
	v_add_co_u32 v5, vcc_lo, 0x200, v5
	v_add_co_ci_u32_e64 v6, null, 0, v6, vcc_lo
	v_add_co_u32 v0, vcc_lo, v0, 32
	v_cvt_f32_i32_sdwa v76, sext(v31) dst_sel:DWORD dst_unused:UNUSED_PAD src0_sel:BYTE_0
	v_cvt_f32_i32_sdwa v77, sext(v31) dst_sel:DWORD dst_unused:UNUSED_PAD src0_sel:BYTE_1
	v_cvt_f32_i32_sdwa v78, sext(v31) dst_sel:DWORD dst_unused:UNUSED_PAD src0_sel:BYTE_2
	v_cvt_f32_i32_sdwa v31, sext(v31) dst_sel:DWORD dst_unused:UNUSED_PAD src0_sel:BYTE_3
	v_add_co_ci_u32_e64 v1, null, 0, v1, vcc_lo
	v_add_co_u32 v9, vcc_lo, 0x80, v9
	v_cvt_f32_i32_sdwa v79, sext(v32) dst_sel:DWORD dst_unused:UNUSED_PAD src0_sel:BYTE_0
	v_cvt_f32_i32_sdwa v80, sext(v32) dst_sel:DWORD dst_unused:UNUSED_PAD src0_sel:BYTE_1
	v_cvt_f32_i32_sdwa v81, sext(v32) dst_sel:DWORD dst_unused:UNUSED_PAD src0_sel:BYTE_2
	v_cvt_f32_i32_sdwa v32, sext(v32) dst_sel:DWORD dst_unused:UNUSED_PAD src0_sel:BYTE_3
	v_add_co_ci_u32_e64 v10, null, 0, v10, vcc_lo
	v_cmp_ge_i64_e32 vcc_lo, v[0:1], v[2:3]
	s_or_b32 s3, vcc_lo, s3
	s_waitcnt vmcnt(3)
	v_cvt_f32_i32_sdwa v82, sext(v33) dst_sel:DWORD dst_unused:UNUSED_PAD src0_sel:BYTE_0
	v_cvt_f32_i32_sdwa v83, sext(v33) dst_sel:DWORD dst_unused:UNUSED_PAD src0_sel:BYTE_1
	v_fmac_f32_e32 v8, v19, v82
	v_fmac_f32_e32 v24, v20, v82
	v_fmac_f32_e32 v23, v36, v82
	v_fmac_f32_e32 v22, v11, v82
	v_cvt_f32_i32_sdwa v11, sext(v33) dst_sel:DWORD dst_unused:UNUSED_PAD src0_sel:BYTE_2
	v_fmac_f32_e32 v8, v37, v83
	v_fmac_f32_e32 v24, v38, v83
	v_fmac_f32_e32 v23, v39, v83
	v_fmac_f32_e32 v22, v12, v83
	v_cvt_f32_i32_sdwa v12, sext(v33) dst_sel:DWORD dst_unused:UNUSED_PAD src0_sel:BYTE_3
	v_fmac_f32_e32 v8, v40, v11
	v_fmac_f32_e32 v24, v41, v11
	v_fmac_f32_e32 v23, v42, v11
	v_fmac_f32_e32 v22, v13, v11
	s_waitcnt vmcnt(2)
	v_cvt_f32_i32_sdwa v11, sext(v34) dst_sel:DWORD dst_unused:UNUSED_PAD src0_sel:BYTE_0
	v_fmac_f32_e32 v8, v43, v12
	v_fmac_f32_e32 v24, v44, v12
	v_fmac_f32_e32 v23, v45, v12
	v_fmac_f32_e32 v22, v14, v12
	v_cvt_f32_i32_sdwa v12, sext(v34) dst_sel:DWORD dst_unused:UNUSED_PAD src0_sel:BYTE_1
	v_fmac_f32_e32 v8, v46, v11
	v_fmac_f32_e32 v24, v47, v11
	v_fmac_f32_e32 v23, v48, v11
	v_fmac_f32_e32 v22, v15, v11
	v_cvt_f32_i32_sdwa v11, sext(v34) dst_sel:DWORD dst_unused:UNUSED_PAD src0_sel:BYTE_2
	v_fmac_f32_e32 v8, v49, v12
	v_fmac_f32_e32 v24, v50, v12
	v_fmac_f32_e32 v23, v51, v12
	v_fmac_f32_e32 v22, v16, v12
	v_cvt_f32_i32_sdwa v12, sext(v34) dst_sel:DWORD dst_unused:UNUSED_PAD src0_sel:BYTE_3
	v_fmac_f32_e32 v8, v52, v11
	v_fmac_f32_e32 v24, v53, v11
	v_fmac_f32_e32 v23, v54, v11
	v_fmac_f32_e32 v22, v17, v11
	s_waitcnt vmcnt(1)
	v_cvt_f32_i32_sdwa v11, sext(v35) dst_sel:DWORD dst_unused:UNUSED_PAD src0_sel:BYTE_0
	v_fmac_f32_e32 v8, v55, v12
	v_fmac_f32_e32 v24, v56, v12
	v_fmac_f32_e32 v23, v57, v12
	v_fmac_f32_e32 v22, v18, v12
	;; [unrolled: 21-line block ×3, first 2 shown]
	v_cvt_f32_i32_sdwa v12, sext(v7) dst_sel:DWORD dst_unused:UNUSED_PAD src0_sel:BYTE_1
	v_fmac_f32_e32 v8, v70, v11
	v_fmac_f32_e32 v24, v71, v11
	;; [unrolled: 1-line block ×4, first 2 shown]
	v_cvt_f32_i32_sdwa v11, sext(v7) dst_sel:DWORD dst_unused:UNUSED_PAD src0_sel:BYTE_2
	v_fmac_f32_e32 v8, v73, v12
	v_fmac_f32_e32 v24, v74, v12
	;; [unrolled: 1-line block ×4, first 2 shown]
	v_cvt_f32_i32_sdwa v7, sext(v7) dst_sel:DWORD dst_unused:UNUSED_PAD src0_sel:BYTE_3
	v_fmac_f32_e32 v8, v76, v11
	v_fmac_f32_e32 v24, v77, v11
	;; [unrolled: 1-line block ×8, first 2 shown]
	s_andn2_b32 exec_lo, exec_lo, s3
	s_cbranch_execnz .LBB81_33
; %bb.34:
	s_or_b32 exec_lo, exec_lo, s3
.LBB81_35:
	s_or_b32 exec_lo, exec_lo, s0
.LBB81_36:
	s_or_b32 exec_lo, exec_lo, s1
.LBB81_37:
	v_mbcnt_lo_u32_b32 v0, -1, 0
	s_mov_b32 s3, -1
	v_xor_b32_e32 v1, 4, v0
	v_xor_b32_e32 v6, 2, v0
	;; [unrolled: 1-line block ×3, first 2 shown]
	v_cmp_gt_i32_e32 vcc_lo, 32, v1
	v_cndmask_b32_e32 v1, v0, v1, vcc_lo
	v_cmp_gt_i32_e32 vcc_lo, 32, v6
	v_lshlrev_b32_e32 v1, 2, v1
	v_cndmask_b32_e32 v6, v0, v6, vcc_lo
	v_cmp_gt_i32_e32 vcc_lo, 32, v10
	ds_bpermute_b32 v2, v1, v8
	ds_bpermute_b32 v3, v1, v24
	;; [unrolled: 1-line block ×4, first 2 shown]
	v_lshlrev_b32_e32 v6, 2, v6
	v_cndmask_b32_e32 v0, v0, v10, vcc_lo
	v_cmp_eq_u32_e32 vcc_lo, 7, v21
	v_lshlrev_b32_e32 v10, 2, v0
	s_waitcnt lgkmcnt(3)
	v_add_f32_e32 v2, v8, v2
	s_waitcnt lgkmcnt(2)
	v_add_f32_e32 v3, v24, v3
	;; [unrolled: 2-line block ×4, first 2 shown]
	ds_bpermute_b32 v1, v6, v2
	ds_bpermute_b32 v8, v6, v3
	;; [unrolled: 1-line block ×4, first 2 shown]
	s_waitcnt lgkmcnt(3)
	v_add_f32_e32 v0, v2, v1
	s_waitcnt lgkmcnt(2)
	v_add_f32_e32 v1, v3, v8
	;; [unrolled: 2-line block ×4, first 2 shown]
	ds_bpermute_b32 v5, v10, v0
	ds_bpermute_b32 v6, v10, v1
	;; [unrolled: 1-line block ×4, first 2 shown]
	s_and_b32 exec_lo, exec_lo, vcc_lo
	s_cbranch_execz .LBB81_10
; %bb.38:
	s_load_dwordx2 s[0:1], s[4:5], 0x50
	s_waitcnt lgkmcnt(0)
	v_add_f32_e32 v0, v0, v5
	v_add_f32_e32 v1, v1, v6
	;; [unrolled: 1-line block ×4, first 2 shown]
	v_cmp_eq_f32_e64 s4, s2, 0
	v_mul_f32_e32 v0, s16, v0
	v_mul_f32_e32 v1, s16, v1
	;; [unrolled: 1-line block ×4, first 2 shown]
	v_lshlrev_b32_e32 v4, 2, v4
	s_and_b32 vcc_lo, exec_lo, s4
	s_cbranch_vccz .LBB81_40
; %bb.39:
	v_ashrrev_i32_e32 v5, 31, v4
	s_mov_b32 s3, 0
	v_lshlrev_b64 v[5:6], 2, v[4:5]
	v_add_co_u32 v5, vcc_lo, s0, v5
	v_add_co_ci_u32_e64 v6, null, s1, v6, vcc_lo
	global_store_dwordx4 v[5:6], v[0:3], off
.LBB81_40:
	s_andn2_b32 vcc_lo, exec_lo, s3
	s_cbranch_vccnz .LBB81_10
; %bb.41:
	v_ashrrev_i32_e32 v5, 31, v4
	v_lshlrev_b64 v[4:5], 2, v[4:5]
	v_add_co_u32 v8, vcc_lo, s0, v4
	v_add_co_ci_u32_e64 v9, null, s1, v5, vcc_lo
	global_load_dwordx4 v[4:7], v[8:9], off
	s_waitcnt vmcnt(0)
	v_fmac_f32_e32 v0, s2, v4
	v_fmac_f32_e32 v1, s2, v5
	;; [unrolled: 1-line block ×4, first 2 shown]
	global_store_dwordx4 v[8:9], v[0:3], off
	s_endpgm
	.section	.rodata,"a",@progbits
	.p2align	6, 0x0
	.amdhsa_kernel _ZN9rocsparseL18bsrxmvn_4x4_kernelILj128ELj8EfliaafEEvT3_20rocsparse_direction_NS_24const_host_device_scalarIT1_EES1_PKS1_PKT2_SA_S7_PKT4_PKT5_S5_PT6_21rocsparse_index_base_b
		.amdhsa_group_segment_fixed_size 0
		.amdhsa_private_segment_fixed_size 0
		.amdhsa_kernarg_size 96
		.amdhsa_user_sgpr_count 6
		.amdhsa_user_sgpr_private_segment_buffer 1
		.amdhsa_user_sgpr_dispatch_ptr 0
		.amdhsa_user_sgpr_queue_ptr 0
		.amdhsa_user_sgpr_kernarg_segment_ptr 1
		.amdhsa_user_sgpr_dispatch_id 0
		.amdhsa_user_sgpr_flat_scratch_init 0
		.amdhsa_user_sgpr_private_segment_size 0
		.amdhsa_wavefront_size32 1
		.amdhsa_uses_dynamic_stack 0
		.amdhsa_system_sgpr_private_segment_wavefront_offset 0
		.amdhsa_system_sgpr_workgroup_id_x 1
		.amdhsa_system_sgpr_workgroup_id_y 0
		.amdhsa_system_sgpr_workgroup_id_z 0
		.amdhsa_system_sgpr_workgroup_info 0
		.amdhsa_system_vgpr_workitem_id 0
		.amdhsa_next_free_vgpr 90
		.amdhsa_next_free_sgpr 20
		.amdhsa_reserve_vcc 1
		.amdhsa_reserve_flat_scratch 0
		.amdhsa_float_round_mode_32 0
		.amdhsa_float_round_mode_16_64 0
		.amdhsa_float_denorm_mode_32 3
		.amdhsa_float_denorm_mode_16_64 3
		.amdhsa_dx10_clamp 1
		.amdhsa_ieee_mode 1
		.amdhsa_fp16_overflow 0
		.amdhsa_workgroup_processor_mode 1
		.amdhsa_memory_ordered 1
		.amdhsa_forward_progress 1
		.amdhsa_shared_vgpr_count 0
		.amdhsa_exception_fp_ieee_invalid_op 0
		.amdhsa_exception_fp_denorm_src 0
		.amdhsa_exception_fp_ieee_div_zero 0
		.amdhsa_exception_fp_ieee_overflow 0
		.amdhsa_exception_fp_ieee_underflow 0
		.amdhsa_exception_fp_ieee_inexact 0
		.amdhsa_exception_int_div_zero 0
	.end_amdhsa_kernel
	.section	.text._ZN9rocsparseL18bsrxmvn_4x4_kernelILj128ELj8EfliaafEEvT3_20rocsparse_direction_NS_24const_host_device_scalarIT1_EES1_PKS1_PKT2_SA_S7_PKT4_PKT5_S5_PT6_21rocsparse_index_base_b,"axG",@progbits,_ZN9rocsparseL18bsrxmvn_4x4_kernelILj128ELj8EfliaafEEvT3_20rocsparse_direction_NS_24const_host_device_scalarIT1_EES1_PKS1_PKT2_SA_S7_PKT4_PKT5_S5_PT6_21rocsparse_index_base_b,comdat
.Lfunc_end81:
	.size	_ZN9rocsparseL18bsrxmvn_4x4_kernelILj128ELj8EfliaafEEvT3_20rocsparse_direction_NS_24const_host_device_scalarIT1_EES1_PKS1_PKT2_SA_S7_PKT4_PKT5_S5_PT6_21rocsparse_index_base_b, .Lfunc_end81-_ZN9rocsparseL18bsrxmvn_4x4_kernelILj128ELj8EfliaafEEvT3_20rocsparse_direction_NS_24const_host_device_scalarIT1_EES1_PKS1_PKT2_SA_S7_PKT4_PKT5_S5_PT6_21rocsparse_index_base_b
                                        ; -- End function
	.set _ZN9rocsparseL18bsrxmvn_4x4_kernelILj128ELj8EfliaafEEvT3_20rocsparse_direction_NS_24const_host_device_scalarIT1_EES1_PKS1_PKT2_SA_S7_PKT4_PKT5_S5_PT6_21rocsparse_index_base_b.num_vgpr, 90
	.set _ZN9rocsparseL18bsrxmvn_4x4_kernelILj128ELj8EfliaafEEvT3_20rocsparse_direction_NS_24const_host_device_scalarIT1_EES1_PKS1_PKT2_SA_S7_PKT4_PKT5_S5_PT6_21rocsparse_index_base_b.num_agpr, 0
	.set _ZN9rocsparseL18bsrxmvn_4x4_kernelILj128ELj8EfliaafEEvT3_20rocsparse_direction_NS_24const_host_device_scalarIT1_EES1_PKS1_PKT2_SA_S7_PKT4_PKT5_S5_PT6_21rocsparse_index_base_b.numbered_sgpr, 20
	.set _ZN9rocsparseL18bsrxmvn_4x4_kernelILj128ELj8EfliaafEEvT3_20rocsparse_direction_NS_24const_host_device_scalarIT1_EES1_PKS1_PKT2_SA_S7_PKT4_PKT5_S5_PT6_21rocsparse_index_base_b.num_named_barrier, 0
	.set _ZN9rocsparseL18bsrxmvn_4x4_kernelILj128ELj8EfliaafEEvT3_20rocsparse_direction_NS_24const_host_device_scalarIT1_EES1_PKS1_PKT2_SA_S7_PKT4_PKT5_S5_PT6_21rocsparse_index_base_b.private_seg_size, 0
	.set _ZN9rocsparseL18bsrxmvn_4x4_kernelILj128ELj8EfliaafEEvT3_20rocsparse_direction_NS_24const_host_device_scalarIT1_EES1_PKS1_PKT2_SA_S7_PKT4_PKT5_S5_PT6_21rocsparse_index_base_b.uses_vcc, 1
	.set _ZN9rocsparseL18bsrxmvn_4x4_kernelILj128ELj8EfliaafEEvT3_20rocsparse_direction_NS_24const_host_device_scalarIT1_EES1_PKS1_PKT2_SA_S7_PKT4_PKT5_S5_PT6_21rocsparse_index_base_b.uses_flat_scratch, 0
	.set _ZN9rocsparseL18bsrxmvn_4x4_kernelILj128ELj8EfliaafEEvT3_20rocsparse_direction_NS_24const_host_device_scalarIT1_EES1_PKS1_PKT2_SA_S7_PKT4_PKT5_S5_PT6_21rocsparse_index_base_b.has_dyn_sized_stack, 0
	.set _ZN9rocsparseL18bsrxmvn_4x4_kernelILj128ELj8EfliaafEEvT3_20rocsparse_direction_NS_24const_host_device_scalarIT1_EES1_PKS1_PKT2_SA_S7_PKT4_PKT5_S5_PT6_21rocsparse_index_base_b.has_recursion, 0
	.set _ZN9rocsparseL18bsrxmvn_4x4_kernelILj128ELj8EfliaafEEvT3_20rocsparse_direction_NS_24const_host_device_scalarIT1_EES1_PKS1_PKT2_SA_S7_PKT4_PKT5_S5_PT6_21rocsparse_index_base_b.has_indirect_call, 0
	.section	.AMDGPU.csdata,"",@progbits
; Kernel info:
; codeLenInByte = 4776
; TotalNumSgprs: 22
; NumVgprs: 90
; ScratchSize: 0
; MemoryBound: 0
; FloatMode: 240
; IeeeMode: 1
; LDSByteSize: 0 bytes/workgroup (compile time only)
; SGPRBlocks: 0
; VGPRBlocks: 11
; NumSGPRsForWavesPerEU: 22
; NumVGPRsForWavesPerEU: 90
; Occupancy: 10
; WaveLimiterHint : 1
; COMPUTE_PGM_RSRC2:SCRATCH_EN: 0
; COMPUTE_PGM_RSRC2:USER_SGPR: 6
; COMPUTE_PGM_RSRC2:TRAP_HANDLER: 0
; COMPUTE_PGM_RSRC2:TGID_X_EN: 1
; COMPUTE_PGM_RSRC2:TGID_Y_EN: 0
; COMPUTE_PGM_RSRC2:TGID_Z_EN: 0
; COMPUTE_PGM_RSRC2:TIDIG_COMP_CNT: 0
	.section	.text._ZN9rocsparseL18bsrxmvn_4x4_kernelILj128ELj16EfliaafEEvT3_20rocsparse_direction_NS_24const_host_device_scalarIT1_EES1_PKS1_PKT2_SA_S7_PKT4_PKT5_S5_PT6_21rocsparse_index_base_b,"axG",@progbits,_ZN9rocsparseL18bsrxmvn_4x4_kernelILj128ELj16EfliaafEEvT3_20rocsparse_direction_NS_24const_host_device_scalarIT1_EES1_PKS1_PKT2_SA_S7_PKT4_PKT5_S5_PT6_21rocsparse_index_base_b,comdat
	.globl	_ZN9rocsparseL18bsrxmvn_4x4_kernelILj128ELj16EfliaafEEvT3_20rocsparse_direction_NS_24const_host_device_scalarIT1_EES1_PKS1_PKT2_SA_S7_PKT4_PKT5_S5_PT6_21rocsparse_index_base_b ; -- Begin function _ZN9rocsparseL18bsrxmvn_4x4_kernelILj128ELj16EfliaafEEvT3_20rocsparse_direction_NS_24const_host_device_scalarIT1_EES1_PKS1_PKT2_SA_S7_PKT4_PKT5_S5_PT6_21rocsparse_index_base_b
	.p2align	8
	.type	_ZN9rocsparseL18bsrxmvn_4x4_kernelILj128ELj16EfliaafEEvT3_20rocsparse_direction_NS_24const_host_device_scalarIT1_EES1_PKS1_PKT2_SA_S7_PKT4_PKT5_S5_PT6_21rocsparse_index_base_b,@function
_ZN9rocsparseL18bsrxmvn_4x4_kernelILj128ELj16EfliaafEEvT3_20rocsparse_direction_NS_24const_host_device_scalarIT1_EES1_PKS1_PKT2_SA_S7_PKT4_PKT5_S5_PT6_21rocsparse_index_base_b: ; @_ZN9rocsparseL18bsrxmvn_4x4_kernelILj128ELj16EfliaafEEvT3_20rocsparse_direction_NS_24const_host_device_scalarIT1_EES1_PKS1_PKT2_SA_S7_PKT4_PKT5_S5_PT6_21rocsparse_index_base_b
; %bb.0:
	s_clause 0x2
	s_load_dwordx2 s[18:19], s[4:5], 0x58
	s_load_dwordx2 s[16:17], s[4:5], 0x8
	;; [unrolled: 1-line block ×3, first 2 shown]
	s_waitcnt lgkmcnt(0)
	s_bitcmp1_b32 s19, 0
	s_cselect_b32 s0, -1, 0
	s_and_b32 vcc_lo, exec_lo, s0
	s_xor_b32 s0, s0, -1
	s_cbranch_vccnz .LBB82_2
; %bb.1:
	s_load_dword s16, s[16:17], 0x0
.LBB82_2:
	s_andn2_b32 vcc_lo, exec_lo, s0
	s_cbranch_vccnz .LBB82_4
; %bb.3:
	s_load_dword s2, s[2:3], 0x0
.LBB82_4:
	s_waitcnt lgkmcnt(0)
	v_cmp_neq_f32_e64 s0, s16, 0
	v_cmp_neq_f32_e64 s1, s2, 1.0
	s_mov_b32 s3, 0
	s_or_b32 s0, s0, s1
	s_andn2_b32 vcc_lo, exec_lo, s0
	s_cbranch_vccnz .LBB82_10
; %bb.5:
	s_clause 0x1
	s_load_dwordx2 s[8:9], s[4:5], 0x18
	s_load_dwordx2 s[0:1], s[4:5], 0x0
	v_lshrrev_b32_e32 v1, 4, v0
	v_lshl_or_b32 v4, s6, 3, v1
	s_waitcnt lgkmcnt(0)
	s_cmp_lg_u64 s[8:9], 0
	s_cbranch_scc0 .LBB82_11
; %bb.6:
	s_load_dword s3, s[4:5], 0x10
	s_mov_b32 s6, 0
                                        ; implicit-def: $vgpr1
	s_waitcnt lgkmcnt(0)
	v_cmp_gt_i32_e32 vcc_lo, s3, v4
	s_mov_b32 s3, 0
	s_and_saveexec_b32 s7, vcc_lo
	s_xor_b32 s7, exec_lo, s7
	s_cbranch_execz .LBB82_8
; %bb.7:
	v_ashrrev_i32_e32 v5, 31, v4
	s_mov_b32 s3, exec_lo
	v_lshlrev_b64 v[1:2], 2, v[4:5]
	v_add_co_u32 v1, vcc_lo, s8, v1
	v_add_co_ci_u32_e64 v2, null, s9, v2, vcc_lo
	global_load_dword v1, v[1:2], off
	s_waitcnt vmcnt(0)
	v_subrev_nc_u32_e32 v1, s18, v1
.LBB82_8:
	s_or_b32 exec_lo, exec_lo, s7
	s_and_b32 vcc_lo, exec_lo, s6
	s_cbranch_vccz .LBB82_12
.LBB82_9:
	v_cmp_gt_i32_e32 vcc_lo, s0, v4
	s_andn2_b32 s0, s3, exec_lo
	s_and_b32 s3, vcc_lo, exec_lo
	s_or_b32 s3, s0, s3
	s_and_saveexec_b32 s0, s3
	s_cbranch_execnz .LBB82_13
.LBB82_10:
	s_endpgm
.LBB82_11:
                                        ; implicit-def: $vgpr1
	s_cbranch_execnz .LBB82_9
.LBB82_12:
	v_mov_b32_e32 v4, v1
	s_and_saveexec_b32 s0, s3
	s_cbranch_execz .LBB82_10
.LBB82_13:
	s_load_dwordx8 s[8:15], s[4:5], 0x20
	v_ashrrev_i32_e32 v5, 31, v4
	v_and_b32_e32 v21, 15, v0
	s_load_dwordx2 s[6:7], s[4:5], 0x40
	v_mov_b32_e32 v22, 0
	v_lshlrev_b64 v[1:2], 3, v[4:5]
	s_waitcnt lgkmcnt(0)
	v_add_co_u32 v5, vcc_lo, s8, v1
	v_add_co_ci_u32_e64 v6, null, s9, v2, vcc_lo
	v_add_co_u32 v1, vcc_lo, s10, v1
	v_add_co_ci_u32_e64 v2, null, s11, v2, vcc_lo
	v_add_co_u32 v3, vcc_lo, v5, 8
	global_load_dwordx2 v[9:10], v[5:6], off
	v_add_co_ci_u32_e64 v7, null, 0, v6, vcc_lo
	s_cmp_eq_u64 s[10:11], 0
	s_cselect_b32 vcc_lo, -1, 0
	s_cmp_eq_u32 s1, 1
	v_cndmask_b32_e32 v2, v2, v7, vcc_lo
	v_cndmask_b32_e32 v1, v1, v3, vcc_lo
	global_load_dwordx2 v[2:3], v[1:2], off
	s_waitcnt vmcnt(1)
	v_sub_co_u32 v0, vcc_lo, v9, s18
	v_subrev_co_ci_u32_e64 v1, null, 0, v10, vcc_lo
	v_add_co_u32 v0, vcc_lo, v0, v21
	v_add_co_ci_u32_e64 v1, null, 0, v1, vcc_lo
	v_lshlrev_b64 v[5:6], 4, v[0:1]
	s_waitcnt vmcnt(0)
	v_sub_co_u32 v2, vcc_lo, v2, s18
	v_subrev_co_ci_u32_e64 v3, null, 0, v3, vcc_lo
	v_add_co_u32 v5, vcc_lo, s14, v5
	v_cmp_lt_i64_e64 s0, v[0:1], v[2:3]
	v_add_co_ci_u32_e64 v6, null, s15, v6, vcc_lo
	s_cbranch_scc1 .LBB82_25
; %bb.14:
	v_mov_b32_e32 v23, 0
	v_mov_b32_e32 v24, 0
	;; [unrolled: 1-line block ×3, first 2 shown]
	s_and_saveexec_b32 s1, s0
	s_cbranch_execz .LBB82_24
; %bb.15:
	v_or_b32_e32 v7, 16, v21
	v_not_b32_e32 v12, v9
	v_not_b32_e32 v11, v10
	v_sub_co_u32 v7, s3, v7, s18
	v_sub_co_ci_u32_e64 v8, null, 0, 0, s3
	v_sub_co_u32 v13, s3, s18, v21
	v_add_co_u32 v7, vcc_lo, v7, v9
	v_add_co_ci_u32_e64 v8, null, v8, v10, vcc_lo
	v_sub_co_ci_u32_e64 v14, null, 0, 0, s3
	s_mov_b32 s3, exec_lo
	v_cmp_gt_i64_e32 vcc_lo, v[7:8], v[2:3]
	v_cndmask_b32_e32 v16, v3, v8, vcc_lo
	v_cndmask_b32_e32 v7, v2, v7, vcc_lo
	v_add_co_u32 v8, vcc_lo, v13, v12
	v_add_co_ci_u32_e64 v11, null, v14, v11, vcc_lo
	v_mov_b32_e32 v14, v6
	v_add_co_u32 v15, vcc_lo, v8, v7
	v_mov_b32_e32 v8, 0
	v_add_co_ci_u32_e64 v16, null, v11, v16, vcc_lo
	v_mov_b32_e32 v12, v1
	v_and_b32_e32 v7, 48, v15
	v_mov_b32_e32 v24, v8
	v_mov_b32_e32 v23, v8
	;; [unrolled: 1-line block ×5, first 2 shown]
	v_cmpx_ne_u64_e32 48, v[7:8]
	s_cbranch_execz .LBB82_19
; %bb.16:
	v_lshrrev_b32_e32 v7, 4, v15
	v_mov_b32_e32 v14, v6
	v_mov_b32_e32 v12, v1
	;; [unrolled: 1-line block ×4, first 2 shown]
	v_add_nc_u32_e32 v17, 1, v7
	v_lshlrev_b64 v[7:8], 2, v[0:1]
	v_mov_b32_e32 v11, v0
	v_mov_b32_e32 v23, 0
	;; [unrolled: 1-line block ×3, first 2 shown]
	v_and_b32_e32 v19, 3, v17
	v_add_co_u32 v17, vcc_lo, s12, v7
	v_add_co_ci_u32_e64 v18, null, s13, v8, vcc_lo
	v_sub_co_u32 v19, s8, 0, v19
	v_sub_co_ci_u32_e64 v20, null, 0, 0, s8
	v_mov_b32_e32 v8, 0
	s_mov_b32 s8, 0
.LBB82_17:                              ; =>This Inner Loop Header: Depth=1
	global_load_dword v7, v[17:18], off
	s_waitcnt vmcnt(0)
	v_subrev_nc_u32_e32 v7, s18, v7
	v_lshlrev_b32_e32 v7, 2, v7
	v_ashrrev_i32_e32 v25, 31, v7
	v_add_co_u32 v29, vcc_lo, s6, v7
	v_add_co_ci_u32_e64 v30, null, s7, v25, vcc_lo
	global_load_dwordx4 v[25:28], v[13:14], off
	global_load_dword v7, v[29:30], off
	v_add_co_u32 v13, vcc_lo, 0x100, v13
	v_add_co_ci_u32_e64 v14, null, 0, v14, vcc_lo
	v_add_co_u32 v11, vcc_lo, v11, 16
	v_add_co_ci_u32_e64 v12, null, 0, v12, vcc_lo
	;; [unrolled: 2-line block ×4, first 2 shown]
	v_cmp_eq_u64_e32 vcc_lo, 0, v[19:20]
	s_or_b32 s8, vcc_lo, s8
	s_waitcnt vmcnt(1)
	v_cvt_f32_i32_sdwa v29, sext(v25) dst_sel:DWORD dst_unused:UNUSED_PAD src0_sel:BYTE_0
	v_cvt_f32_i32_sdwa v32, sext(v26) dst_sel:DWORD dst_unused:UNUSED_PAD src0_sel:BYTE_0
	;; [unrolled: 1-line block ×4, first 2 shown]
	s_waitcnt vmcnt(0)
	v_cvt_f32_i32_sdwa v41, sext(v7) dst_sel:DWORD dst_unused:UNUSED_PAD src0_sel:BYTE_0
	v_cvt_f32_i32_sdwa v30, sext(v25) dst_sel:DWORD dst_unused:UNUSED_PAD src0_sel:BYTE_1
	v_cvt_f32_i32_sdwa v33, sext(v26) dst_sel:DWORD dst_unused:UNUSED_PAD src0_sel:BYTE_1
	;; [unrolled: 1-line block ×5, first 2 shown]
	v_fmac_f32_e32 v8, v29, v41
	v_fmac_f32_e32 v24, v32, v41
	;; [unrolled: 1-line block ×4, first 2 shown]
	v_cvt_f32_i32_sdwa v31, sext(v25) dst_sel:DWORD dst_unused:UNUSED_PAD src0_sel:BYTE_2
	v_cvt_f32_i32_sdwa v34, sext(v26) dst_sel:DWORD dst_unused:UNUSED_PAD src0_sel:BYTE_2
	;; [unrolled: 1-line block ×5, first 2 shown]
	v_fmac_f32_e32 v8, v30, v42
	v_fmac_f32_e32 v24, v33, v42
	v_fmac_f32_e32 v23, v36, v42
	v_fmac_f32_e32 v22, v39, v42
	v_cvt_f32_i32_sdwa v25, sext(v25) dst_sel:DWORD dst_unused:UNUSED_PAD src0_sel:BYTE_3
	v_cvt_f32_i32_sdwa v26, sext(v26) dst_sel:DWORD dst_unused:UNUSED_PAD src0_sel:BYTE_3
	;; [unrolled: 1-line block ×5, first 2 shown]
	v_fmac_f32_e32 v8, v31, v29
	v_fmac_f32_e32 v24, v34, v29
	;; [unrolled: 1-line block ×8, first 2 shown]
	s_andn2_b32 exec_lo, exec_lo, s8
	s_cbranch_execnz .LBB82_17
; %bb.18:
	s_or_b32 exec_lo, exec_lo, s8
.LBB82_19:
	s_or_b32 exec_lo, exec_lo, s3
	s_mov_b32 s3, exec_lo
	v_cmpx_lt_u64_e32 47, v[15:16]
	s_cbranch_execz .LBB82_23
; %bb.20:
	v_lshlrev_b64 v[15:16], 2, v[11:12]
	s_mov_b32 s8, 0
	v_add_co_u32 v7, vcc_lo, s12, v15
	v_add_co_ci_u32_e64 v16, null, s13, v16, vcc_lo
	v_add_co_u32 v15, vcc_lo, 0x80, v7
	v_add_co_ci_u32_e64 v16, null, 0, v16, vcc_lo
.LBB82_21:                              ; =>This Inner Loop Header: Depth=1
	s_clause 0x3
	global_load_dword v7, v[15:16], off offset:-128
	global_load_dword v37, v[15:16], off offset:-64
	global_load_dword v38, v[15:16], off
	global_load_dword v39, v[15:16], off offset:64
	s_clause 0x3
	global_load_dwordx4 v[17:20], v[13:14], off
	global_load_dwordx4 v[25:28], v[13:14], off offset:256
	global_load_dwordx4 v[29:32], v[13:14], off offset:512
	global_load_dwordx4 v[33:36], v[13:14], off offset:768
	s_waitcnt vmcnt(7)
	v_subrev_nc_u32_e32 v7, s18, v7
	s_waitcnt vmcnt(6)
	v_subrev_nc_u32_e32 v40, s18, v37
	;; [unrolled: 2-line block ×3, first 2 shown]
	s_waitcnt vmcnt(3)
	v_cvt_f32_i32_sdwa v43, sext(v18) dst_sel:DWORD dst_unused:UNUSED_PAD src0_sel:BYTE_0
	v_lshlrev_b32_e32 v7, 2, v7
	v_cvt_f32_i32_sdwa v46, sext(v19) dst_sel:DWORD dst_unused:UNUSED_PAD src0_sel:BYTE_0
	v_cvt_f32_i32_sdwa v49, sext(v20) dst_sel:DWORD dst_unused:UNUSED_PAD src0_sel:BYTE_0
	v_cvt_f32_i32_sdwa v44, sext(v18) dst_sel:DWORD dst_unused:UNUSED_PAD src0_sel:BYTE_1
	v_cvt_f32_i32_sdwa v47, sext(v19) dst_sel:DWORD dst_unused:UNUSED_PAD src0_sel:BYTE_1
	v_ashrrev_i32_e32 v38, 31, v7
	v_add_co_u32 v37, vcc_lo, s6, v7
	v_subrev_nc_u32_e32 v7, s18, v39
	v_cvt_f32_i32_sdwa v50, sext(v20) dst_sel:DWORD dst_unused:UNUSED_PAD src0_sel:BYTE_1
	v_add_co_ci_u32_e64 v38, null, s7, v38, vcc_lo
	v_cvt_f32_i32_sdwa v42, sext(v17) dst_sel:DWORD dst_unused:UNUSED_PAD src0_sel:BYTE_2
	v_lshlrev_b32_e32 v7, 2, v7
	v_cvt_f32_i32_sdwa v45, sext(v18) dst_sel:DWORD dst_unused:UNUSED_PAD src0_sel:BYTE_2
	global_load_dword v39, v[37:38], off
	v_lshlrev_b32_e32 v37, 2, v40
	v_cvt_f32_i32_sdwa v48, sext(v19) dst_sel:DWORD dst_unused:UNUSED_PAD src0_sel:BYTE_2
	v_cvt_f32_i32_sdwa v51, sext(v20) dst_sel:DWORD dst_unused:UNUSED_PAD src0_sel:BYTE_2
	v_cvt_f32_i32_sdwa v18, sext(v18) dst_sel:DWORD dst_unused:UNUSED_PAD src0_sel:BYTE_3
	v_cvt_f32_i32_sdwa v19, sext(v19) dst_sel:DWORD dst_unused:UNUSED_PAD src0_sel:BYTE_3
	v_ashrrev_i32_e32 v38, 31, v37
	v_add_co_u32 v37, vcc_lo, s6, v37
	v_cvt_f32_i32_sdwa v20, sext(v20) dst_sel:DWORD dst_unused:UNUSED_PAD src0_sel:BYTE_3
	s_waitcnt vmcnt(3)
	v_cvt_f32_i32_sdwa v52, sext(v25) dst_sel:DWORD dst_unused:UNUSED_PAD src0_sel:BYTE_0
	v_add_co_ci_u32_e64 v38, null, s7, v38, vcc_lo
	v_cvt_f32_i32_sdwa v55, sext(v26) dst_sel:DWORD dst_unused:UNUSED_PAD src0_sel:BYTE_0
	v_cvt_f32_i32_sdwa v58, sext(v27) dst_sel:DWORD dst_unused:UNUSED_PAD src0_sel:BYTE_0
	;; [unrolled: 1-line block ×3, first 2 shown]
	global_load_dword v40, v[37:38], off
	v_lshlrev_b32_e32 v37, 2, v41
	v_cvt_f32_i32_sdwa v53, sext(v25) dst_sel:DWORD dst_unused:UNUSED_PAD src0_sel:BYTE_1
	v_cvt_f32_i32_sdwa v56, sext(v26) dst_sel:DWORD dst_unused:UNUSED_PAD src0_sel:BYTE_1
	;; [unrolled: 1-line block ×4, first 2 shown]
	v_ashrrev_i32_e32 v38, 31, v37
	v_add_co_u32 v37, vcc_lo, s6, v37
	v_cvt_f32_i32_sdwa v54, sext(v25) dst_sel:DWORD dst_unused:UNUSED_PAD src0_sel:BYTE_2
	v_cvt_f32_i32_sdwa v57, sext(v26) dst_sel:DWORD dst_unused:UNUSED_PAD src0_sel:BYTE_2
	v_add_co_ci_u32_e64 v38, null, s7, v38, vcc_lo
	v_cvt_f32_i32_sdwa v60, sext(v27) dst_sel:DWORD dst_unused:UNUSED_PAD src0_sel:BYTE_2
	v_cvt_f32_i32_sdwa v63, sext(v28) dst_sel:DWORD dst_unused:UNUSED_PAD src0_sel:BYTE_2
	v_cvt_f32_i32_sdwa v25, sext(v25) dst_sel:DWORD dst_unused:UNUSED_PAD src0_sel:BYTE_3
	global_load_dword v41, v[37:38], off
	v_ashrrev_i32_e32 v38, 31, v7
	v_add_co_u32 v37, vcc_lo, s6, v7
	v_cvt_f32_i32_sdwa v26, sext(v26) dst_sel:DWORD dst_unused:UNUSED_PAD src0_sel:BYTE_3
	v_cvt_f32_i32_sdwa v27, sext(v27) dst_sel:DWORD dst_unused:UNUSED_PAD src0_sel:BYTE_3
	v_add_co_ci_u32_e64 v38, null, s7, v38, vcc_lo
	v_cvt_f32_i32_sdwa v28, sext(v28) dst_sel:DWORD dst_unused:UNUSED_PAD src0_sel:BYTE_3
	s_waitcnt vmcnt(4)
	v_cvt_f32_i32_sdwa v64, sext(v29) dst_sel:DWORD dst_unused:UNUSED_PAD src0_sel:BYTE_0
	v_cvt_f32_i32_sdwa v67, sext(v30) dst_sel:DWORD dst_unused:UNUSED_PAD src0_sel:BYTE_0
	global_load_dword v7, v[37:38], off
	v_cvt_f32_i32_sdwa v37, sext(v17) dst_sel:DWORD dst_unused:UNUSED_PAD src0_sel:BYTE_0
	v_cvt_f32_i32_sdwa v38, sext(v17) dst_sel:DWORD dst_unused:UNUSED_PAD src0_sel:BYTE_1
	v_cvt_f32_i32_sdwa v17, sext(v17) dst_sel:DWORD dst_unused:UNUSED_PAD src0_sel:BYTE_3
	v_cvt_f32_i32_sdwa v70, sext(v31) dst_sel:DWORD dst_unused:UNUSED_PAD src0_sel:BYTE_0
	v_cvt_f32_i32_sdwa v73, sext(v32) dst_sel:DWORD dst_unused:UNUSED_PAD src0_sel:BYTE_0
	v_cvt_f32_i32_sdwa v65, sext(v29) dst_sel:DWORD dst_unused:UNUSED_PAD src0_sel:BYTE_1
	v_cvt_f32_i32_sdwa v68, sext(v30) dst_sel:DWORD dst_unused:UNUSED_PAD src0_sel:BYTE_1
	;; [unrolled: 1-line block ×4, first 2 shown]
	v_cvt_f32_i32_sdwa v66, sext(v29) dst_sel:DWORD dst_unused:UNUSED_PAD src0_sel:BYTE_2
	v_cvt_f32_i32_sdwa v69, sext(v30) dst_sel:DWORD dst_unused:UNUSED_PAD src0_sel:BYTE_2
	;; [unrolled: 1-line block ×4, first 2 shown]
	v_cvt_f32_i32_sdwa v29, sext(v29) dst_sel:DWORD dst_unused:UNUSED_PAD src0_sel:BYTE_3
	v_cvt_f32_i32_sdwa v30, sext(v30) dst_sel:DWORD dst_unused:UNUSED_PAD src0_sel:BYTE_3
	;; [unrolled: 1-line block ×4, first 2 shown]
	s_waitcnt vmcnt(4)
	v_cvt_f32_i32_sdwa v76, sext(v33) dst_sel:DWORD dst_unused:UNUSED_PAD src0_sel:BYTE_0
	v_cvt_f32_i32_sdwa v79, sext(v34) dst_sel:DWORD dst_unused:UNUSED_PAD src0_sel:BYTE_0
	;; [unrolled: 1-line block ×4, first 2 shown]
	v_cvt_f32_i32_sdwa v77, sext(v33) dst_sel:DWORD dst_unused:UNUSED_PAD src0_sel:BYTE_1
	v_cvt_f32_i32_sdwa v80, sext(v34) dst_sel:DWORD dst_unused:UNUSED_PAD src0_sel:BYTE_1
	;; [unrolled: 1-line block ×4, first 2 shown]
	v_add_co_u32 v13, vcc_lo, 0x400, v13
	v_add_co_ci_u32_e64 v14, null, 0, v14, vcc_lo
	v_add_co_u32 v11, vcc_lo, v11, 64
	v_cvt_f32_i32_sdwa v78, sext(v33) dst_sel:DWORD dst_unused:UNUSED_PAD src0_sel:BYTE_2
	v_cvt_f32_i32_sdwa v81, sext(v34) dst_sel:DWORD dst_unused:UNUSED_PAD src0_sel:BYTE_2
	;; [unrolled: 1-line block ×4, first 2 shown]
	v_add_co_ci_u32_e64 v12, null, 0, v12, vcc_lo
	v_add_co_u32 v15, vcc_lo, 0x100, v15
	v_cvt_f32_i32_sdwa v33, sext(v33) dst_sel:DWORD dst_unused:UNUSED_PAD src0_sel:BYTE_3
	v_cvt_f32_i32_sdwa v34, sext(v34) dst_sel:DWORD dst_unused:UNUSED_PAD src0_sel:BYTE_3
	;; [unrolled: 1-line block ×4, first 2 shown]
	v_add_co_ci_u32_e64 v16, null, 0, v16, vcc_lo
	v_cmp_ge_i64_e32 vcc_lo, v[11:12], v[2:3]
	s_or_b32 s8, vcc_lo, s8
	s_waitcnt vmcnt(3)
	v_cvt_f32_i32_sdwa v88, sext(v39) dst_sel:DWORD dst_unused:UNUSED_PAD src0_sel:BYTE_0
	v_cvt_f32_i32_sdwa v89, sext(v39) dst_sel:DWORD dst_unused:UNUSED_PAD src0_sel:BYTE_1
	v_fmac_f32_e32 v8, v37, v88
	v_fmac_f32_e32 v24, v43, v88
	v_fmac_f32_e32 v23, v46, v88
	v_fmac_f32_e32 v22, v49, v88
	v_cvt_f32_i32_sdwa v37, sext(v39) dst_sel:DWORD dst_unused:UNUSED_PAD src0_sel:BYTE_2
	v_fmac_f32_e32 v8, v38, v89
	v_fmac_f32_e32 v24, v44, v89
	v_fmac_f32_e32 v23, v47, v89
	v_fmac_f32_e32 v22, v50, v89
	v_cvt_f32_i32_sdwa v38, sext(v39) dst_sel:DWORD dst_unused:UNUSED_PAD src0_sel:BYTE_3
	v_fmac_f32_e32 v8, v42, v37
	v_fmac_f32_e32 v24, v45, v37
	v_fmac_f32_e32 v23, v48, v37
	v_fmac_f32_e32 v22, v51, v37
	s_waitcnt vmcnt(2)
	v_cvt_f32_i32_sdwa v37, sext(v40) dst_sel:DWORD dst_unused:UNUSED_PAD src0_sel:BYTE_0
	v_fmac_f32_e32 v8, v17, v38
	v_fmac_f32_e32 v24, v18, v38
	v_fmac_f32_e32 v23, v19, v38
	v_fmac_f32_e32 v22, v20, v38
	v_cvt_f32_i32_sdwa v17, sext(v40) dst_sel:DWORD dst_unused:UNUSED_PAD src0_sel:BYTE_1
	v_fmac_f32_e32 v8, v52, v37
	v_fmac_f32_e32 v24, v55, v37
	v_fmac_f32_e32 v23, v58, v37
	v_fmac_f32_e32 v22, v61, v37
	v_cvt_f32_i32_sdwa v18, sext(v40) dst_sel:DWORD dst_unused:UNUSED_PAD src0_sel:BYTE_2
	v_fmac_f32_e32 v8, v53, v17
	v_fmac_f32_e32 v24, v56, v17
	v_fmac_f32_e32 v23, v59, v17
	v_fmac_f32_e32 v22, v62, v17
	v_cvt_f32_i32_sdwa v17, sext(v40) dst_sel:DWORD dst_unused:UNUSED_PAD src0_sel:BYTE_3
	v_fmac_f32_e32 v8, v54, v18
	v_fmac_f32_e32 v24, v57, v18
	v_fmac_f32_e32 v23, v60, v18
	v_fmac_f32_e32 v22, v63, v18
	s_waitcnt vmcnt(1)
	v_cvt_f32_i32_sdwa v18, sext(v41) dst_sel:DWORD dst_unused:UNUSED_PAD src0_sel:BYTE_0
	v_fmac_f32_e32 v8, v25, v17
	v_fmac_f32_e32 v24, v26, v17
	v_fmac_f32_e32 v23, v27, v17
	v_fmac_f32_e32 v22, v28, v17
	;; [unrolled: 21-line block ×3, first 2 shown]
	v_cvt_f32_i32_sdwa v17, sext(v7) dst_sel:DWORD dst_unused:UNUSED_PAD src0_sel:BYTE_1
	v_fmac_f32_e32 v8, v76, v18
	v_fmac_f32_e32 v24, v79, v18
	;; [unrolled: 1-line block ×4, first 2 shown]
	v_cvt_f32_i32_sdwa v18, sext(v7) dst_sel:DWORD dst_unused:UNUSED_PAD src0_sel:BYTE_2
	v_fmac_f32_e32 v8, v77, v17
	v_fmac_f32_e32 v24, v80, v17
	;; [unrolled: 1-line block ×4, first 2 shown]
	v_cvt_f32_i32_sdwa v7, sext(v7) dst_sel:DWORD dst_unused:UNUSED_PAD src0_sel:BYTE_3
	v_fmac_f32_e32 v8, v78, v18
	v_fmac_f32_e32 v24, v81, v18
	;; [unrolled: 1-line block ×8, first 2 shown]
	s_andn2_b32 exec_lo, exec_lo, s8
	s_cbranch_execnz .LBB82_21
; %bb.22:
	s_or_b32 exec_lo, exec_lo, s8
.LBB82_23:
	s_or_b32 exec_lo, exec_lo, s3
.LBB82_24:
	s_or_b32 exec_lo, exec_lo, s1
	s_cbranch_execz .LBB82_26
	s_branch .LBB82_37
.LBB82_25:
                                        ; implicit-def: $vgpr22
                                        ; implicit-def: $vgpr23
                                        ; implicit-def: $vgpr24
                                        ; implicit-def: $vgpr8
.LBB82_26:
	v_mov_b32_e32 v22, 0
	v_mov_b32_e32 v23, 0
	;; [unrolled: 1-line block ×4, first 2 shown]
	s_and_saveexec_b32 s1, s0
	s_cbranch_execz .LBB82_36
; %bb.27:
	v_or_b32_e32 v7, 16, v21
	v_sub_co_u32 v7, s0, v7, s18
	v_sub_co_ci_u32_e64 v8, null, 0, 0, s0
	v_sub_co_u32 v11, s0, s18, v21
	v_add_co_u32 v7, vcc_lo, v7, v9
	v_add_co_ci_u32_e64 v8, null, v8, v10, vcc_lo
	v_not_b32_e32 v9, v9
	v_not_b32_e32 v10, v10
	v_sub_co_ci_u32_e64 v12, null, 0, 0, s0
	v_cmp_gt_i64_e32 vcc_lo, v[7:8], v[2:3]
	s_mov_b32 s0, exec_lo
	v_cndmask_b32_e32 v13, v3, v8, vcc_lo
	v_cndmask_b32_e32 v7, v2, v7, vcc_lo
	v_add_co_u32 v8, vcc_lo, v11, v9
	v_add_co_ci_u32_e64 v10, null, v12, v10, vcc_lo
	v_add_co_u32 v9, vcc_lo, v8, v7
	v_mov_b32_e32 v8, 0
	v_add_co_ci_u32_e64 v10, null, v10, v13, vcc_lo
	v_and_b32_e32 v7, 48, v9
	v_mov_b32_e32 v24, v8
	v_mov_b32_e32 v23, v8
	;; [unrolled: 1-line block ×3, first 2 shown]
	v_cmpx_ne_u64_e32 48, v[7:8]
	s_cbranch_execz .LBB82_31
; %bb.28:
	v_lshrrev_b32_e32 v7, 4, v9
	v_mov_b32_e32 v22, 0
	v_mov_b32_e32 v23, 0
	;; [unrolled: 1-line block ×3, first 2 shown]
	v_add_nc_u32_e32 v11, 1, v7
	v_lshlrev_b64 v[7:8], 2, v[0:1]
	v_and_b32_e32 v13, 3, v11
	v_add_co_u32 v11, vcc_lo, s12, v7
	v_add_co_ci_u32_e64 v12, null, s13, v8, vcc_lo
	v_sub_co_u32 v13, s3, 0, v13
	v_sub_co_ci_u32_e64 v14, null, 0, 0, s3
	v_mov_b32_e32 v8, 0
	s_mov_b32 s3, 0
.LBB82_29:                              ; =>This Inner Loop Header: Depth=1
	global_load_dword v7, v[11:12], off
	s_waitcnt vmcnt(0)
	v_subrev_nc_u32_e32 v7, s18, v7
	v_lshlrev_b32_e32 v7, 2, v7
	v_ashrrev_i32_e32 v15, 31, v7
	v_add_co_u32 v19, vcc_lo, s6, v7
	v_add_co_ci_u32_e64 v20, null, s7, v15, vcc_lo
	global_load_dwordx4 v[15:18], v[5:6], off
	global_load_dword v7, v[19:20], off
	v_add_co_u32 v5, vcc_lo, 0x100, v5
	v_add_co_ci_u32_e64 v6, null, 0, v6, vcc_lo
	v_add_co_u32 v0, vcc_lo, v0, 16
	v_add_co_ci_u32_e64 v1, null, 0, v1, vcc_lo
	;; [unrolled: 2-line block ×4, first 2 shown]
	v_cmp_eq_u64_e32 vcc_lo, 0, v[13:14]
	s_or_b32 s3, vcc_lo, s3
	s_waitcnt vmcnt(1)
	v_cvt_f32_i32_sdwa v19, sext(v15) dst_sel:DWORD dst_unused:UNUSED_PAD src0_sel:BYTE_0
	v_cvt_f32_i32_sdwa v20, sext(v15) dst_sel:DWORD dst_unused:UNUSED_PAD src0_sel:BYTE_1
	v_cvt_f32_i32_sdwa v25, sext(v15) dst_sel:DWORD dst_unused:UNUSED_PAD src0_sel:BYTE_2
	v_cvt_f32_i32_sdwa v15, sext(v15) dst_sel:DWORD dst_unused:UNUSED_PAD src0_sel:BYTE_3
	s_waitcnt vmcnt(0)
	v_cvt_f32_i32_sdwa v35, sext(v7) dst_sel:DWORD dst_unused:UNUSED_PAD src0_sel:BYTE_0
	v_cvt_f32_i32_sdwa v26, sext(v16) dst_sel:DWORD dst_unused:UNUSED_PAD src0_sel:BYTE_0
	v_cvt_f32_i32_sdwa v27, sext(v16) dst_sel:DWORD dst_unused:UNUSED_PAD src0_sel:BYTE_1
	v_cvt_f32_i32_sdwa v28, sext(v16) dst_sel:DWORD dst_unused:UNUSED_PAD src0_sel:BYTE_2
	v_cvt_f32_i32_sdwa v16, sext(v16) dst_sel:DWORD dst_unused:UNUSED_PAD src0_sel:BYTE_3
	v_cvt_f32_i32_sdwa v36, sext(v7) dst_sel:DWORD dst_unused:UNUSED_PAD src0_sel:BYTE_1
	v_fmac_f32_e32 v8, v19, v35
	v_fmac_f32_e32 v24, v20, v35
	;; [unrolled: 1-line block ×4, first 2 shown]
	v_cvt_f32_i32_sdwa v29, sext(v17) dst_sel:DWORD dst_unused:UNUSED_PAD src0_sel:BYTE_0
	v_cvt_f32_i32_sdwa v30, sext(v17) dst_sel:DWORD dst_unused:UNUSED_PAD src0_sel:BYTE_1
	v_cvt_f32_i32_sdwa v31, sext(v17) dst_sel:DWORD dst_unused:UNUSED_PAD src0_sel:BYTE_2
	v_cvt_f32_i32_sdwa v17, sext(v17) dst_sel:DWORD dst_unused:UNUSED_PAD src0_sel:BYTE_3
	v_cvt_f32_i32_sdwa v15, sext(v7) dst_sel:DWORD dst_unused:UNUSED_PAD src0_sel:BYTE_2
	v_fmac_f32_e32 v8, v26, v36
	v_fmac_f32_e32 v24, v27, v36
	;; [unrolled: 1-line block ×4, first 2 shown]
	v_cvt_f32_i32_sdwa v32, sext(v18) dst_sel:DWORD dst_unused:UNUSED_PAD src0_sel:BYTE_0
	v_cvt_f32_i32_sdwa v33, sext(v18) dst_sel:DWORD dst_unused:UNUSED_PAD src0_sel:BYTE_1
	v_cvt_f32_i32_sdwa v34, sext(v18) dst_sel:DWORD dst_unused:UNUSED_PAD src0_sel:BYTE_2
	v_cvt_f32_i32_sdwa v18, sext(v18) dst_sel:DWORD dst_unused:UNUSED_PAD src0_sel:BYTE_3
	v_cvt_f32_i32_sdwa v7, sext(v7) dst_sel:DWORD dst_unused:UNUSED_PAD src0_sel:BYTE_3
	v_fmac_f32_e32 v8, v29, v15
	v_fmac_f32_e32 v24, v30, v15
	;; [unrolled: 1-line block ×8, first 2 shown]
	s_andn2_b32 exec_lo, exec_lo, s3
	s_cbranch_execnz .LBB82_29
; %bb.30:
	s_or_b32 exec_lo, exec_lo, s3
.LBB82_31:
	s_or_b32 exec_lo, exec_lo, s0
	s_mov_b32 s0, exec_lo
	v_cmpx_lt_u64_e32 47, v[9:10]
	s_cbranch_execz .LBB82_35
; %bb.32:
	v_lshlrev_b64 v[9:10], 2, v[0:1]
	s_mov_b32 s3, 0
	v_add_co_u32 v7, vcc_lo, s12, v9
	v_add_co_ci_u32_e64 v10, null, s13, v10, vcc_lo
	v_add_co_u32 v9, vcc_lo, 0x80, v7
	v_add_co_ci_u32_e64 v10, null, 0, v10, vcc_lo
.LBB82_33:                              ; =>This Inner Loop Header: Depth=1
	s_clause 0x3
	global_load_dword v7, v[9:10], off offset:-128
	global_load_dword v19, v[9:10], off offset:-64
	global_load_dword v20, v[9:10], off
	global_load_dword v33, v[9:10], off offset:64
	s_clause 0x3
	global_load_dwordx4 v[11:14], v[5:6], off
	global_load_dwordx4 v[15:18], v[5:6], off offset:256
	global_load_dwordx4 v[25:28], v[5:6], off offset:512
	;; [unrolled: 1-line block ×3, first 2 shown]
	s_waitcnt vmcnt(7)
	v_subrev_nc_u32_e32 v7, s18, v7
	s_waitcnt vmcnt(6)
	v_subrev_nc_u32_e32 v34, s18, v19
	;; [unrolled: 2-line block ×3, first 2 shown]
	s_waitcnt vmcnt(3)
	v_cvt_f32_i32_sdwa v36, sext(v11) dst_sel:DWORD dst_unused:UNUSED_PAD src0_sel:BYTE_2
	v_lshlrev_b32_e32 v7, 2, v7
	v_cvt_f32_i32_sdwa v37, sext(v12) dst_sel:DWORD dst_unused:UNUSED_PAD src0_sel:BYTE_0
	v_cvt_f32_i32_sdwa v38, sext(v12) dst_sel:DWORD dst_unused:UNUSED_PAD src0_sel:BYTE_1
	v_cvt_f32_i32_sdwa v39, sext(v12) dst_sel:DWORD dst_unused:UNUSED_PAD src0_sel:BYTE_2
	v_cvt_f32_i32_sdwa v12, sext(v12) dst_sel:DWORD dst_unused:UNUSED_PAD src0_sel:BYTE_3
	v_ashrrev_i32_e32 v20, 31, v7
	v_add_co_u32 v19, vcc_lo, s6, v7
	v_subrev_nc_u32_e32 v7, s18, v33
	v_cvt_f32_i32_sdwa v40, sext(v13) dst_sel:DWORD dst_unused:UNUSED_PAD src0_sel:BYTE_0
	v_add_co_ci_u32_e64 v20, null, s7, v20, vcc_lo
	v_cvt_f32_i32_sdwa v41, sext(v13) dst_sel:DWORD dst_unused:UNUSED_PAD src0_sel:BYTE_1
	v_lshlrev_b32_e32 v7, 2, v7
	v_cvt_f32_i32_sdwa v42, sext(v13) dst_sel:DWORD dst_unused:UNUSED_PAD src0_sel:BYTE_2
	global_load_dword v33, v[19:20], off
	v_lshlrev_b32_e32 v19, 2, v34
	v_cvt_f32_i32_sdwa v13, sext(v13) dst_sel:DWORD dst_unused:UNUSED_PAD src0_sel:BYTE_3
	v_cvt_f32_i32_sdwa v43, sext(v14) dst_sel:DWORD dst_unused:UNUSED_PAD src0_sel:BYTE_0
	v_cvt_f32_i32_sdwa v44, sext(v14) dst_sel:DWORD dst_unused:UNUSED_PAD src0_sel:BYTE_1
	v_cvt_f32_i32_sdwa v45, sext(v14) dst_sel:DWORD dst_unused:UNUSED_PAD src0_sel:BYTE_2
	v_ashrrev_i32_e32 v20, 31, v19
	v_add_co_u32 v19, vcc_lo, s6, v19
	v_cvt_f32_i32_sdwa v14, sext(v14) dst_sel:DWORD dst_unused:UNUSED_PAD src0_sel:BYTE_3
	s_waitcnt vmcnt(3)
	v_cvt_f32_i32_sdwa v46, sext(v15) dst_sel:DWORD dst_unused:UNUSED_PAD src0_sel:BYTE_0
	v_add_co_ci_u32_e64 v20, null, s7, v20, vcc_lo
	v_cvt_f32_i32_sdwa v47, sext(v15) dst_sel:DWORD dst_unused:UNUSED_PAD src0_sel:BYTE_1
	v_cvt_f32_i32_sdwa v48, sext(v15) dst_sel:DWORD dst_unused:UNUSED_PAD src0_sel:BYTE_2
	v_cvt_f32_i32_sdwa v15, sext(v15) dst_sel:DWORD dst_unused:UNUSED_PAD src0_sel:BYTE_3
	global_load_dword v34, v[19:20], off
	v_lshlrev_b32_e32 v19, 2, v35
	v_cvt_f32_i32_sdwa v49, sext(v16) dst_sel:DWORD dst_unused:UNUSED_PAD src0_sel:BYTE_0
	v_cvt_f32_i32_sdwa v50, sext(v16) dst_sel:DWORD dst_unused:UNUSED_PAD src0_sel:BYTE_1
	v_cvt_f32_i32_sdwa v51, sext(v16) dst_sel:DWORD dst_unused:UNUSED_PAD src0_sel:BYTE_2
	v_cvt_f32_i32_sdwa v16, sext(v16) dst_sel:DWORD dst_unused:UNUSED_PAD src0_sel:BYTE_3
	v_ashrrev_i32_e32 v20, 31, v19
	v_add_co_u32 v19, vcc_lo, s6, v19
	v_cvt_f32_i32_sdwa v52, sext(v17) dst_sel:DWORD dst_unused:UNUSED_PAD src0_sel:BYTE_0
	v_cvt_f32_i32_sdwa v53, sext(v17) dst_sel:DWORD dst_unused:UNUSED_PAD src0_sel:BYTE_1
	v_add_co_ci_u32_e64 v20, null, s7, v20, vcc_lo
	v_cvt_f32_i32_sdwa v54, sext(v17) dst_sel:DWORD dst_unused:UNUSED_PAD src0_sel:BYTE_2
	v_cvt_f32_i32_sdwa v17, sext(v17) dst_sel:DWORD dst_unused:UNUSED_PAD src0_sel:BYTE_3
	v_cvt_f32_i32_sdwa v55, sext(v18) dst_sel:DWORD dst_unused:UNUSED_PAD src0_sel:BYTE_0
	global_load_dword v35, v[19:20], off
	v_ashrrev_i32_e32 v20, 31, v7
	v_add_co_u32 v19, vcc_lo, s6, v7
	v_cvt_f32_i32_sdwa v56, sext(v18) dst_sel:DWORD dst_unused:UNUSED_PAD src0_sel:BYTE_1
	v_cvt_f32_i32_sdwa v57, sext(v18) dst_sel:DWORD dst_unused:UNUSED_PAD src0_sel:BYTE_2
	v_add_co_ci_u32_e64 v20, null, s7, v20, vcc_lo
	v_cvt_f32_i32_sdwa v18, sext(v18) dst_sel:DWORD dst_unused:UNUSED_PAD src0_sel:BYTE_3
	s_waitcnt vmcnt(4)
	v_cvt_f32_i32_sdwa v58, sext(v25) dst_sel:DWORD dst_unused:UNUSED_PAD src0_sel:BYTE_0
	v_cvt_f32_i32_sdwa v59, sext(v25) dst_sel:DWORD dst_unused:UNUSED_PAD src0_sel:BYTE_1
	global_load_dword v7, v[19:20], off
	v_cvt_f32_i32_sdwa v19, sext(v11) dst_sel:DWORD dst_unused:UNUSED_PAD src0_sel:BYTE_0
	v_cvt_f32_i32_sdwa v20, sext(v11) dst_sel:DWORD dst_unused:UNUSED_PAD src0_sel:BYTE_1
	v_cvt_f32_i32_sdwa v11, sext(v11) dst_sel:DWORD dst_unused:UNUSED_PAD src0_sel:BYTE_3
	v_cvt_f32_i32_sdwa v60, sext(v25) dst_sel:DWORD dst_unused:UNUSED_PAD src0_sel:BYTE_2
	v_cvt_f32_i32_sdwa v25, sext(v25) dst_sel:DWORD dst_unused:UNUSED_PAD src0_sel:BYTE_3
	v_cvt_f32_i32_sdwa v61, sext(v26) dst_sel:DWORD dst_unused:UNUSED_PAD src0_sel:BYTE_0
	v_cvt_f32_i32_sdwa v62, sext(v26) dst_sel:DWORD dst_unused:UNUSED_PAD src0_sel:BYTE_1
	v_cvt_f32_i32_sdwa v63, sext(v26) dst_sel:DWORD dst_unused:UNUSED_PAD src0_sel:BYTE_2
	v_cvt_f32_i32_sdwa v26, sext(v26) dst_sel:DWORD dst_unused:UNUSED_PAD src0_sel:BYTE_3
	v_cvt_f32_i32_sdwa v64, sext(v27) dst_sel:DWORD dst_unused:UNUSED_PAD src0_sel:BYTE_0
	v_cvt_f32_i32_sdwa v65, sext(v27) dst_sel:DWORD dst_unused:UNUSED_PAD src0_sel:BYTE_1
	;; [unrolled: 4-line block ×3, first 2 shown]
	v_cvt_f32_i32_sdwa v69, sext(v28) dst_sel:DWORD dst_unused:UNUSED_PAD src0_sel:BYTE_2
	v_cvt_f32_i32_sdwa v28, sext(v28) dst_sel:DWORD dst_unused:UNUSED_PAD src0_sel:BYTE_3
	s_waitcnt vmcnt(4)
	v_cvt_f32_i32_sdwa v70, sext(v29) dst_sel:DWORD dst_unused:UNUSED_PAD src0_sel:BYTE_0
	v_cvt_f32_i32_sdwa v71, sext(v29) dst_sel:DWORD dst_unused:UNUSED_PAD src0_sel:BYTE_1
	v_cvt_f32_i32_sdwa v72, sext(v29) dst_sel:DWORD dst_unused:UNUSED_PAD src0_sel:BYTE_2
	v_cvt_f32_i32_sdwa v29, sext(v29) dst_sel:DWORD dst_unused:UNUSED_PAD src0_sel:BYTE_3
	v_cvt_f32_i32_sdwa v73, sext(v30) dst_sel:DWORD dst_unused:UNUSED_PAD src0_sel:BYTE_0
	v_cvt_f32_i32_sdwa v74, sext(v30) dst_sel:DWORD dst_unused:UNUSED_PAD src0_sel:BYTE_1
	v_cvt_f32_i32_sdwa v75, sext(v30) dst_sel:DWORD dst_unused:UNUSED_PAD src0_sel:BYTE_2
	v_cvt_f32_i32_sdwa v30, sext(v30) dst_sel:DWORD dst_unused:UNUSED_PAD src0_sel:BYTE_3
	v_add_co_u32 v5, vcc_lo, 0x400, v5
	v_add_co_ci_u32_e64 v6, null, 0, v6, vcc_lo
	v_add_co_u32 v0, vcc_lo, v0, 64
	v_cvt_f32_i32_sdwa v76, sext(v31) dst_sel:DWORD dst_unused:UNUSED_PAD src0_sel:BYTE_0
	v_cvt_f32_i32_sdwa v77, sext(v31) dst_sel:DWORD dst_unused:UNUSED_PAD src0_sel:BYTE_1
	v_cvt_f32_i32_sdwa v78, sext(v31) dst_sel:DWORD dst_unused:UNUSED_PAD src0_sel:BYTE_2
	v_cvt_f32_i32_sdwa v31, sext(v31) dst_sel:DWORD dst_unused:UNUSED_PAD src0_sel:BYTE_3
	v_add_co_ci_u32_e64 v1, null, 0, v1, vcc_lo
	v_add_co_u32 v9, vcc_lo, 0x100, v9
	v_cvt_f32_i32_sdwa v79, sext(v32) dst_sel:DWORD dst_unused:UNUSED_PAD src0_sel:BYTE_0
	v_cvt_f32_i32_sdwa v80, sext(v32) dst_sel:DWORD dst_unused:UNUSED_PAD src0_sel:BYTE_1
	v_cvt_f32_i32_sdwa v81, sext(v32) dst_sel:DWORD dst_unused:UNUSED_PAD src0_sel:BYTE_2
	v_cvt_f32_i32_sdwa v32, sext(v32) dst_sel:DWORD dst_unused:UNUSED_PAD src0_sel:BYTE_3
	v_add_co_ci_u32_e64 v10, null, 0, v10, vcc_lo
	v_cmp_ge_i64_e32 vcc_lo, v[0:1], v[2:3]
	s_or_b32 s3, vcc_lo, s3
	s_waitcnt vmcnt(3)
	v_cvt_f32_i32_sdwa v82, sext(v33) dst_sel:DWORD dst_unused:UNUSED_PAD src0_sel:BYTE_0
	v_cvt_f32_i32_sdwa v83, sext(v33) dst_sel:DWORD dst_unused:UNUSED_PAD src0_sel:BYTE_1
	v_fmac_f32_e32 v8, v19, v82
	v_fmac_f32_e32 v24, v20, v82
	v_fmac_f32_e32 v23, v36, v82
	v_fmac_f32_e32 v22, v11, v82
	v_cvt_f32_i32_sdwa v11, sext(v33) dst_sel:DWORD dst_unused:UNUSED_PAD src0_sel:BYTE_2
	v_fmac_f32_e32 v8, v37, v83
	v_fmac_f32_e32 v24, v38, v83
	v_fmac_f32_e32 v23, v39, v83
	v_fmac_f32_e32 v22, v12, v83
	v_cvt_f32_i32_sdwa v12, sext(v33) dst_sel:DWORD dst_unused:UNUSED_PAD src0_sel:BYTE_3
	v_fmac_f32_e32 v8, v40, v11
	v_fmac_f32_e32 v24, v41, v11
	v_fmac_f32_e32 v23, v42, v11
	v_fmac_f32_e32 v22, v13, v11
	s_waitcnt vmcnt(2)
	v_cvt_f32_i32_sdwa v11, sext(v34) dst_sel:DWORD dst_unused:UNUSED_PAD src0_sel:BYTE_0
	v_fmac_f32_e32 v8, v43, v12
	v_fmac_f32_e32 v24, v44, v12
	v_fmac_f32_e32 v23, v45, v12
	v_fmac_f32_e32 v22, v14, v12
	v_cvt_f32_i32_sdwa v12, sext(v34) dst_sel:DWORD dst_unused:UNUSED_PAD src0_sel:BYTE_1
	v_fmac_f32_e32 v8, v46, v11
	v_fmac_f32_e32 v24, v47, v11
	v_fmac_f32_e32 v23, v48, v11
	v_fmac_f32_e32 v22, v15, v11
	v_cvt_f32_i32_sdwa v11, sext(v34) dst_sel:DWORD dst_unused:UNUSED_PAD src0_sel:BYTE_2
	v_fmac_f32_e32 v8, v49, v12
	v_fmac_f32_e32 v24, v50, v12
	v_fmac_f32_e32 v23, v51, v12
	v_fmac_f32_e32 v22, v16, v12
	v_cvt_f32_i32_sdwa v12, sext(v34) dst_sel:DWORD dst_unused:UNUSED_PAD src0_sel:BYTE_3
	v_fmac_f32_e32 v8, v52, v11
	v_fmac_f32_e32 v24, v53, v11
	v_fmac_f32_e32 v23, v54, v11
	v_fmac_f32_e32 v22, v17, v11
	s_waitcnt vmcnt(1)
	v_cvt_f32_i32_sdwa v11, sext(v35) dst_sel:DWORD dst_unused:UNUSED_PAD src0_sel:BYTE_0
	v_fmac_f32_e32 v8, v55, v12
	v_fmac_f32_e32 v24, v56, v12
	v_fmac_f32_e32 v23, v57, v12
	v_fmac_f32_e32 v22, v18, v12
	v_cvt_f32_i32_sdwa v12, sext(v35) dst_sel:DWORD dst_unused:UNUSED_PAD src0_sel:BYTE_1
	v_fmac_f32_e32 v8, v58, v11
	v_fmac_f32_e32 v24, v59, v11
	v_fmac_f32_e32 v23, v60, v11
	v_fmac_f32_e32 v22, v25, v11
	v_cvt_f32_i32_sdwa v11, sext(v35) dst_sel:DWORD dst_unused:UNUSED_PAD src0_sel:BYTE_2
	v_fmac_f32_e32 v8, v61, v12
	v_fmac_f32_e32 v24, v62, v12
	v_fmac_f32_e32 v23, v63, v12
	v_fmac_f32_e32 v22, v26, v12
	v_cvt_f32_i32_sdwa v12, sext(v35) dst_sel:DWORD dst_unused:UNUSED_PAD src0_sel:BYTE_3
	v_fmac_f32_e32 v8, v64, v11
	v_fmac_f32_e32 v24, v65, v11
	v_fmac_f32_e32 v23, v66, v11
	v_fmac_f32_e32 v22, v27, v11
	s_waitcnt vmcnt(0)
	v_cvt_f32_i32_sdwa v11, sext(v7) dst_sel:DWORD dst_unused:UNUSED_PAD src0_sel:BYTE_0
	v_fmac_f32_e32 v8, v67, v12
	v_fmac_f32_e32 v24, v68, v12
	v_fmac_f32_e32 v23, v69, v12
	v_fmac_f32_e32 v22, v28, v12
	v_cvt_f32_i32_sdwa v12, sext(v7) dst_sel:DWORD dst_unused:UNUSED_PAD src0_sel:BYTE_1
	v_fmac_f32_e32 v8, v70, v11
	v_fmac_f32_e32 v24, v71, v11
	;; [unrolled: 1-line block ×4, first 2 shown]
	v_cvt_f32_i32_sdwa v11, sext(v7) dst_sel:DWORD dst_unused:UNUSED_PAD src0_sel:BYTE_2
	v_fmac_f32_e32 v8, v73, v12
	v_fmac_f32_e32 v24, v74, v12
	;; [unrolled: 1-line block ×4, first 2 shown]
	v_cvt_f32_i32_sdwa v7, sext(v7) dst_sel:DWORD dst_unused:UNUSED_PAD src0_sel:BYTE_3
	v_fmac_f32_e32 v8, v76, v11
	v_fmac_f32_e32 v24, v77, v11
	;; [unrolled: 1-line block ×8, first 2 shown]
	s_andn2_b32 exec_lo, exec_lo, s3
	s_cbranch_execnz .LBB82_33
; %bb.34:
	s_or_b32 exec_lo, exec_lo, s3
.LBB82_35:
	s_or_b32 exec_lo, exec_lo, s0
.LBB82_36:
	s_or_b32 exec_lo, exec_lo, s1
.LBB82_37:
	v_mbcnt_lo_u32_b32 v0, -1, 0
	s_mov_b32 s3, -1
	v_xor_b32_e32 v1, 8, v0
	v_xor_b32_e32 v6, 4, v0
	;; [unrolled: 1-line block ×3, first 2 shown]
	v_cmp_gt_i32_e32 vcc_lo, 32, v1
	v_cndmask_b32_e32 v1, v0, v1, vcc_lo
	v_cmp_gt_i32_e32 vcc_lo, 32, v6
	v_lshlrev_b32_e32 v1, 2, v1
	v_cndmask_b32_e32 v6, v0, v6, vcc_lo
	v_cmp_gt_i32_e32 vcc_lo, 32, v10
	ds_bpermute_b32 v2, v1, v8
	ds_bpermute_b32 v3, v1, v24
	;; [unrolled: 1-line block ×4, first 2 shown]
	v_lshlrev_b32_e32 v6, 2, v6
	v_cndmask_b32_e32 v10, v0, v10, vcc_lo
	v_lshlrev_b32_e32 v10, 2, v10
	s_waitcnt lgkmcnt(3)
	v_add_f32_e32 v2, v8, v2
	s_waitcnt lgkmcnt(2)
	v_add_f32_e32 v3, v24, v3
	;; [unrolled: 2-line block ×4, first 2 shown]
	ds_bpermute_b32 v7, v6, v2
	ds_bpermute_b32 v8, v6, v3
	;; [unrolled: 1-line block ×4, first 2 shown]
	s_waitcnt lgkmcnt(3)
	v_add_f32_e32 v2, v2, v7
	s_waitcnt lgkmcnt(2)
	v_add_f32_e32 v3, v3, v8
	;; [unrolled: 2-line block ×4, first 2 shown]
	ds_bpermute_b32 v1, v10, v2
	ds_bpermute_b32 v7, v10, v3
	;; [unrolled: 1-line block ×4, first 2 shown]
	v_xor_b32_e32 v10, 1, v0
	v_cmp_gt_i32_e32 vcc_lo, 32, v10
	v_cndmask_b32_e32 v0, v0, v10, vcc_lo
	v_cmp_eq_u32_e32 vcc_lo, 15, v21
	v_lshlrev_b32_e32 v10, 2, v0
	s_waitcnt lgkmcnt(3)
	v_add_f32_e32 v0, v2, v1
	s_waitcnt lgkmcnt(2)
	v_add_f32_e32 v1, v3, v7
	;; [unrolled: 2-line block ×4, first 2 shown]
	ds_bpermute_b32 v5, v10, v0
	ds_bpermute_b32 v6, v10, v1
	;; [unrolled: 1-line block ×4, first 2 shown]
	s_and_b32 exec_lo, exec_lo, vcc_lo
	s_cbranch_execz .LBB82_10
; %bb.38:
	s_load_dwordx2 s[0:1], s[4:5], 0x50
	s_waitcnt lgkmcnt(0)
	v_add_f32_e32 v0, v0, v5
	v_add_f32_e32 v1, v1, v6
	v_add_f32_e32 v2, v2, v7
	v_add_f32_e32 v3, v3, v8
	v_cmp_eq_f32_e64 s4, s2, 0
	v_mul_f32_e32 v0, s16, v0
	v_mul_f32_e32 v1, s16, v1
	;; [unrolled: 1-line block ×4, first 2 shown]
	v_lshlrev_b32_e32 v4, 2, v4
	s_and_b32 vcc_lo, exec_lo, s4
	s_cbranch_vccz .LBB82_40
; %bb.39:
	v_ashrrev_i32_e32 v5, 31, v4
	s_mov_b32 s3, 0
	v_lshlrev_b64 v[5:6], 2, v[4:5]
	v_add_co_u32 v5, vcc_lo, s0, v5
	v_add_co_ci_u32_e64 v6, null, s1, v6, vcc_lo
	global_store_dwordx4 v[5:6], v[0:3], off
.LBB82_40:
	s_andn2_b32 vcc_lo, exec_lo, s3
	s_cbranch_vccnz .LBB82_10
; %bb.41:
	v_ashrrev_i32_e32 v5, 31, v4
	v_lshlrev_b64 v[4:5], 2, v[4:5]
	v_add_co_u32 v8, vcc_lo, s0, v4
	v_add_co_ci_u32_e64 v9, null, s1, v5, vcc_lo
	global_load_dwordx4 v[4:7], v[8:9], off
	s_waitcnt vmcnt(0)
	v_fmac_f32_e32 v0, s2, v4
	v_fmac_f32_e32 v1, s2, v5
	;; [unrolled: 1-line block ×4, first 2 shown]
	global_store_dwordx4 v[8:9], v[0:3], off
	s_endpgm
	.section	.rodata,"a",@progbits
	.p2align	6, 0x0
	.amdhsa_kernel _ZN9rocsparseL18bsrxmvn_4x4_kernelILj128ELj16EfliaafEEvT3_20rocsparse_direction_NS_24const_host_device_scalarIT1_EES1_PKS1_PKT2_SA_S7_PKT4_PKT5_S5_PT6_21rocsparse_index_base_b
		.amdhsa_group_segment_fixed_size 0
		.amdhsa_private_segment_fixed_size 0
		.amdhsa_kernarg_size 96
		.amdhsa_user_sgpr_count 6
		.amdhsa_user_sgpr_private_segment_buffer 1
		.amdhsa_user_sgpr_dispatch_ptr 0
		.amdhsa_user_sgpr_queue_ptr 0
		.amdhsa_user_sgpr_kernarg_segment_ptr 1
		.amdhsa_user_sgpr_dispatch_id 0
		.amdhsa_user_sgpr_flat_scratch_init 0
		.amdhsa_user_sgpr_private_segment_size 0
		.amdhsa_wavefront_size32 1
		.amdhsa_uses_dynamic_stack 0
		.amdhsa_system_sgpr_private_segment_wavefront_offset 0
		.amdhsa_system_sgpr_workgroup_id_x 1
		.amdhsa_system_sgpr_workgroup_id_y 0
		.amdhsa_system_sgpr_workgroup_id_z 0
		.amdhsa_system_sgpr_workgroup_info 0
		.amdhsa_system_vgpr_workitem_id 0
		.amdhsa_next_free_vgpr 90
		.amdhsa_next_free_sgpr 20
		.amdhsa_reserve_vcc 1
		.amdhsa_reserve_flat_scratch 0
		.amdhsa_float_round_mode_32 0
		.amdhsa_float_round_mode_16_64 0
		.amdhsa_float_denorm_mode_32 3
		.amdhsa_float_denorm_mode_16_64 3
		.amdhsa_dx10_clamp 1
		.amdhsa_ieee_mode 1
		.amdhsa_fp16_overflow 0
		.amdhsa_workgroup_processor_mode 1
		.amdhsa_memory_ordered 1
		.amdhsa_forward_progress 1
		.amdhsa_shared_vgpr_count 0
		.amdhsa_exception_fp_ieee_invalid_op 0
		.amdhsa_exception_fp_denorm_src 0
		.amdhsa_exception_fp_ieee_div_zero 0
		.amdhsa_exception_fp_ieee_overflow 0
		.amdhsa_exception_fp_ieee_underflow 0
		.amdhsa_exception_fp_ieee_inexact 0
		.amdhsa_exception_int_div_zero 0
	.end_amdhsa_kernel
	.section	.text._ZN9rocsparseL18bsrxmvn_4x4_kernelILj128ELj16EfliaafEEvT3_20rocsparse_direction_NS_24const_host_device_scalarIT1_EES1_PKS1_PKT2_SA_S7_PKT4_PKT5_S5_PT6_21rocsparse_index_base_b,"axG",@progbits,_ZN9rocsparseL18bsrxmvn_4x4_kernelILj128ELj16EfliaafEEvT3_20rocsparse_direction_NS_24const_host_device_scalarIT1_EES1_PKS1_PKT2_SA_S7_PKT4_PKT5_S5_PT6_21rocsparse_index_base_b,comdat
.Lfunc_end82:
	.size	_ZN9rocsparseL18bsrxmvn_4x4_kernelILj128ELj16EfliaafEEvT3_20rocsparse_direction_NS_24const_host_device_scalarIT1_EES1_PKS1_PKT2_SA_S7_PKT4_PKT5_S5_PT6_21rocsparse_index_base_b, .Lfunc_end82-_ZN9rocsparseL18bsrxmvn_4x4_kernelILj128ELj16EfliaafEEvT3_20rocsparse_direction_NS_24const_host_device_scalarIT1_EES1_PKS1_PKT2_SA_S7_PKT4_PKT5_S5_PT6_21rocsparse_index_base_b
                                        ; -- End function
	.set _ZN9rocsparseL18bsrxmvn_4x4_kernelILj128ELj16EfliaafEEvT3_20rocsparse_direction_NS_24const_host_device_scalarIT1_EES1_PKS1_PKT2_SA_S7_PKT4_PKT5_S5_PT6_21rocsparse_index_base_b.num_vgpr, 90
	.set _ZN9rocsparseL18bsrxmvn_4x4_kernelILj128ELj16EfliaafEEvT3_20rocsparse_direction_NS_24const_host_device_scalarIT1_EES1_PKS1_PKT2_SA_S7_PKT4_PKT5_S5_PT6_21rocsparse_index_base_b.num_agpr, 0
	.set _ZN9rocsparseL18bsrxmvn_4x4_kernelILj128ELj16EfliaafEEvT3_20rocsparse_direction_NS_24const_host_device_scalarIT1_EES1_PKS1_PKT2_SA_S7_PKT4_PKT5_S5_PT6_21rocsparse_index_base_b.numbered_sgpr, 20
	.set _ZN9rocsparseL18bsrxmvn_4x4_kernelILj128ELj16EfliaafEEvT3_20rocsparse_direction_NS_24const_host_device_scalarIT1_EES1_PKS1_PKT2_SA_S7_PKT4_PKT5_S5_PT6_21rocsparse_index_base_b.num_named_barrier, 0
	.set _ZN9rocsparseL18bsrxmvn_4x4_kernelILj128ELj16EfliaafEEvT3_20rocsparse_direction_NS_24const_host_device_scalarIT1_EES1_PKS1_PKT2_SA_S7_PKT4_PKT5_S5_PT6_21rocsparse_index_base_b.private_seg_size, 0
	.set _ZN9rocsparseL18bsrxmvn_4x4_kernelILj128ELj16EfliaafEEvT3_20rocsparse_direction_NS_24const_host_device_scalarIT1_EES1_PKS1_PKT2_SA_S7_PKT4_PKT5_S5_PT6_21rocsparse_index_base_b.uses_vcc, 1
	.set _ZN9rocsparseL18bsrxmvn_4x4_kernelILj128ELj16EfliaafEEvT3_20rocsparse_direction_NS_24const_host_device_scalarIT1_EES1_PKS1_PKT2_SA_S7_PKT4_PKT5_S5_PT6_21rocsparse_index_base_b.uses_flat_scratch, 0
	.set _ZN9rocsparseL18bsrxmvn_4x4_kernelILj128ELj16EfliaafEEvT3_20rocsparse_direction_NS_24const_host_device_scalarIT1_EES1_PKS1_PKT2_SA_S7_PKT4_PKT5_S5_PT6_21rocsparse_index_base_b.has_dyn_sized_stack, 0
	.set _ZN9rocsparseL18bsrxmvn_4x4_kernelILj128ELj16EfliaafEEvT3_20rocsparse_direction_NS_24const_host_device_scalarIT1_EES1_PKS1_PKT2_SA_S7_PKT4_PKT5_S5_PT6_21rocsparse_index_base_b.has_recursion, 0
	.set _ZN9rocsparseL18bsrxmvn_4x4_kernelILj128ELj16EfliaafEEvT3_20rocsparse_direction_NS_24const_host_device_scalarIT1_EES1_PKS1_PKT2_SA_S7_PKT4_PKT5_S5_PT6_21rocsparse_index_base_b.has_indirect_call, 0
	.section	.AMDGPU.csdata,"",@progbits
; Kernel info:
; codeLenInByte = 4864
; TotalNumSgprs: 22
; NumVgprs: 90
; ScratchSize: 0
; MemoryBound: 0
; FloatMode: 240
; IeeeMode: 1
; LDSByteSize: 0 bytes/workgroup (compile time only)
; SGPRBlocks: 0
; VGPRBlocks: 11
; NumSGPRsForWavesPerEU: 22
; NumVGPRsForWavesPerEU: 90
; Occupancy: 10
; WaveLimiterHint : 1
; COMPUTE_PGM_RSRC2:SCRATCH_EN: 0
; COMPUTE_PGM_RSRC2:USER_SGPR: 6
; COMPUTE_PGM_RSRC2:TRAP_HANDLER: 0
; COMPUTE_PGM_RSRC2:TGID_X_EN: 1
; COMPUTE_PGM_RSRC2:TGID_Y_EN: 0
; COMPUTE_PGM_RSRC2:TGID_Z_EN: 0
; COMPUTE_PGM_RSRC2:TIDIG_COMP_CNT: 0
	.section	.text._ZN9rocsparseL18bsrxmvn_4x4_kernelILj128ELj32EfliaafEEvT3_20rocsparse_direction_NS_24const_host_device_scalarIT1_EES1_PKS1_PKT2_SA_S7_PKT4_PKT5_S5_PT6_21rocsparse_index_base_b,"axG",@progbits,_ZN9rocsparseL18bsrxmvn_4x4_kernelILj128ELj32EfliaafEEvT3_20rocsparse_direction_NS_24const_host_device_scalarIT1_EES1_PKS1_PKT2_SA_S7_PKT4_PKT5_S5_PT6_21rocsparse_index_base_b,comdat
	.globl	_ZN9rocsparseL18bsrxmvn_4x4_kernelILj128ELj32EfliaafEEvT3_20rocsparse_direction_NS_24const_host_device_scalarIT1_EES1_PKS1_PKT2_SA_S7_PKT4_PKT5_S5_PT6_21rocsparse_index_base_b ; -- Begin function _ZN9rocsparseL18bsrxmvn_4x4_kernelILj128ELj32EfliaafEEvT3_20rocsparse_direction_NS_24const_host_device_scalarIT1_EES1_PKS1_PKT2_SA_S7_PKT4_PKT5_S5_PT6_21rocsparse_index_base_b
	.p2align	8
	.type	_ZN9rocsparseL18bsrxmvn_4x4_kernelILj128ELj32EfliaafEEvT3_20rocsparse_direction_NS_24const_host_device_scalarIT1_EES1_PKS1_PKT2_SA_S7_PKT4_PKT5_S5_PT6_21rocsparse_index_base_b,@function
_ZN9rocsparseL18bsrxmvn_4x4_kernelILj128ELj32EfliaafEEvT3_20rocsparse_direction_NS_24const_host_device_scalarIT1_EES1_PKS1_PKT2_SA_S7_PKT4_PKT5_S5_PT6_21rocsparse_index_base_b: ; @_ZN9rocsparseL18bsrxmvn_4x4_kernelILj128ELj32EfliaafEEvT3_20rocsparse_direction_NS_24const_host_device_scalarIT1_EES1_PKS1_PKT2_SA_S7_PKT4_PKT5_S5_PT6_21rocsparse_index_base_b
; %bb.0:
	s_clause 0x2
	s_load_dwordx2 s[18:19], s[4:5], 0x58
	s_load_dwordx2 s[16:17], s[4:5], 0x8
	;; [unrolled: 1-line block ×3, first 2 shown]
	s_waitcnt lgkmcnt(0)
	s_bitcmp1_b32 s19, 0
	s_cselect_b32 s0, -1, 0
	s_and_b32 vcc_lo, exec_lo, s0
	s_xor_b32 s0, s0, -1
	s_cbranch_vccnz .LBB83_2
; %bb.1:
	s_load_dword s16, s[16:17], 0x0
.LBB83_2:
	s_andn2_b32 vcc_lo, exec_lo, s0
	s_cbranch_vccnz .LBB83_4
; %bb.3:
	s_load_dword s2, s[2:3], 0x0
.LBB83_4:
	s_waitcnt lgkmcnt(0)
	v_cmp_neq_f32_e64 s0, s16, 0
	v_cmp_neq_f32_e64 s1, s2, 1.0
	s_mov_b32 s3, 0
	s_or_b32 s0, s0, s1
	s_andn2_b32 vcc_lo, exec_lo, s0
	s_cbranch_vccnz .LBB83_10
; %bb.5:
	s_clause 0x1
	s_load_dwordx2 s[8:9], s[4:5], 0x18
	s_load_dwordx2 s[0:1], s[4:5], 0x0
	v_lshrrev_b32_e32 v1, 5, v0
	v_lshl_or_b32 v4, s6, 2, v1
	s_waitcnt lgkmcnt(0)
	s_cmp_lg_u64 s[8:9], 0
	s_cbranch_scc0 .LBB83_11
; %bb.6:
	s_load_dword s3, s[4:5], 0x10
	s_mov_b32 s6, 0
                                        ; implicit-def: $vgpr1
	s_waitcnt lgkmcnt(0)
	v_cmp_gt_i32_e32 vcc_lo, s3, v4
	s_mov_b32 s3, 0
	s_and_saveexec_b32 s7, vcc_lo
	s_xor_b32 s7, exec_lo, s7
	s_cbranch_execz .LBB83_8
; %bb.7:
	v_ashrrev_i32_e32 v5, 31, v4
	s_mov_b32 s3, exec_lo
	v_lshlrev_b64 v[1:2], 2, v[4:5]
	v_add_co_u32 v1, vcc_lo, s8, v1
	v_add_co_ci_u32_e64 v2, null, s9, v2, vcc_lo
	global_load_dword v1, v[1:2], off
	s_waitcnt vmcnt(0)
	v_subrev_nc_u32_e32 v1, s18, v1
.LBB83_8:
	s_or_b32 exec_lo, exec_lo, s7
	s_and_b32 vcc_lo, exec_lo, s6
	s_cbranch_vccz .LBB83_12
.LBB83_9:
	v_cmp_gt_i32_e32 vcc_lo, s0, v4
	s_andn2_b32 s0, s3, exec_lo
	s_and_b32 s3, vcc_lo, exec_lo
	s_or_b32 s3, s0, s3
	s_and_saveexec_b32 s0, s3
	s_cbranch_execnz .LBB83_13
.LBB83_10:
	s_endpgm
.LBB83_11:
                                        ; implicit-def: $vgpr1
	s_cbranch_execnz .LBB83_9
.LBB83_12:
	v_mov_b32_e32 v4, v1
	s_and_saveexec_b32 s0, s3
	s_cbranch_execz .LBB83_10
.LBB83_13:
	s_load_dwordx8 s[8:15], s[4:5], 0x20
	v_ashrrev_i32_e32 v5, 31, v4
	v_and_b32_e32 v21, 31, v0
	s_load_dwordx2 s[6:7], s[4:5], 0x40
	v_mov_b32_e32 v22, 0
	v_lshlrev_b64 v[1:2], 3, v[4:5]
	s_waitcnt lgkmcnt(0)
	v_add_co_u32 v5, vcc_lo, s8, v1
	v_add_co_ci_u32_e64 v6, null, s9, v2, vcc_lo
	v_add_co_u32 v1, vcc_lo, s10, v1
	v_add_co_ci_u32_e64 v2, null, s11, v2, vcc_lo
	v_add_co_u32 v3, vcc_lo, v5, 8
	global_load_dwordx2 v[9:10], v[5:6], off
	v_add_co_ci_u32_e64 v7, null, 0, v6, vcc_lo
	s_cmp_eq_u64 s[10:11], 0
	s_cselect_b32 vcc_lo, -1, 0
	s_cmp_eq_u32 s1, 1
	v_cndmask_b32_e32 v2, v2, v7, vcc_lo
	v_cndmask_b32_e32 v1, v1, v3, vcc_lo
	global_load_dwordx2 v[2:3], v[1:2], off
	s_waitcnt vmcnt(1)
	v_sub_co_u32 v0, vcc_lo, v9, s18
	v_subrev_co_ci_u32_e64 v1, null, 0, v10, vcc_lo
	v_add_co_u32 v0, vcc_lo, v0, v21
	v_add_co_ci_u32_e64 v1, null, 0, v1, vcc_lo
	v_lshlrev_b64 v[5:6], 4, v[0:1]
	s_waitcnt vmcnt(0)
	v_sub_co_u32 v2, vcc_lo, v2, s18
	v_subrev_co_ci_u32_e64 v3, null, 0, v3, vcc_lo
	v_add_co_u32 v5, vcc_lo, s14, v5
	v_cmp_lt_i64_e64 s0, v[0:1], v[2:3]
	v_add_co_ci_u32_e64 v6, null, s15, v6, vcc_lo
	s_cbranch_scc1 .LBB83_25
; %bb.14:
	v_mov_b32_e32 v23, 0
	v_mov_b32_e32 v24, 0
	;; [unrolled: 1-line block ×3, first 2 shown]
	s_and_saveexec_b32 s1, s0
	s_cbranch_execz .LBB83_24
; %bb.15:
	v_or_b32_e32 v7, 32, v21
	v_not_b32_e32 v12, v9
	v_not_b32_e32 v11, v10
	v_sub_co_u32 v7, s3, v7, s18
	v_sub_co_ci_u32_e64 v8, null, 0, 0, s3
	v_sub_co_u32 v13, s3, s18, v21
	v_add_co_u32 v7, vcc_lo, v7, v9
	v_add_co_ci_u32_e64 v8, null, v8, v10, vcc_lo
	v_sub_co_ci_u32_e64 v14, null, 0, 0, s3
	s_mov_b32 s3, exec_lo
	v_cmp_gt_i64_e32 vcc_lo, v[7:8], v[2:3]
	v_cndmask_b32_e32 v16, v3, v8, vcc_lo
	v_cndmask_b32_e32 v7, v2, v7, vcc_lo
	v_add_co_u32 v8, vcc_lo, v13, v12
	v_add_co_ci_u32_e64 v11, null, v14, v11, vcc_lo
	v_mov_b32_e32 v14, v6
	v_add_co_u32 v15, vcc_lo, v8, v7
	v_mov_b32_e32 v8, 0
	v_add_co_ci_u32_e64 v16, null, v11, v16, vcc_lo
	v_mov_b32_e32 v12, v1
	v_and_b32_e32 v7, 0x60, v15
	v_mov_b32_e32 v24, v8
	v_mov_b32_e32 v23, v8
	;; [unrolled: 1-line block ×5, first 2 shown]
	v_cmpx_ne_u64_e32 0x60, v[7:8]
	s_cbranch_execz .LBB83_19
; %bb.16:
	v_lshrrev_b32_e32 v7, 5, v15
	v_mov_b32_e32 v14, v6
	v_mov_b32_e32 v12, v1
	;; [unrolled: 1-line block ×4, first 2 shown]
	v_add_nc_u32_e32 v17, 1, v7
	v_lshlrev_b64 v[7:8], 2, v[0:1]
	v_mov_b32_e32 v11, v0
	v_mov_b32_e32 v23, 0
	;; [unrolled: 1-line block ×3, first 2 shown]
	v_and_b32_e32 v19, 3, v17
	v_add_co_u32 v17, vcc_lo, s12, v7
	v_add_co_ci_u32_e64 v18, null, s13, v8, vcc_lo
	v_sub_co_u32 v19, s8, 0, v19
	v_sub_co_ci_u32_e64 v20, null, 0, 0, s8
	v_mov_b32_e32 v8, 0
	s_mov_b32 s8, 0
.LBB83_17:                              ; =>This Inner Loop Header: Depth=1
	global_load_dword v7, v[17:18], off
	s_waitcnt vmcnt(0)
	v_subrev_nc_u32_e32 v7, s18, v7
	v_lshlrev_b32_e32 v7, 2, v7
	v_ashrrev_i32_e32 v25, 31, v7
	v_add_co_u32 v29, vcc_lo, s6, v7
	v_add_co_ci_u32_e64 v30, null, s7, v25, vcc_lo
	global_load_dwordx4 v[25:28], v[13:14], off
	global_load_dword v7, v[29:30], off
	v_add_co_u32 v13, vcc_lo, 0x200, v13
	v_add_co_ci_u32_e64 v14, null, 0, v14, vcc_lo
	v_add_co_u32 v11, vcc_lo, v11, 32
	v_add_co_ci_u32_e64 v12, null, 0, v12, vcc_lo
	;; [unrolled: 2-line block ×4, first 2 shown]
	v_cmp_eq_u64_e32 vcc_lo, 0, v[19:20]
	s_or_b32 s8, vcc_lo, s8
	s_waitcnt vmcnt(1)
	v_cvt_f32_i32_sdwa v29, sext(v25) dst_sel:DWORD dst_unused:UNUSED_PAD src0_sel:BYTE_0
	v_cvt_f32_i32_sdwa v32, sext(v26) dst_sel:DWORD dst_unused:UNUSED_PAD src0_sel:BYTE_0
	;; [unrolled: 1-line block ×4, first 2 shown]
	s_waitcnt vmcnt(0)
	v_cvt_f32_i32_sdwa v41, sext(v7) dst_sel:DWORD dst_unused:UNUSED_PAD src0_sel:BYTE_0
	v_cvt_f32_i32_sdwa v30, sext(v25) dst_sel:DWORD dst_unused:UNUSED_PAD src0_sel:BYTE_1
	v_cvt_f32_i32_sdwa v33, sext(v26) dst_sel:DWORD dst_unused:UNUSED_PAD src0_sel:BYTE_1
	;; [unrolled: 1-line block ×5, first 2 shown]
	v_fmac_f32_e32 v8, v29, v41
	v_fmac_f32_e32 v24, v32, v41
	;; [unrolled: 1-line block ×4, first 2 shown]
	v_cvt_f32_i32_sdwa v31, sext(v25) dst_sel:DWORD dst_unused:UNUSED_PAD src0_sel:BYTE_2
	v_cvt_f32_i32_sdwa v34, sext(v26) dst_sel:DWORD dst_unused:UNUSED_PAD src0_sel:BYTE_2
	;; [unrolled: 1-line block ×5, first 2 shown]
	v_fmac_f32_e32 v8, v30, v42
	v_fmac_f32_e32 v24, v33, v42
	v_fmac_f32_e32 v23, v36, v42
	v_fmac_f32_e32 v22, v39, v42
	v_cvt_f32_i32_sdwa v25, sext(v25) dst_sel:DWORD dst_unused:UNUSED_PAD src0_sel:BYTE_3
	v_cvt_f32_i32_sdwa v26, sext(v26) dst_sel:DWORD dst_unused:UNUSED_PAD src0_sel:BYTE_3
	;; [unrolled: 1-line block ×5, first 2 shown]
	v_fmac_f32_e32 v8, v31, v29
	v_fmac_f32_e32 v24, v34, v29
	;; [unrolled: 1-line block ×8, first 2 shown]
	s_andn2_b32 exec_lo, exec_lo, s8
	s_cbranch_execnz .LBB83_17
; %bb.18:
	s_or_b32 exec_lo, exec_lo, s8
.LBB83_19:
	s_or_b32 exec_lo, exec_lo, s3
	s_mov_b32 s3, exec_lo
	v_cmpx_lt_u64_e32 0x5f, v[15:16]
	s_cbranch_execz .LBB83_23
; %bb.20:
	v_lshlrev_b64 v[15:16], 2, v[11:12]
	s_mov_b32 s8, 0
	v_add_co_u32 v7, vcc_lo, s12, v15
	v_add_co_ci_u32_e64 v16, null, s13, v16, vcc_lo
	v_add_co_u32 v15, vcc_lo, 0x100, v7
	v_add_co_ci_u32_e64 v16, null, 0, v16, vcc_lo
.LBB83_21:                              ; =>This Inner Loop Header: Depth=1
	s_clause 0x3
	global_load_dword v7, v[15:16], off offset:-256
	global_load_dword v37, v[15:16], off offset:-128
	global_load_dword v38, v[15:16], off
	global_load_dword v39, v[15:16], off offset:128
	s_clause 0x3
	global_load_dwordx4 v[17:20], v[13:14], off
	global_load_dwordx4 v[25:28], v[13:14], off offset:512
	global_load_dwordx4 v[29:32], v[13:14], off offset:1024
	;; [unrolled: 1-line block ×3, first 2 shown]
	s_waitcnt vmcnt(7)
	v_subrev_nc_u32_e32 v7, s18, v7
	s_waitcnt vmcnt(6)
	v_subrev_nc_u32_e32 v40, s18, v37
	;; [unrolled: 2-line block ×3, first 2 shown]
	s_waitcnt vmcnt(3)
	v_cvt_f32_i32_sdwa v43, sext(v18) dst_sel:DWORD dst_unused:UNUSED_PAD src0_sel:BYTE_0
	v_lshlrev_b32_e32 v7, 2, v7
	v_cvt_f32_i32_sdwa v46, sext(v19) dst_sel:DWORD dst_unused:UNUSED_PAD src0_sel:BYTE_0
	v_cvt_f32_i32_sdwa v49, sext(v20) dst_sel:DWORD dst_unused:UNUSED_PAD src0_sel:BYTE_0
	v_cvt_f32_i32_sdwa v44, sext(v18) dst_sel:DWORD dst_unused:UNUSED_PAD src0_sel:BYTE_1
	v_cvt_f32_i32_sdwa v47, sext(v19) dst_sel:DWORD dst_unused:UNUSED_PAD src0_sel:BYTE_1
	v_ashrrev_i32_e32 v38, 31, v7
	v_add_co_u32 v37, vcc_lo, s6, v7
	v_subrev_nc_u32_e32 v7, s18, v39
	v_cvt_f32_i32_sdwa v50, sext(v20) dst_sel:DWORD dst_unused:UNUSED_PAD src0_sel:BYTE_1
	v_add_co_ci_u32_e64 v38, null, s7, v38, vcc_lo
	v_cvt_f32_i32_sdwa v42, sext(v17) dst_sel:DWORD dst_unused:UNUSED_PAD src0_sel:BYTE_2
	v_lshlrev_b32_e32 v7, 2, v7
	v_cvt_f32_i32_sdwa v45, sext(v18) dst_sel:DWORD dst_unused:UNUSED_PAD src0_sel:BYTE_2
	global_load_dword v39, v[37:38], off
	v_lshlrev_b32_e32 v37, 2, v40
	v_cvt_f32_i32_sdwa v48, sext(v19) dst_sel:DWORD dst_unused:UNUSED_PAD src0_sel:BYTE_2
	v_cvt_f32_i32_sdwa v51, sext(v20) dst_sel:DWORD dst_unused:UNUSED_PAD src0_sel:BYTE_2
	v_cvt_f32_i32_sdwa v18, sext(v18) dst_sel:DWORD dst_unused:UNUSED_PAD src0_sel:BYTE_3
	v_cvt_f32_i32_sdwa v19, sext(v19) dst_sel:DWORD dst_unused:UNUSED_PAD src0_sel:BYTE_3
	v_ashrrev_i32_e32 v38, 31, v37
	v_add_co_u32 v37, vcc_lo, s6, v37
	v_cvt_f32_i32_sdwa v20, sext(v20) dst_sel:DWORD dst_unused:UNUSED_PAD src0_sel:BYTE_3
	s_waitcnt vmcnt(3)
	v_cvt_f32_i32_sdwa v52, sext(v25) dst_sel:DWORD dst_unused:UNUSED_PAD src0_sel:BYTE_0
	v_add_co_ci_u32_e64 v38, null, s7, v38, vcc_lo
	v_cvt_f32_i32_sdwa v55, sext(v26) dst_sel:DWORD dst_unused:UNUSED_PAD src0_sel:BYTE_0
	v_cvt_f32_i32_sdwa v58, sext(v27) dst_sel:DWORD dst_unused:UNUSED_PAD src0_sel:BYTE_0
	;; [unrolled: 1-line block ×3, first 2 shown]
	global_load_dword v40, v[37:38], off
	v_lshlrev_b32_e32 v37, 2, v41
	v_cvt_f32_i32_sdwa v53, sext(v25) dst_sel:DWORD dst_unused:UNUSED_PAD src0_sel:BYTE_1
	v_cvt_f32_i32_sdwa v56, sext(v26) dst_sel:DWORD dst_unused:UNUSED_PAD src0_sel:BYTE_1
	;; [unrolled: 1-line block ×4, first 2 shown]
	v_ashrrev_i32_e32 v38, 31, v37
	v_add_co_u32 v37, vcc_lo, s6, v37
	v_cvt_f32_i32_sdwa v54, sext(v25) dst_sel:DWORD dst_unused:UNUSED_PAD src0_sel:BYTE_2
	v_cvt_f32_i32_sdwa v57, sext(v26) dst_sel:DWORD dst_unused:UNUSED_PAD src0_sel:BYTE_2
	v_add_co_ci_u32_e64 v38, null, s7, v38, vcc_lo
	v_cvt_f32_i32_sdwa v60, sext(v27) dst_sel:DWORD dst_unused:UNUSED_PAD src0_sel:BYTE_2
	v_cvt_f32_i32_sdwa v63, sext(v28) dst_sel:DWORD dst_unused:UNUSED_PAD src0_sel:BYTE_2
	v_cvt_f32_i32_sdwa v25, sext(v25) dst_sel:DWORD dst_unused:UNUSED_PAD src0_sel:BYTE_3
	global_load_dword v41, v[37:38], off
	v_ashrrev_i32_e32 v38, 31, v7
	v_add_co_u32 v37, vcc_lo, s6, v7
	v_cvt_f32_i32_sdwa v26, sext(v26) dst_sel:DWORD dst_unused:UNUSED_PAD src0_sel:BYTE_3
	v_cvt_f32_i32_sdwa v27, sext(v27) dst_sel:DWORD dst_unused:UNUSED_PAD src0_sel:BYTE_3
	v_add_co_ci_u32_e64 v38, null, s7, v38, vcc_lo
	v_cvt_f32_i32_sdwa v28, sext(v28) dst_sel:DWORD dst_unused:UNUSED_PAD src0_sel:BYTE_3
	s_waitcnt vmcnt(4)
	v_cvt_f32_i32_sdwa v64, sext(v29) dst_sel:DWORD dst_unused:UNUSED_PAD src0_sel:BYTE_0
	v_cvt_f32_i32_sdwa v67, sext(v30) dst_sel:DWORD dst_unused:UNUSED_PAD src0_sel:BYTE_0
	global_load_dword v7, v[37:38], off
	v_cvt_f32_i32_sdwa v37, sext(v17) dst_sel:DWORD dst_unused:UNUSED_PAD src0_sel:BYTE_0
	v_cvt_f32_i32_sdwa v38, sext(v17) dst_sel:DWORD dst_unused:UNUSED_PAD src0_sel:BYTE_1
	v_cvt_f32_i32_sdwa v17, sext(v17) dst_sel:DWORD dst_unused:UNUSED_PAD src0_sel:BYTE_3
	v_cvt_f32_i32_sdwa v70, sext(v31) dst_sel:DWORD dst_unused:UNUSED_PAD src0_sel:BYTE_0
	v_cvt_f32_i32_sdwa v73, sext(v32) dst_sel:DWORD dst_unused:UNUSED_PAD src0_sel:BYTE_0
	v_cvt_f32_i32_sdwa v65, sext(v29) dst_sel:DWORD dst_unused:UNUSED_PAD src0_sel:BYTE_1
	v_cvt_f32_i32_sdwa v68, sext(v30) dst_sel:DWORD dst_unused:UNUSED_PAD src0_sel:BYTE_1
	;; [unrolled: 1-line block ×4, first 2 shown]
	v_cvt_f32_i32_sdwa v66, sext(v29) dst_sel:DWORD dst_unused:UNUSED_PAD src0_sel:BYTE_2
	v_cvt_f32_i32_sdwa v69, sext(v30) dst_sel:DWORD dst_unused:UNUSED_PAD src0_sel:BYTE_2
	;; [unrolled: 1-line block ×4, first 2 shown]
	v_cvt_f32_i32_sdwa v29, sext(v29) dst_sel:DWORD dst_unused:UNUSED_PAD src0_sel:BYTE_3
	v_cvt_f32_i32_sdwa v30, sext(v30) dst_sel:DWORD dst_unused:UNUSED_PAD src0_sel:BYTE_3
	;; [unrolled: 1-line block ×4, first 2 shown]
	s_waitcnt vmcnt(4)
	v_cvt_f32_i32_sdwa v76, sext(v33) dst_sel:DWORD dst_unused:UNUSED_PAD src0_sel:BYTE_0
	v_cvt_f32_i32_sdwa v79, sext(v34) dst_sel:DWORD dst_unused:UNUSED_PAD src0_sel:BYTE_0
	;; [unrolled: 1-line block ×4, first 2 shown]
	v_cvt_f32_i32_sdwa v77, sext(v33) dst_sel:DWORD dst_unused:UNUSED_PAD src0_sel:BYTE_1
	v_cvt_f32_i32_sdwa v80, sext(v34) dst_sel:DWORD dst_unused:UNUSED_PAD src0_sel:BYTE_1
	;; [unrolled: 1-line block ×4, first 2 shown]
	v_add_co_u32 v13, vcc_lo, 0x800, v13
	v_add_co_ci_u32_e64 v14, null, 0, v14, vcc_lo
	v_add_co_u32 v11, vcc_lo, 0x80, v11
	v_cvt_f32_i32_sdwa v78, sext(v33) dst_sel:DWORD dst_unused:UNUSED_PAD src0_sel:BYTE_2
	v_cvt_f32_i32_sdwa v81, sext(v34) dst_sel:DWORD dst_unused:UNUSED_PAD src0_sel:BYTE_2
	;; [unrolled: 1-line block ×4, first 2 shown]
	v_add_co_ci_u32_e64 v12, null, 0, v12, vcc_lo
	v_add_co_u32 v15, vcc_lo, 0x200, v15
	v_cvt_f32_i32_sdwa v33, sext(v33) dst_sel:DWORD dst_unused:UNUSED_PAD src0_sel:BYTE_3
	v_cvt_f32_i32_sdwa v34, sext(v34) dst_sel:DWORD dst_unused:UNUSED_PAD src0_sel:BYTE_3
	;; [unrolled: 1-line block ×4, first 2 shown]
	v_add_co_ci_u32_e64 v16, null, 0, v16, vcc_lo
	v_cmp_ge_i64_e32 vcc_lo, v[11:12], v[2:3]
	s_or_b32 s8, vcc_lo, s8
	s_waitcnt vmcnt(3)
	v_cvt_f32_i32_sdwa v88, sext(v39) dst_sel:DWORD dst_unused:UNUSED_PAD src0_sel:BYTE_0
	v_cvt_f32_i32_sdwa v89, sext(v39) dst_sel:DWORD dst_unused:UNUSED_PAD src0_sel:BYTE_1
	v_fmac_f32_e32 v8, v37, v88
	v_fmac_f32_e32 v24, v43, v88
	v_fmac_f32_e32 v23, v46, v88
	v_fmac_f32_e32 v22, v49, v88
	v_cvt_f32_i32_sdwa v37, sext(v39) dst_sel:DWORD dst_unused:UNUSED_PAD src0_sel:BYTE_2
	v_fmac_f32_e32 v8, v38, v89
	v_fmac_f32_e32 v24, v44, v89
	v_fmac_f32_e32 v23, v47, v89
	v_fmac_f32_e32 v22, v50, v89
	v_cvt_f32_i32_sdwa v38, sext(v39) dst_sel:DWORD dst_unused:UNUSED_PAD src0_sel:BYTE_3
	v_fmac_f32_e32 v8, v42, v37
	v_fmac_f32_e32 v24, v45, v37
	v_fmac_f32_e32 v23, v48, v37
	v_fmac_f32_e32 v22, v51, v37
	s_waitcnt vmcnt(2)
	v_cvt_f32_i32_sdwa v37, sext(v40) dst_sel:DWORD dst_unused:UNUSED_PAD src0_sel:BYTE_0
	v_fmac_f32_e32 v8, v17, v38
	v_fmac_f32_e32 v24, v18, v38
	v_fmac_f32_e32 v23, v19, v38
	v_fmac_f32_e32 v22, v20, v38
	v_cvt_f32_i32_sdwa v17, sext(v40) dst_sel:DWORD dst_unused:UNUSED_PAD src0_sel:BYTE_1
	v_fmac_f32_e32 v8, v52, v37
	v_fmac_f32_e32 v24, v55, v37
	v_fmac_f32_e32 v23, v58, v37
	v_fmac_f32_e32 v22, v61, v37
	v_cvt_f32_i32_sdwa v18, sext(v40) dst_sel:DWORD dst_unused:UNUSED_PAD src0_sel:BYTE_2
	v_fmac_f32_e32 v8, v53, v17
	v_fmac_f32_e32 v24, v56, v17
	v_fmac_f32_e32 v23, v59, v17
	v_fmac_f32_e32 v22, v62, v17
	v_cvt_f32_i32_sdwa v17, sext(v40) dst_sel:DWORD dst_unused:UNUSED_PAD src0_sel:BYTE_3
	v_fmac_f32_e32 v8, v54, v18
	v_fmac_f32_e32 v24, v57, v18
	v_fmac_f32_e32 v23, v60, v18
	v_fmac_f32_e32 v22, v63, v18
	s_waitcnt vmcnt(1)
	v_cvt_f32_i32_sdwa v18, sext(v41) dst_sel:DWORD dst_unused:UNUSED_PAD src0_sel:BYTE_0
	v_fmac_f32_e32 v8, v25, v17
	v_fmac_f32_e32 v24, v26, v17
	v_fmac_f32_e32 v23, v27, v17
	v_fmac_f32_e32 v22, v28, v17
	;; [unrolled: 21-line block ×3, first 2 shown]
	v_cvt_f32_i32_sdwa v17, sext(v7) dst_sel:DWORD dst_unused:UNUSED_PAD src0_sel:BYTE_1
	v_fmac_f32_e32 v8, v76, v18
	v_fmac_f32_e32 v24, v79, v18
	;; [unrolled: 1-line block ×4, first 2 shown]
	v_cvt_f32_i32_sdwa v18, sext(v7) dst_sel:DWORD dst_unused:UNUSED_PAD src0_sel:BYTE_2
	v_fmac_f32_e32 v8, v77, v17
	v_fmac_f32_e32 v24, v80, v17
	v_fmac_f32_e32 v23, v83, v17
	v_fmac_f32_e32 v22, v86, v17
	v_cvt_f32_i32_sdwa v7, sext(v7) dst_sel:DWORD dst_unused:UNUSED_PAD src0_sel:BYTE_3
	v_fmac_f32_e32 v8, v78, v18
	v_fmac_f32_e32 v24, v81, v18
	;; [unrolled: 1-line block ×8, first 2 shown]
	s_andn2_b32 exec_lo, exec_lo, s8
	s_cbranch_execnz .LBB83_21
; %bb.22:
	s_or_b32 exec_lo, exec_lo, s8
.LBB83_23:
	s_or_b32 exec_lo, exec_lo, s3
.LBB83_24:
	s_or_b32 exec_lo, exec_lo, s1
	s_cbranch_execz .LBB83_26
	s_branch .LBB83_37
.LBB83_25:
                                        ; implicit-def: $vgpr22
                                        ; implicit-def: $vgpr23
                                        ; implicit-def: $vgpr24
                                        ; implicit-def: $vgpr8
.LBB83_26:
	v_mov_b32_e32 v22, 0
	v_mov_b32_e32 v23, 0
	;; [unrolled: 1-line block ×4, first 2 shown]
	s_and_saveexec_b32 s1, s0
	s_cbranch_execz .LBB83_36
; %bb.27:
	v_or_b32_e32 v7, 32, v21
	v_sub_co_u32 v7, s0, v7, s18
	v_sub_co_ci_u32_e64 v8, null, 0, 0, s0
	v_sub_co_u32 v11, s0, s18, v21
	v_add_co_u32 v7, vcc_lo, v7, v9
	v_add_co_ci_u32_e64 v8, null, v8, v10, vcc_lo
	v_not_b32_e32 v9, v9
	v_not_b32_e32 v10, v10
	v_sub_co_ci_u32_e64 v12, null, 0, 0, s0
	v_cmp_gt_i64_e32 vcc_lo, v[7:8], v[2:3]
	s_mov_b32 s0, exec_lo
	v_cndmask_b32_e32 v13, v3, v8, vcc_lo
	v_cndmask_b32_e32 v7, v2, v7, vcc_lo
	v_add_co_u32 v8, vcc_lo, v11, v9
	v_add_co_ci_u32_e64 v10, null, v12, v10, vcc_lo
	v_add_co_u32 v9, vcc_lo, v8, v7
	v_mov_b32_e32 v8, 0
	v_add_co_ci_u32_e64 v10, null, v10, v13, vcc_lo
	v_and_b32_e32 v7, 0x60, v9
	v_mov_b32_e32 v24, v8
	v_mov_b32_e32 v23, v8
	;; [unrolled: 1-line block ×3, first 2 shown]
	v_cmpx_ne_u64_e32 0x60, v[7:8]
	s_cbranch_execz .LBB83_31
; %bb.28:
	v_lshrrev_b32_e32 v7, 5, v9
	v_mov_b32_e32 v22, 0
	v_mov_b32_e32 v23, 0
	;; [unrolled: 1-line block ×3, first 2 shown]
	v_add_nc_u32_e32 v11, 1, v7
	v_lshlrev_b64 v[7:8], 2, v[0:1]
	v_and_b32_e32 v13, 3, v11
	v_add_co_u32 v11, vcc_lo, s12, v7
	v_add_co_ci_u32_e64 v12, null, s13, v8, vcc_lo
	v_sub_co_u32 v13, s3, 0, v13
	v_sub_co_ci_u32_e64 v14, null, 0, 0, s3
	v_mov_b32_e32 v8, 0
	s_mov_b32 s3, 0
.LBB83_29:                              ; =>This Inner Loop Header: Depth=1
	global_load_dword v7, v[11:12], off
	s_waitcnt vmcnt(0)
	v_subrev_nc_u32_e32 v7, s18, v7
	v_lshlrev_b32_e32 v7, 2, v7
	v_ashrrev_i32_e32 v15, 31, v7
	v_add_co_u32 v19, vcc_lo, s6, v7
	v_add_co_ci_u32_e64 v20, null, s7, v15, vcc_lo
	global_load_dwordx4 v[15:18], v[5:6], off
	global_load_dword v7, v[19:20], off
	v_add_co_u32 v5, vcc_lo, 0x200, v5
	v_add_co_ci_u32_e64 v6, null, 0, v6, vcc_lo
	v_add_co_u32 v0, vcc_lo, v0, 32
	v_add_co_ci_u32_e64 v1, null, 0, v1, vcc_lo
	;; [unrolled: 2-line block ×4, first 2 shown]
	v_cmp_eq_u64_e32 vcc_lo, 0, v[13:14]
	s_or_b32 s3, vcc_lo, s3
	s_waitcnt vmcnt(1)
	v_cvt_f32_i32_sdwa v19, sext(v15) dst_sel:DWORD dst_unused:UNUSED_PAD src0_sel:BYTE_0
	v_cvt_f32_i32_sdwa v20, sext(v15) dst_sel:DWORD dst_unused:UNUSED_PAD src0_sel:BYTE_1
	v_cvt_f32_i32_sdwa v25, sext(v15) dst_sel:DWORD dst_unused:UNUSED_PAD src0_sel:BYTE_2
	v_cvt_f32_i32_sdwa v15, sext(v15) dst_sel:DWORD dst_unused:UNUSED_PAD src0_sel:BYTE_3
	s_waitcnt vmcnt(0)
	v_cvt_f32_i32_sdwa v35, sext(v7) dst_sel:DWORD dst_unused:UNUSED_PAD src0_sel:BYTE_0
	v_cvt_f32_i32_sdwa v26, sext(v16) dst_sel:DWORD dst_unused:UNUSED_PAD src0_sel:BYTE_0
	v_cvt_f32_i32_sdwa v27, sext(v16) dst_sel:DWORD dst_unused:UNUSED_PAD src0_sel:BYTE_1
	v_cvt_f32_i32_sdwa v28, sext(v16) dst_sel:DWORD dst_unused:UNUSED_PAD src0_sel:BYTE_2
	v_cvt_f32_i32_sdwa v16, sext(v16) dst_sel:DWORD dst_unused:UNUSED_PAD src0_sel:BYTE_3
	v_cvt_f32_i32_sdwa v36, sext(v7) dst_sel:DWORD dst_unused:UNUSED_PAD src0_sel:BYTE_1
	v_fmac_f32_e32 v8, v19, v35
	v_fmac_f32_e32 v24, v20, v35
	;; [unrolled: 1-line block ×4, first 2 shown]
	v_cvt_f32_i32_sdwa v29, sext(v17) dst_sel:DWORD dst_unused:UNUSED_PAD src0_sel:BYTE_0
	v_cvt_f32_i32_sdwa v30, sext(v17) dst_sel:DWORD dst_unused:UNUSED_PAD src0_sel:BYTE_1
	v_cvt_f32_i32_sdwa v31, sext(v17) dst_sel:DWORD dst_unused:UNUSED_PAD src0_sel:BYTE_2
	v_cvt_f32_i32_sdwa v17, sext(v17) dst_sel:DWORD dst_unused:UNUSED_PAD src0_sel:BYTE_3
	v_cvt_f32_i32_sdwa v15, sext(v7) dst_sel:DWORD dst_unused:UNUSED_PAD src0_sel:BYTE_2
	v_fmac_f32_e32 v8, v26, v36
	v_fmac_f32_e32 v24, v27, v36
	;; [unrolled: 1-line block ×4, first 2 shown]
	v_cvt_f32_i32_sdwa v32, sext(v18) dst_sel:DWORD dst_unused:UNUSED_PAD src0_sel:BYTE_0
	v_cvt_f32_i32_sdwa v33, sext(v18) dst_sel:DWORD dst_unused:UNUSED_PAD src0_sel:BYTE_1
	v_cvt_f32_i32_sdwa v34, sext(v18) dst_sel:DWORD dst_unused:UNUSED_PAD src0_sel:BYTE_2
	v_cvt_f32_i32_sdwa v18, sext(v18) dst_sel:DWORD dst_unused:UNUSED_PAD src0_sel:BYTE_3
	v_cvt_f32_i32_sdwa v7, sext(v7) dst_sel:DWORD dst_unused:UNUSED_PAD src0_sel:BYTE_3
	v_fmac_f32_e32 v8, v29, v15
	v_fmac_f32_e32 v24, v30, v15
	;; [unrolled: 1-line block ×8, first 2 shown]
	s_andn2_b32 exec_lo, exec_lo, s3
	s_cbranch_execnz .LBB83_29
; %bb.30:
	s_or_b32 exec_lo, exec_lo, s3
.LBB83_31:
	s_or_b32 exec_lo, exec_lo, s0
	s_mov_b32 s0, exec_lo
	v_cmpx_lt_u64_e32 0x5f, v[9:10]
	s_cbranch_execz .LBB83_35
; %bb.32:
	v_lshlrev_b64 v[9:10], 2, v[0:1]
	s_mov_b32 s3, 0
	v_add_co_u32 v7, vcc_lo, s12, v9
	v_add_co_ci_u32_e64 v10, null, s13, v10, vcc_lo
	v_add_co_u32 v9, vcc_lo, 0x100, v7
	v_add_co_ci_u32_e64 v10, null, 0, v10, vcc_lo
.LBB83_33:                              ; =>This Inner Loop Header: Depth=1
	s_clause 0x3
	global_load_dword v7, v[9:10], off offset:-256
	global_load_dword v19, v[9:10], off offset:-128
	global_load_dword v20, v[9:10], off
	global_load_dword v33, v[9:10], off offset:128
	s_clause 0x3
	global_load_dwordx4 v[11:14], v[5:6], off
	global_load_dwordx4 v[15:18], v[5:6], off offset:512
	global_load_dwordx4 v[25:28], v[5:6], off offset:1024
	;; [unrolled: 1-line block ×3, first 2 shown]
	s_waitcnt vmcnt(7)
	v_subrev_nc_u32_e32 v7, s18, v7
	s_waitcnt vmcnt(6)
	v_subrev_nc_u32_e32 v34, s18, v19
	;; [unrolled: 2-line block ×3, first 2 shown]
	s_waitcnt vmcnt(3)
	v_cvt_f32_i32_sdwa v36, sext(v11) dst_sel:DWORD dst_unused:UNUSED_PAD src0_sel:BYTE_2
	v_lshlrev_b32_e32 v7, 2, v7
	v_cvt_f32_i32_sdwa v37, sext(v12) dst_sel:DWORD dst_unused:UNUSED_PAD src0_sel:BYTE_0
	v_cvt_f32_i32_sdwa v38, sext(v12) dst_sel:DWORD dst_unused:UNUSED_PAD src0_sel:BYTE_1
	v_cvt_f32_i32_sdwa v39, sext(v12) dst_sel:DWORD dst_unused:UNUSED_PAD src0_sel:BYTE_2
	v_cvt_f32_i32_sdwa v12, sext(v12) dst_sel:DWORD dst_unused:UNUSED_PAD src0_sel:BYTE_3
	v_ashrrev_i32_e32 v20, 31, v7
	v_add_co_u32 v19, vcc_lo, s6, v7
	v_subrev_nc_u32_e32 v7, s18, v33
	v_cvt_f32_i32_sdwa v40, sext(v13) dst_sel:DWORD dst_unused:UNUSED_PAD src0_sel:BYTE_0
	v_add_co_ci_u32_e64 v20, null, s7, v20, vcc_lo
	v_cvt_f32_i32_sdwa v41, sext(v13) dst_sel:DWORD dst_unused:UNUSED_PAD src0_sel:BYTE_1
	v_lshlrev_b32_e32 v7, 2, v7
	v_cvt_f32_i32_sdwa v42, sext(v13) dst_sel:DWORD dst_unused:UNUSED_PAD src0_sel:BYTE_2
	global_load_dword v33, v[19:20], off
	v_lshlrev_b32_e32 v19, 2, v34
	v_cvt_f32_i32_sdwa v13, sext(v13) dst_sel:DWORD dst_unused:UNUSED_PAD src0_sel:BYTE_3
	v_cvt_f32_i32_sdwa v43, sext(v14) dst_sel:DWORD dst_unused:UNUSED_PAD src0_sel:BYTE_0
	v_cvt_f32_i32_sdwa v44, sext(v14) dst_sel:DWORD dst_unused:UNUSED_PAD src0_sel:BYTE_1
	v_cvt_f32_i32_sdwa v45, sext(v14) dst_sel:DWORD dst_unused:UNUSED_PAD src0_sel:BYTE_2
	v_ashrrev_i32_e32 v20, 31, v19
	v_add_co_u32 v19, vcc_lo, s6, v19
	v_cvt_f32_i32_sdwa v14, sext(v14) dst_sel:DWORD dst_unused:UNUSED_PAD src0_sel:BYTE_3
	s_waitcnt vmcnt(3)
	v_cvt_f32_i32_sdwa v46, sext(v15) dst_sel:DWORD dst_unused:UNUSED_PAD src0_sel:BYTE_0
	v_add_co_ci_u32_e64 v20, null, s7, v20, vcc_lo
	v_cvt_f32_i32_sdwa v47, sext(v15) dst_sel:DWORD dst_unused:UNUSED_PAD src0_sel:BYTE_1
	v_cvt_f32_i32_sdwa v48, sext(v15) dst_sel:DWORD dst_unused:UNUSED_PAD src0_sel:BYTE_2
	v_cvt_f32_i32_sdwa v15, sext(v15) dst_sel:DWORD dst_unused:UNUSED_PAD src0_sel:BYTE_3
	global_load_dword v34, v[19:20], off
	v_lshlrev_b32_e32 v19, 2, v35
	v_cvt_f32_i32_sdwa v49, sext(v16) dst_sel:DWORD dst_unused:UNUSED_PAD src0_sel:BYTE_0
	v_cvt_f32_i32_sdwa v50, sext(v16) dst_sel:DWORD dst_unused:UNUSED_PAD src0_sel:BYTE_1
	v_cvt_f32_i32_sdwa v51, sext(v16) dst_sel:DWORD dst_unused:UNUSED_PAD src0_sel:BYTE_2
	v_cvt_f32_i32_sdwa v16, sext(v16) dst_sel:DWORD dst_unused:UNUSED_PAD src0_sel:BYTE_3
	v_ashrrev_i32_e32 v20, 31, v19
	v_add_co_u32 v19, vcc_lo, s6, v19
	v_cvt_f32_i32_sdwa v52, sext(v17) dst_sel:DWORD dst_unused:UNUSED_PAD src0_sel:BYTE_0
	v_cvt_f32_i32_sdwa v53, sext(v17) dst_sel:DWORD dst_unused:UNUSED_PAD src0_sel:BYTE_1
	v_add_co_ci_u32_e64 v20, null, s7, v20, vcc_lo
	v_cvt_f32_i32_sdwa v54, sext(v17) dst_sel:DWORD dst_unused:UNUSED_PAD src0_sel:BYTE_2
	v_cvt_f32_i32_sdwa v17, sext(v17) dst_sel:DWORD dst_unused:UNUSED_PAD src0_sel:BYTE_3
	v_cvt_f32_i32_sdwa v55, sext(v18) dst_sel:DWORD dst_unused:UNUSED_PAD src0_sel:BYTE_0
	global_load_dword v35, v[19:20], off
	v_ashrrev_i32_e32 v20, 31, v7
	v_add_co_u32 v19, vcc_lo, s6, v7
	v_cvt_f32_i32_sdwa v56, sext(v18) dst_sel:DWORD dst_unused:UNUSED_PAD src0_sel:BYTE_1
	v_cvt_f32_i32_sdwa v57, sext(v18) dst_sel:DWORD dst_unused:UNUSED_PAD src0_sel:BYTE_2
	v_add_co_ci_u32_e64 v20, null, s7, v20, vcc_lo
	v_cvt_f32_i32_sdwa v18, sext(v18) dst_sel:DWORD dst_unused:UNUSED_PAD src0_sel:BYTE_3
	s_waitcnt vmcnt(4)
	v_cvt_f32_i32_sdwa v58, sext(v25) dst_sel:DWORD dst_unused:UNUSED_PAD src0_sel:BYTE_0
	v_cvt_f32_i32_sdwa v59, sext(v25) dst_sel:DWORD dst_unused:UNUSED_PAD src0_sel:BYTE_1
	global_load_dword v7, v[19:20], off
	v_cvt_f32_i32_sdwa v19, sext(v11) dst_sel:DWORD dst_unused:UNUSED_PAD src0_sel:BYTE_0
	v_cvt_f32_i32_sdwa v20, sext(v11) dst_sel:DWORD dst_unused:UNUSED_PAD src0_sel:BYTE_1
	v_cvt_f32_i32_sdwa v11, sext(v11) dst_sel:DWORD dst_unused:UNUSED_PAD src0_sel:BYTE_3
	v_cvt_f32_i32_sdwa v60, sext(v25) dst_sel:DWORD dst_unused:UNUSED_PAD src0_sel:BYTE_2
	v_cvt_f32_i32_sdwa v25, sext(v25) dst_sel:DWORD dst_unused:UNUSED_PAD src0_sel:BYTE_3
	v_cvt_f32_i32_sdwa v61, sext(v26) dst_sel:DWORD dst_unused:UNUSED_PAD src0_sel:BYTE_0
	v_cvt_f32_i32_sdwa v62, sext(v26) dst_sel:DWORD dst_unused:UNUSED_PAD src0_sel:BYTE_1
	v_cvt_f32_i32_sdwa v63, sext(v26) dst_sel:DWORD dst_unused:UNUSED_PAD src0_sel:BYTE_2
	v_cvt_f32_i32_sdwa v26, sext(v26) dst_sel:DWORD dst_unused:UNUSED_PAD src0_sel:BYTE_3
	v_cvt_f32_i32_sdwa v64, sext(v27) dst_sel:DWORD dst_unused:UNUSED_PAD src0_sel:BYTE_0
	v_cvt_f32_i32_sdwa v65, sext(v27) dst_sel:DWORD dst_unused:UNUSED_PAD src0_sel:BYTE_1
	;; [unrolled: 4-line block ×3, first 2 shown]
	v_cvt_f32_i32_sdwa v69, sext(v28) dst_sel:DWORD dst_unused:UNUSED_PAD src0_sel:BYTE_2
	v_cvt_f32_i32_sdwa v28, sext(v28) dst_sel:DWORD dst_unused:UNUSED_PAD src0_sel:BYTE_3
	s_waitcnt vmcnt(4)
	v_cvt_f32_i32_sdwa v70, sext(v29) dst_sel:DWORD dst_unused:UNUSED_PAD src0_sel:BYTE_0
	v_cvt_f32_i32_sdwa v71, sext(v29) dst_sel:DWORD dst_unused:UNUSED_PAD src0_sel:BYTE_1
	v_cvt_f32_i32_sdwa v72, sext(v29) dst_sel:DWORD dst_unused:UNUSED_PAD src0_sel:BYTE_2
	v_cvt_f32_i32_sdwa v29, sext(v29) dst_sel:DWORD dst_unused:UNUSED_PAD src0_sel:BYTE_3
	v_cvt_f32_i32_sdwa v73, sext(v30) dst_sel:DWORD dst_unused:UNUSED_PAD src0_sel:BYTE_0
	v_cvt_f32_i32_sdwa v74, sext(v30) dst_sel:DWORD dst_unused:UNUSED_PAD src0_sel:BYTE_1
	v_cvt_f32_i32_sdwa v75, sext(v30) dst_sel:DWORD dst_unused:UNUSED_PAD src0_sel:BYTE_2
	v_cvt_f32_i32_sdwa v30, sext(v30) dst_sel:DWORD dst_unused:UNUSED_PAD src0_sel:BYTE_3
	v_add_co_u32 v5, vcc_lo, 0x800, v5
	v_add_co_ci_u32_e64 v6, null, 0, v6, vcc_lo
	v_add_co_u32 v0, vcc_lo, 0x80, v0
	v_cvt_f32_i32_sdwa v76, sext(v31) dst_sel:DWORD dst_unused:UNUSED_PAD src0_sel:BYTE_0
	v_cvt_f32_i32_sdwa v77, sext(v31) dst_sel:DWORD dst_unused:UNUSED_PAD src0_sel:BYTE_1
	v_cvt_f32_i32_sdwa v78, sext(v31) dst_sel:DWORD dst_unused:UNUSED_PAD src0_sel:BYTE_2
	v_cvt_f32_i32_sdwa v31, sext(v31) dst_sel:DWORD dst_unused:UNUSED_PAD src0_sel:BYTE_3
	v_add_co_ci_u32_e64 v1, null, 0, v1, vcc_lo
	v_add_co_u32 v9, vcc_lo, 0x200, v9
	v_cvt_f32_i32_sdwa v79, sext(v32) dst_sel:DWORD dst_unused:UNUSED_PAD src0_sel:BYTE_0
	v_cvt_f32_i32_sdwa v80, sext(v32) dst_sel:DWORD dst_unused:UNUSED_PAD src0_sel:BYTE_1
	v_cvt_f32_i32_sdwa v81, sext(v32) dst_sel:DWORD dst_unused:UNUSED_PAD src0_sel:BYTE_2
	v_cvt_f32_i32_sdwa v32, sext(v32) dst_sel:DWORD dst_unused:UNUSED_PAD src0_sel:BYTE_3
	v_add_co_ci_u32_e64 v10, null, 0, v10, vcc_lo
	v_cmp_ge_i64_e32 vcc_lo, v[0:1], v[2:3]
	s_or_b32 s3, vcc_lo, s3
	s_waitcnt vmcnt(3)
	v_cvt_f32_i32_sdwa v82, sext(v33) dst_sel:DWORD dst_unused:UNUSED_PAD src0_sel:BYTE_0
	v_cvt_f32_i32_sdwa v83, sext(v33) dst_sel:DWORD dst_unused:UNUSED_PAD src0_sel:BYTE_1
	v_fmac_f32_e32 v8, v19, v82
	v_fmac_f32_e32 v24, v20, v82
	v_fmac_f32_e32 v23, v36, v82
	v_fmac_f32_e32 v22, v11, v82
	v_cvt_f32_i32_sdwa v11, sext(v33) dst_sel:DWORD dst_unused:UNUSED_PAD src0_sel:BYTE_2
	v_fmac_f32_e32 v8, v37, v83
	v_fmac_f32_e32 v24, v38, v83
	v_fmac_f32_e32 v23, v39, v83
	v_fmac_f32_e32 v22, v12, v83
	v_cvt_f32_i32_sdwa v12, sext(v33) dst_sel:DWORD dst_unused:UNUSED_PAD src0_sel:BYTE_3
	v_fmac_f32_e32 v8, v40, v11
	v_fmac_f32_e32 v24, v41, v11
	v_fmac_f32_e32 v23, v42, v11
	v_fmac_f32_e32 v22, v13, v11
	s_waitcnt vmcnt(2)
	v_cvt_f32_i32_sdwa v11, sext(v34) dst_sel:DWORD dst_unused:UNUSED_PAD src0_sel:BYTE_0
	v_fmac_f32_e32 v8, v43, v12
	v_fmac_f32_e32 v24, v44, v12
	v_fmac_f32_e32 v23, v45, v12
	v_fmac_f32_e32 v22, v14, v12
	v_cvt_f32_i32_sdwa v12, sext(v34) dst_sel:DWORD dst_unused:UNUSED_PAD src0_sel:BYTE_1
	v_fmac_f32_e32 v8, v46, v11
	v_fmac_f32_e32 v24, v47, v11
	v_fmac_f32_e32 v23, v48, v11
	v_fmac_f32_e32 v22, v15, v11
	v_cvt_f32_i32_sdwa v11, sext(v34) dst_sel:DWORD dst_unused:UNUSED_PAD src0_sel:BYTE_2
	v_fmac_f32_e32 v8, v49, v12
	v_fmac_f32_e32 v24, v50, v12
	v_fmac_f32_e32 v23, v51, v12
	v_fmac_f32_e32 v22, v16, v12
	v_cvt_f32_i32_sdwa v12, sext(v34) dst_sel:DWORD dst_unused:UNUSED_PAD src0_sel:BYTE_3
	v_fmac_f32_e32 v8, v52, v11
	v_fmac_f32_e32 v24, v53, v11
	v_fmac_f32_e32 v23, v54, v11
	v_fmac_f32_e32 v22, v17, v11
	s_waitcnt vmcnt(1)
	v_cvt_f32_i32_sdwa v11, sext(v35) dst_sel:DWORD dst_unused:UNUSED_PAD src0_sel:BYTE_0
	v_fmac_f32_e32 v8, v55, v12
	v_fmac_f32_e32 v24, v56, v12
	v_fmac_f32_e32 v23, v57, v12
	v_fmac_f32_e32 v22, v18, v12
	;; [unrolled: 21-line block ×3, first 2 shown]
	v_cvt_f32_i32_sdwa v12, sext(v7) dst_sel:DWORD dst_unused:UNUSED_PAD src0_sel:BYTE_1
	v_fmac_f32_e32 v8, v70, v11
	v_fmac_f32_e32 v24, v71, v11
	;; [unrolled: 1-line block ×4, first 2 shown]
	v_cvt_f32_i32_sdwa v11, sext(v7) dst_sel:DWORD dst_unused:UNUSED_PAD src0_sel:BYTE_2
	v_fmac_f32_e32 v8, v73, v12
	v_fmac_f32_e32 v24, v74, v12
	;; [unrolled: 1-line block ×4, first 2 shown]
	v_cvt_f32_i32_sdwa v7, sext(v7) dst_sel:DWORD dst_unused:UNUSED_PAD src0_sel:BYTE_3
	v_fmac_f32_e32 v8, v76, v11
	v_fmac_f32_e32 v24, v77, v11
	;; [unrolled: 1-line block ×8, first 2 shown]
	s_andn2_b32 exec_lo, exec_lo, s3
	s_cbranch_execnz .LBB83_33
; %bb.34:
	s_or_b32 exec_lo, exec_lo, s3
.LBB83_35:
	s_or_b32 exec_lo, exec_lo, s0
.LBB83_36:
	s_or_b32 exec_lo, exec_lo, s1
.LBB83_37:
	v_mbcnt_lo_u32_b32 v0, -1, 0
	s_mov_b32 s3, -1
	v_xor_b32_e32 v1, 16, v0
	v_xor_b32_e32 v6, 8, v0
	;; [unrolled: 1-line block ×3, first 2 shown]
	v_cmp_gt_i32_e32 vcc_lo, 32, v1
	v_cndmask_b32_e32 v1, v0, v1, vcc_lo
	v_cmp_gt_i32_e32 vcc_lo, 32, v6
	v_lshlrev_b32_e32 v1, 2, v1
	v_cndmask_b32_e32 v6, v0, v6, vcc_lo
	v_cmp_gt_i32_e32 vcc_lo, 32, v10
	ds_bpermute_b32 v2, v1, v8
	ds_bpermute_b32 v3, v1, v24
	ds_bpermute_b32 v5, v1, v23
	ds_bpermute_b32 v1, v1, v22
	v_lshlrev_b32_e32 v6, 2, v6
	v_cndmask_b32_e32 v10, v0, v10, vcc_lo
	v_lshlrev_b32_e32 v10, 2, v10
	s_waitcnt lgkmcnt(3)
	v_add_f32_e32 v2, v8, v2
	s_waitcnt lgkmcnt(2)
	v_add_f32_e32 v3, v24, v3
	;; [unrolled: 2-line block ×4, first 2 shown]
	ds_bpermute_b32 v7, v6, v2
	ds_bpermute_b32 v8, v6, v3
	;; [unrolled: 1-line block ×4, first 2 shown]
	s_waitcnt lgkmcnt(3)
	v_add_f32_e32 v2, v2, v7
	s_waitcnt lgkmcnt(2)
	v_add_f32_e32 v3, v3, v8
	s_waitcnt lgkmcnt(1)
	v_add_f32_e32 v5, v5, v9
	s_waitcnt lgkmcnt(0)
	v_add_f32_e32 v1, v1, v6
	ds_bpermute_b32 v6, v10, v2
	ds_bpermute_b32 v7, v10, v3
	;; [unrolled: 1-line block ×4, first 2 shown]
	v_xor_b32_e32 v10, 2, v0
	v_cmp_gt_i32_e32 vcc_lo, 32, v10
	v_cndmask_b32_e32 v10, v0, v10, vcc_lo
	v_lshlrev_b32_e32 v10, 2, v10
	s_waitcnt lgkmcnt(3)
	v_add_f32_e32 v2, v2, v6
	s_waitcnt lgkmcnt(2)
	v_add_f32_e32 v3, v3, v7
	;; [unrolled: 2-line block ×4, first 2 shown]
	ds_bpermute_b32 v1, v10, v2
	ds_bpermute_b32 v7, v10, v3
	;; [unrolled: 1-line block ×4, first 2 shown]
	v_xor_b32_e32 v10, 1, v0
	v_cmp_gt_i32_e32 vcc_lo, 32, v10
	v_cndmask_b32_e32 v0, v0, v10, vcc_lo
	v_cmp_eq_u32_e32 vcc_lo, 31, v21
	v_lshlrev_b32_e32 v10, 2, v0
	s_waitcnt lgkmcnt(3)
	v_add_f32_e32 v0, v2, v1
	s_waitcnt lgkmcnt(2)
	v_add_f32_e32 v1, v3, v7
	s_waitcnt lgkmcnt(1)
	v_add_f32_e32 v2, v5, v8
	s_waitcnt lgkmcnt(0)
	v_add_f32_e32 v3, v6, v9
	ds_bpermute_b32 v5, v10, v0
	ds_bpermute_b32 v6, v10, v1
	;; [unrolled: 1-line block ×4, first 2 shown]
	s_and_b32 exec_lo, exec_lo, vcc_lo
	s_cbranch_execz .LBB83_10
; %bb.38:
	s_load_dwordx2 s[0:1], s[4:5], 0x50
	s_waitcnt lgkmcnt(0)
	v_add_f32_e32 v0, v0, v5
	v_add_f32_e32 v1, v1, v6
	;; [unrolled: 1-line block ×4, first 2 shown]
	v_cmp_eq_f32_e64 s4, s2, 0
	v_mul_f32_e32 v0, s16, v0
	v_mul_f32_e32 v1, s16, v1
	;; [unrolled: 1-line block ×4, first 2 shown]
	v_lshlrev_b32_e32 v4, 2, v4
	s_and_b32 vcc_lo, exec_lo, s4
	s_cbranch_vccz .LBB83_40
; %bb.39:
	v_ashrrev_i32_e32 v5, 31, v4
	s_mov_b32 s3, 0
	v_lshlrev_b64 v[5:6], 2, v[4:5]
	v_add_co_u32 v5, vcc_lo, s0, v5
	v_add_co_ci_u32_e64 v6, null, s1, v6, vcc_lo
	global_store_dwordx4 v[5:6], v[0:3], off
.LBB83_40:
	s_andn2_b32 vcc_lo, exec_lo, s3
	s_cbranch_vccnz .LBB83_10
; %bb.41:
	v_ashrrev_i32_e32 v5, 31, v4
	v_lshlrev_b64 v[4:5], 2, v[4:5]
	v_add_co_u32 v8, vcc_lo, s0, v4
	v_add_co_ci_u32_e64 v9, null, s1, v5, vcc_lo
	global_load_dwordx4 v[4:7], v[8:9], off
	s_waitcnt vmcnt(0)
	v_fmac_f32_e32 v0, s2, v4
	v_fmac_f32_e32 v1, s2, v5
	;; [unrolled: 1-line block ×4, first 2 shown]
	global_store_dwordx4 v[8:9], v[0:3], off
	s_endpgm
	.section	.rodata,"a",@progbits
	.p2align	6, 0x0
	.amdhsa_kernel _ZN9rocsparseL18bsrxmvn_4x4_kernelILj128ELj32EfliaafEEvT3_20rocsparse_direction_NS_24const_host_device_scalarIT1_EES1_PKS1_PKT2_SA_S7_PKT4_PKT5_S5_PT6_21rocsparse_index_base_b
		.amdhsa_group_segment_fixed_size 0
		.amdhsa_private_segment_fixed_size 0
		.amdhsa_kernarg_size 96
		.amdhsa_user_sgpr_count 6
		.amdhsa_user_sgpr_private_segment_buffer 1
		.amdhsa_user_sgpr_dispatch_ptr 0
		.amdhsa_user_sgpr_queue_ptr 0
		.amdhsa_user_sgpr_kernarg_segment_ptr 1
		.amdhsa_user_sgpr_dispatch_id 0
		.amdhsa_user_sgpr_flat_scratch_init 0
		.amdhsa_user_sgpr_private_segment_size 0
		.amdhsa_wavefront_size32 1
		.amdhsa_uses_dynamic_stack 0
		.amdhsa_system_sgpr_private_segment_wavefront_offset 0
		.amdhsa_system_sgpr_workgroup_id_x 1
		.amdhsa_system_sgpr_workgroup_id_y 0
		.amdhsa_system_sgpr_workgroup_id_z 0
		.amdhsa_system_sgpr_workgroup_info 0
		.amdhsa_system_vgpr_workitem_id 0
		.amdhsa_next_free_vgpr 90
		.amdhsa_next_free_sgpr 20
		.amdhsa_reserve_vcc 1
		.amdhsa_reserve_flat_scratch 0
		.amdhsa_float_round_mode_32 0
		.amdhsa_float_round_mode_16_64 0
		.amdhsa_float_denorm_mode_32 3
		.amdhsa_float_denorm_mode_16_64 3
		.amdhsa_dx10_clamp 1
		.amdhsa_ieee_mode 1
		.amdhsa_fp16_overflow 0
		.amdhsa_workgroup_processor_mode 1
		.amdhsa_memory_ordered 1
		.amdhsa_forward_progress 1
		.amdhsa_shared_vgpr_count 0
		.amdhsa_exception_fp_ieee_invalid_op 0
		.amdhsa_exception_fp_denorm_src 0
		.amdhsa_exception_fp_ieee_div_zero 0
		.amdhsa_exception_fp_ieee_overflow 0
		.amdhsa_exception_fp_ieee_underflow 0
		.amdhsa_exception_fp_ieee_inexact 0
		.amdhsa_exception_int_div_zero 0
	.end_amdhsa_kernel
	.section	.text._ZN9rocsparseL18bsrxmvn_4x4_kernelILj128ELj32EfliaafEEvT3_20rocsparse_direction_NS_24const_host_device_scalarIT1_EES1_PKS1_PKT2_SA_S7_PKT4_PKT5_S5_PT6_21rocsparse_index_base_b,"axG",@progbits,_ZN9rocsparseL18bsrxmvn_4x4_kernelILj128ELj32EfliaafEEvT3_20rocsparse_direction_NS_24const_host_device_scalarIT1_EES1_PKS1_PKT2_SA_S7_PKT4_PKT5_S5_PT6_21rocsparse_index_base_b,comdat
.Lfunc_end83:
	.size	_ZN9rocsparseL18bsrxmvn_4x4_kernelILj128ELj32EfliaafEEvT3_20rocsparse_direction_NS_24const_host_device_scalarIT1_EES1_PKS1_PKT2_SA_S7_PKT4_PKT5_S5_PT6_21rocsparse_index_base_b, .Lfunc_end83-_ZN9rocsparseL18bsrxmvn_4x4_kernelILj128ELj32EfliaafEEvT3_20rocsparse_direction_NS_24const_host_device_scalarIT1_EES1_PKS1_PKT2_SA_S7_PKT4_PKT5_S5_PT6_21rocsparse_index_base_b
                                        ; -- End function
	.set _ZN9rocsparseL18bsrxmvn_4x4_kernelILj128ELj32EfliaafEEvT3_20rocsparse_direction_NS_24const_host_device_scalarIT1_EES1_PKS1_PKT2_SA_S7_PKT4_PKT5_S5_PT6_21rocsparse_index_base_b.num_vgpr, 90
	.set _ZN9rocsparseL18bsrxmvn_4x4_kernelILj128ELj32EfliaafEEvT3_20rocsparse_direction_NS_24const_host_device_scalarIT1_EES1_PKS1_PKT2_SA_S7_PKT4_PKT5_S5_PT6_21rocsparse_index_base_b.num_agpr, 0
	.set _ZN9rocsparseL18bsrxmvn_4x4_kernelILj128ELj32EfliaafEEvT3_20rocsparse_direction_NS_24const_host_device_scalarIT1_EES1_PKS1_PKT2_SA_S7_PKT4_PKT5_S5_PT6_21rocsparse_index_base_b.numbered_sgpr, 20
	.set _ZN9rocsparseL18bsrxmvn_4x4_kernelILj128ELj32EfliaafEEvT3_20rocsparse_direction_NS_24const_host_device_scalarIT1_EES1_PKS1_PKT2_SA_S7_PKT4_PKT5_S5_PT6_21rocsparse_index_base_b.num_named_barrier, 0
	.set _ZN9rocsparseL18bsrxmvn_4x4_kernelILj128ELj32EfliaafEEvT3_20rocsparse_direction_NS_24const_host_device_scalarIT1_EES1_PKS1_PKT2_SA_S7_PKT4_PKT5_S5_PT6_21rocsparse_index_base_b.private_seg_size, 0
	.set _ZN9rocsparseL18bsrxmvn_4x4_kernelILj128ELj32EfliaafEEvT3_20rocsparse_direction_NS_24const_host_device_scalarIT1_EES1_PKS1_PKT2_SA_S7_PKT4_PKT5_S5_PT6_21rocsparse_index_base_b.uses_vcc, 1
	.set _ZN9rocsparseL18bsrxmvn_4x4_kernelILj128ELj32EfliaafEEvT3_20rocsparse_direction_NS_24const_host_device_scalarIT1_EES1_PKS1_PKT2_SA_S7_PKT4_PKT5_S5_PT6_21rocsparse_index_base_b.uses_flat_scratch, 0
	.set _ZN9rocsparseL18bsrxmvn_4x4_kernelILj128ELj32EfliaafEEvT3_20rocsparse_direction_NS_24const_host_device_scalarIT1_EES1_PKS1_PKT2_SA_S7_PKT4_PKT5_S5_PT6_21rocsparse_index_base_b.has_dyn_sized_stack, 0
	.set _ZN9rocsparseL18bsrxmvn_4x4_kernelILj128ELj32EfliaafEEvT3_20rocsparse_direction_NS_24const_host_device_scalarIT1_EES1_PKS1_PKT2_SA_S7_PKT4_PKT5_S5_PT6_21rocsparse_index_base_b.has_recursion, 0
	.set _ZN9rocsparseL18bsrxmvn_4x4_kernelILj128ELj32EfliaafEEvT3_20rocsparse_direction_NS_24const_host_device_scalarIT1_EES1_PKS1_PKT2_SA_S7_PKT4_PKT5_S5_PT6_21rocsparse_index_base_b.has_indirect_call, 0
	.section	.AMDGPU.csdata,"",@progbits
; Kernel info:
; codeLenInByte = 4984
; TotalNumSgprs: 22
; NumVgprs: 90
; ScratchSize: 0
; MemoryBound: 0
; FloatMode: 240
; IeeeMode: 1
; LDSByteSize: 0 bytes/workgroup (compile time only)
; SGPRBlocks: 0
; VGPRBlocks: 11
; NumSGPRsForWavesPerEU: 22
; NumVGPRsForWavesPerEU: 90
; Occupancy: 10
; WaveLimiterHint : 1
; COMPUTE_PGM_RSRC2:SCRATCH_EN: 0
; COMPUTE_PGM_RSRC2:USER_SGPR: 6
; COMPUTE_PGM_RSRC2:TRAP_HANDLER: 0
; COMPUTE_PGM_RSRC2:TGID_X_EN: 1
; COMPUTE_PGM_RSRC2:TGID_Y_EN: 0
; COMPUTE_PGM_RSRC2:TGID_Z_EN: 0
; COMPUTE_PGM_RSRC2:TIDIG_COMP_CNT: 0
	.section	.text._ZN9rocsparseL18bsrxmvn_4x4_kernelILj128ELj64EfliaafEEvT3_20rocsparse_direction_NS_24const_host_device_scalarIT1_EES1_PKS1_PKT2_SA_S7_PKT4_PKT5_S5_PT6_21rocsparse_index_base_b,"axG",@progbits,_ZN9rocsparseL18bsrxmvn_4x4_kernelILj128ELj64EfliaafEEvT3_20rocsparse_direction_NS_24const_host_device_scalarIT1_EES1_PKS1_PKT2_SA_S7_PKT4_PKT5_S5_PT6_21rocsparse_index_base_b,comdat
	.globl	_ZN9rocsparseL18bsrxmvn_4x4_kernelILj128ELj64EfliaafEEvT3_20rocsparse_direction_NS_24const_host_device_scalarIT1_EES1_PKS1_PKT2_SA_S7_PKT4_PKT5_S5_PT6_21rocsparse_index_base_b ; -- Begin function _ZN9rocsparseL18bsrxmvn_4x4_kernelILj128ELj64EfliaafEEvT3_20rocsparse_direction_NS_24const_host_device_scalarIT1_EES1_PKS1_PKT2_SA_S7_PKT4_PKT5_S5_PT6_21rocsparse_index_base_b
	.p2align	8
	.type	_ZN9rocsparseL18bsrxmvn_4x4_kernelILj128ELj64EfliaafEEvT3_20rocsparse_direction_NS_24const_host_device_scalarIT1_EES1_PKS1_PKT2_SA_S7_PKT4_PKT5_S5_PT6_21rocsparse_index_base_b,@function
_ZN9rocsparseL18bsrxmvn_4x4_kernelILj128ELj64EfliaafEEvT3_20rocsparse_direction_NS_24const_host_device_scalarIT1_EES1_PKS1_PKT2_SA_S7_PKT4_PKT5_S5_PT6_21rocsparse_index_base_b: ; @_ZN9rocsparseL18bsrxmvn_4x4_kernelILj128ELj64EfliaafEEvT3_20rocsparse_direction_NS_24const_host_device_scalarIT1_EES1_PKS1_PKT2_SA_S7_PKT4_PKT5_S5_PT6_21rocsparse_index_base_b
; %bb.0:
	s_clause 0x2
	s_load_dwordx2 s[18:19], s[4:5], 0x58
	s_load_dwordx2 s[16:17], s[4:5], 0x8
	;; [unrolled: 1-line block ×3, first 2 shown]
	s_waitcnt lgkmcnt(0)
	s_bitcmp1_b32 s19, 0
	s_cselect_b32 s0, -1, 0
	s_and_b32 vcc_lo, exec_lo, s0
	s_xor_b32 s0, s0, -1
	s_cbranch_vccnz .LBB84_2
; %bb.1:
	s_load_dword s16, s[16:17], 0x0
.LBB84_2:
	s_andn2_b32 vcc_lo, exec_lo, s0
	s_cbranch_vccnz .LBB84_4
; %bb.3:
	s_load_dword s2, s[2:3], 0x0
.LBB84_4:
	s_waitcnt lgkmcnt(0)
	v_cmp_neq_f32_e64 s0, s16, 0
	v_cmp_neq_f32_e64 s1, s2, 1.0
	s_mov_b32 s3, 0
	s_or_b32 s0, s0, s1
	s_andn2_b32 vcc_lo, exec_lo, s0
	s_cbranch_vccnz .LBB84_10
; %bb.5:
	s_clause 0x1
	s_load_dwordx2 s[8:9], s[4:5], 0x18
	s_load_dwordx2 s[0:1], s[4:5], 0x0
	v_lshrrev_b32_e32 v1, 6, v0
	v_lshl_or_b32 v4, s6, 1, v1
	s_waitcnt lgkmcnt(0)
	s_cmp_lg_u64 s[8:9], 0
	s_cbranch_scc0 .LBB84_11
; %bb.6:
	s_load_dword s3, s[4:5], 0x10
	s_mov_b32 s6, 0
                                        ; implicit-def: $vgpr1
	s_waitcnt lgkmcnt(0)
	v_cmp_gt_i32_e32 vcc_lo, s3, v4
	s_mov_b32 s3, 0
	s_and_saveexec_b32 s7, vcc_lo
	s_xor_b32 s7, exec_lo, s7
	s_cbranch_execz .LBB84_8
; %bb.7:
	v_ashrrev_i32_e32 v5, 31, v4
	s_mov_b32 s3, exec_lo
	v_lshlrev_b64 v[1:2], 2, v[4:5]
	v_add_co_u32 v1, vcc_lo, s8, v1
	v_add_co_ci_u32_e64 v2, null, s9, v2, vcc_lo
	global_load_dword v1, v[1:2], off
	s_waitcnt vmcnt(0)
	v_subrev_nc_u32_e32 v1, s18, v1
.LBB84_8:
	s_or_b32 exec_lo, exec_lo, s7
	s_and_b32 vcc_lo, exec_lo, s6
	s_cbranch_vccz .LBB84_12
.LBB84_9:
	v_cmp_gt_i32_e32 vcc_lo, s0, v4
	s_andn2_b32 s0, s3, exec_lo
	s_and_b32 s3, vcc_lo, exec_lo
	s_or_b32 s3, s0, s3
	s_and_saveexec_b32 s0, s3
	s_cbranch_execnz .LBB84_13
.LBB84_10:
	s_endpgm
.LBB84_11:
                                        ; implicit-def: $vgpr1
	s_cbranch_execnz .LBB84_9
.LBB84_12:
	v_mov_b32_e32 v4, v1
	s_and_saveexec_b32 s0, s3
	s_cbranch_execz .LBB84_10
.LBB84_13:
	s_load_dwordx8 s[8:15], s[4:5], 0x20
	v_ashrrev_i32_e32 v5, 31, v4
	v_and_b32_e32 v21, 63, v0
	s_load_dwordx2 s[6:7], s[4:5], 0x40
	v_mov_b32_e32 v22, 0
	v_lshlrev_b64 v[1:2], 3, v[4:5]
	s_waitcnt lgkmcnt(0)
	v_add_co_u32 v5, vcc_lo, s8, v1
	v_add_co_ci_u32_e64 v6, null, s9, v2, vcc_lo
	v_add_co_u32 v1, vcc_lo, s10, v1
	v_add_co_ci_u32_e64 v2, null, s11, v2, vcc_lo
	v_add_co_u32 v3, vcc_lo, v5, 8
	global_load_dwordx2 v[9:10], v[5:6], off
	v_add_co_ci_u32_e64 v7, null, 0, v6, vcc_lo
	s_cmp_eq_u64 s[10:11], 0
	s_cselect_b32 vcc_lo, -1, 0
	s_cmp_eq_u32 s1, 1
	v_cndmask_b32_e32 v2, v2, v7, vcc_lo
	v_cndmask_b32_e32 v1, v1, v3, vcc_lo
	global_load_dwordx2 v[2:3], v[1:2], off
	s_waitcnt vmcnt(1)
	v_sub_co_u32 v0, vcc_lo, v9, s18
	v_subrev_co_ci_u32_e64 v1, null, 0, v10, vcc_lo
	v_add_co_u32 v0, vcc_lo, v0, v21
	v_add_co_ci_u32_e64 v1, null, 0, v1, vcc_lo
	v_lshlrev_b64 v[5:6], 4, v[0:1]
	s_waitcnt vmcnt(0)
	v_sub_co_u32 v2, vcc_lo, v2, s18
	v_subrev_co_ci_u32_e64 v3, null, 0, v3, vcc_lo
	v_add_co_u32 v5, vcc_lo, s14, v5
	v_cmp_lt_i64_e64 s0, v[0:1], v[2:3]
	v_add_co_ci_u32_e64 v6, null, s15, v6, vcc_lo
	s_cbranch_scc1 .LBB84_25
; %bb.14:
	v_mov_b32_e32 v23, 0
	v_mov_b32_e32 v24, 0
	;; [unrolled: 1-line block ×3, first 2 shown]
	s_and_saveexec_b32 s1, s0
	s_cbranch_execz .LBB84_24
; %bb.15:
	v_or_b32_e32 v7, 64, v21
	v_not_b32_e32 v12, v9
	v_not_b32_e32 v11, v10
	v_sub_co_u32 v7, s3, v7, s18
	v_sub_co_ci_u32_e64 v8, null, 0, 0, s3
	v_sub_co_u32 v13, s3, s18, v21
	v_add_co_u32 v7, vcc_lo, v7, v9
	v_add_co_ci_u32_e64 v8, null, v8, v10, vcc_lo
	v_sub_co_ci_u32_e64 v14, null, 0, 0, s3
	s_mov_b32 s3, exec_lo
	v_cmp_gt_i64_e32 vcc_lo, v[7:8], v[2:3]
	v_cndmask_b32_e32 v16, v3, v8, vcc_lo
	v_cndmask_b32_e32 v7, v2, v7, vcc_lo
	v_add_co_u32 v8, vcc_lo, v13, v12
	v_add_co_ci_u32_e64 v11, null, v14, v11, vcc_lo
	v_mov_b32_e32 v14, v6
	v_add_co_u32 v15, vcc_lo, v8, v7
	v_mov_b32_e32 v8, 0
	v_add_co_ci_u32_e64 v16, null, v11, v16, vcc_lo
	v_mov_b32_e32 v12, v1
	v_and_b32_e32 v7, 0xc0, v15
	v_mov_b32_e32 v24, v8
	v_mov_b32_e32 v23, v8
	;; [unrolled: 1-line block ×5, first 2 shown]
	v_cmpx_ne_u64_e32 0xc0, v[7:8]
	s_cbranch_execz .LBB84_19
; %bb.16:
	v_lshrrev_b32_e32 v7, 6, v15
	v_mov_b32_e32 v14, v6
	v_mov_b32_e32 v12, v1
	;; [unrolled: 1-line block ×4, first 2 shown]
	v_add_nc_u32_e32 v17, 1, v7
	v_lshlrev_b64 v[7:8], 2, v[0:1]
	v_mov_b32_e32 v11, v0
	v_mov_b32_e32 v23, 0
	v_mov_b32_e32 v24, 0
	v_and_b32_e32 v19, 3, v17
	v_add_co_u32 v17, vcc_lo, s12, v7
	v_add_co_ci_u32_e64 v18, null, s13, v8, vcc_lo
	v_sub_co_u32 v19, s8, 0, v19
	v_sub_co_ci_u32_e64 v20, null, 0, 0, s8
	v_mov_b32_e32 v8, 0
	s_mov_b32 s8, 0
.LBB84_17:                              ; =>This Inner Loop Header: Depth=1
	global_load_dword v7, v[17:18], off
	s_waitcnt vmcnt(0)
	v_subrev_nc_u32_e32 v7, s18, v7
	v_lshlrev_b32_e32 v7, 2, v7
	v_ashrrev_i32_e32 v25, 31, v7
	v_add_co_u32 v29, vcc_lo, s6, v7
	v_add_co_ci_u32_e64 v30, null, s7, v25, vcc_lo
	global_load_dwordx4 v[25:28], v[13:14], off
	global_load_dword v7, v[29:30], off
	v_add_co_u32 v13, vcc_lo, 0x400, v13
	v_add_co_ci_u32_e64 v14, null, 0, v14, vcc_lo
	v_add_co_u32 v11, vcc_lo, v11, 64
	v_add_co_ci_u32_e64 v12, null, 0, v12, vcc_lo
	;; [unrolled: 2-line block ×4, first 2 shown]
	v_cmp_eq_u64_e32 vcc_lo, 0, v[19:20]
	s_or_b32 s8, vcc_lo, s8
	s_waitcnt vmcnt(1)
	v_cvt_f32_i32_sdwa v29, sext(v25) dst_sel:DWORD dst_unused:UNUSED_PAD src0_sel:BYTE_0
	v_cvt_f32_i32_sdwa v32, sext(v26) dst_sel:DWORD dst_unused:UNUSED_PAD src0_sel:BYTE_0
	;; [unrolled: 1-line block ×4, first 2 shown]
	s_waitcnt vmcnt(0)
	v_cvt_f32_i32_sdwa v41, sext(v7) dst_sel:DWORD dst_unused:UNUSED_PAD src0_sel:BYTE_0
	v_cvt_f32_i32_sdwa v30, sext(v25) dst_sel:DWORD dst_unused:UNUSED_PAD src0_sel:BYTE_1
	v_cvt_f32_i32_sdwa v33, sext(v26) dst_sel:DWORD dst_unused:UNUSED_PAD src0_sel:BYTE_1
	;; [unrolled: 1-line block ×5, first 2 shown]
	v_fmac_f32_e32 v8, v29, v41
	v_fmac_f32_e32 v24, v32, v41
	;; [unrolled: 1-line block ×4, first 2 shown]
	v_cvt_f32_i32_sdwa v31, sext(v25) dst_sel:DWORD dst_unused:UNUSED_PAD src0_sel:BYTE_2
	v_cvt_f32_i32_sdwa v34, sext(v26) dst_sel:DWORD dst_unused:UNUSED_PAD src0_sel:BYTE_2
	;; [unrolled: 1-line block ×5, first 2 shown]
	v_fmac_f32_e32 v8, v30, v42
	v_fmac_f32_e32 v24, v33, v42
	;; [unrolled: 1-line block ×4, first 2 shown]
	v_cvt_f32_i32_sdwa v25, sext(v25) dst_sel:DWORD dst_unused:UNUSED_PAD src0_sel:BYTE_3
	v_cvt_f32_i32_sdwa v26, sext(v26) dst_sel:DWORD dst_unused:UNUSED_PAD src0_sel:BYTE_3
	;; [unrolled: 1-line block ×5, first 2 shown]
	v_fmac_f32_e32 v8, v31, v29
	v_fmac_f32_e32 v24, v34, v29
	;; [unrolled: 1-line block ×8, first 2 shown]
	s_andn2_b32 exec_lo, exec_lo, s8
	s_cbranch_execnz .LBB84_17
; %bb.18:
	s_or_b32 exec_lo, exec_lo, s8
.LBB84_19:
	s_or_b32 exec_lo, exec_lo, s3
	s_mov_b32 s3, exec_lo
	v_cmpx_lt_u64_e32 0xbf, v[15:16]
	s_cbranch_execz .LBB84_23
; %bb.20:
	v_lshlrev_b64 v[15:16], 2, v[11:12]
	s_mov_b32 s8, 0
	v_add_co_u32 v7, vcc_lo, s12, v15
	v_add_co_ci_u32_e64 v16, null, s13, v16, vcc_lo
	v_add_co_u32 v15, vcc_lo, 0x200, v7
	v_add_co_ci_u32_e64 v16, null, 0, v16, vcc_lo
.LBB84_21:                              ; =>This Inner Loop Header: Depth=1
	s_clause 0x3
	global_load_dword v7, v[15:16], off offset:-512
	global_load_dword v37, v[15:16], off offset:-256
	global_load_dword v38, v[15:16], off
	global_load_dword v39, v[15:16], off offset:256
	s_clause 0x1
	global_load_dwordx4 v[17:20], v[13:14], off
	global_load_dwordx4 v[25:28], v[13:14], off offset:1024
	v_add_co_u32 v33, vcc_lo, 0x800, v13
	v_add_co_ci_u32_e64 v34, null, 0, v14, vcc_lo
	s_clause 0x1
	global_load_dwordx4 v[29:32], v[33:34], off
	global_load_dwordx4 v[33:36], v[33:34], off offset:1024
	s_waitcnt vmcnt(7)
	v_subrev_nc_u32_e32 v7, s18, v7
	s_waitcnt vmcnt(6)
	v_subrev_nc_u32_e32 v40, s18, v37
	;; [unrolled: 2-line block ×3, first 2 shown]
	s_waitcnt vmcnt(3)
	v_cvt_f32_i32_sdwa v43, sext(v18) dst_sel:DWORD dst_unused:UNUSED_PAD src0_sel:BYTE_0
	v_lshlrev_b32_e32 v7, 2, v7
	v_cvt_f32_i32_sdwa v46, sext(v19) dst_sel:DWORD dst_unused:UNUSED_PAD src0_sel:BYTE_0
	v_cvt_f32_i32_sdwa v49, sext(v20) dst_sel:DWORD dst_unused:UNUSED_PAD src0_sel:BYTE_0
	v_cvt_f32_i32_sdwa v44, sext(v18) dst_sel:DWORD dst_unused:UNUSED_PAD src0_sel:BYTE_1
	v_cvt_f32_i32_sdwa v47, sext(v19) dst_sel:DWORD dst_unused:UNUSED_PAD src0_sel:BYTE_1
	v_ashrrev_i32_e32 v38, 31, v7
	v_add_co_u32 v37, vcc_lo, s6, v7
	v_subrev_nc_u32_e32 v7, s18, v39
	v_cvt_f32_i32_sdwa v50, sext(v20) dst_sel:DWORD dst_unused:UNUSED_PAD src0_sel:BYTE_1
	v_add_co_ci_u32_e64 v38, null, s7, v38, vcc_lo
	v_cvt_f32_i32_sdwa v42, sext(v17) dst_sel:DWORD dst_unused:UNUSED_PAD src0_sel:BYTE_2
	v_lshlrev_b32_e32 v7, 2, v7
	v_cvt_f32_i32_sdwa v45, sext(v18) dst_sel:DWORD dst_unused:UNUSED_PAD src0_sel:BYTE_2
	global_load_dword v39, v[37:38], off
	v_lshlrev_b32_e32 v37, 2, v40
	v_cvt_f32_i32_sdwa v48, sext(v19) dst_sel:DWORD dst_unused:UNUSED_PAD src0_sel:BYTE_2
	v_cvt_f32_i32_sdwa v51, sext(v20) dst_sel:DWORD dst_unused:UNUSED_PAD src0_sel:BYTE_2
	v_cvt_f32_i32_sdwa v18, sext(v18) dst_sel:DWORD dst_unused:UNUSED_PAD src0_sel:BYTE_3
	v_cvt_f32_i32_sdwa v19, sext(v19) dst_sel:DWORD dst_unused:UNUSED_PAD src0_sel:BYTE_3
	v_ashrrev_i32_e32 v38, 31, v37
	v_add_co_u32 v37, vcc_lo, s6, v37
	v_cvt_f32_i32_sdwa v20, sext(v20) dst_sel:DWORD dst_unused:UNUSED_PAD src0_sel:BYTE_3
	s_waitcnt vmcnt(3)
	v_cvt_f32_i32_sdwa v52, sext(v25) dst_sel:DWORD dst_unused:UNUSED_PAD src0_sel:BYTE_0
	v_add_co_ci_u32_e64 v38, null, s7, v38, vcc_lo
	v_cvt_f32_i32_sdwa v55, sext(v26) dst_sel:DWORD dst_unused:UNUSED_PAD src0_sel:BYTE_0
	v_cvt_f32_i32_sdwa v58, sext(v27) dst_sel:DWORD dst_unused:UNUSED_PAD src0_sel:BYTE_0
	;; [unrolled: 1-line block ×3, first 2 shown]
	global_load_dword v40, v[37:38], off
	v_lshlrev_b32_e32 v37, 2, v41
	v_cvt_f32_i32_sdwa v53, sext(v25) dst_sel:DWORD dst_unused:UNUSED_PAD src0_sel:BYTE_1
	v_cvt_f32_i32_sdwa v56, sext(v26) dst_sel:DWORD dst_unused:UNUSED_PAD src0_sel:BYTE_1
	;; [unrolled: 1-line block ×4, first 2 shown]
	v_ashrrev_i32_e32 v38, 31, v37
	v_add_co_u32 v37, vcc_lo, s6, v37
	v_cvt_f32_i32_sdwa v54, sext(v25) dst_sel:DWORD dst_unused:UNUSED_PAD src0_sel:BYTE_2
	v_cvt_f32_i32_sdwa v57, sext(v26) dst_sel:DWORD dst_unused:UNUSED_PAD src0_sel:BYTE_2
	v_add_co_ci_u32_e64 v38, null, s7, v38, vcc_lo
	v_cvt_f32_i32_sdwa v60, sext(v27) dst_sel:DWORD dst_unused:UNUSED_PAD src0_sel:BYTE_2
	v_cvt_f32_i32_sdwa v63, sext(v28) dst_sel:DWORD dst_unused:UNUSED_PAD src0_sel:BYTE_2
	v_cvt_f32_i32_sdwa v25, sext(v25) dst_sel:DWORD dst_unused:UNUSED_PAD src0_sel:BYTE_3
	global_load_dword v41, v[37:38], off
	v_ashrrev_i32_e32 v38, 31, v7
	v_add_co_u32 v37, vcc_lo, s6, v7
	v_cvt_f32_i32_sdwa v26, sext(v26) dst_sel:DWORD dst_unused:UNUSED_PAD src0_sel:BYTE_3
	v_cvt_f32_i32_sdwa v27, sext(v27) dst_sel:DWORD dst_unused:UNUSED_PAD src0_sel:BYTE_3
	v_add_co_ci_u32_e64 v38, null, s7, v38, vcc_lo
	v_cvt_f32_i32_sdwa v28, sext(v28) dst_sel:DWORD dst_unused:UNUSED_PAD src0_sel:BYTE_3
	s_waitcnt vmcnt(4)
	v_cvt_f32_i32_sdwa v64, sext(v29) dst_sel:DWORD dst_unused:UNUSED_PAD src0_sel:BYTE_0
	v_cvt_f32_i32_sdwa v67, sext(v30) dst_sel:DWORD dst_unused:UNUSED_PAD src0_sel:BYTE_0
	global_load_dword v7, v[37:38], off
	v_cvt_f32_i32_sdwa v37, sext(v17) dst_sel:DWORD dst_unused:UNUSED_PAD src0_sel:BYTE_0
	v_cvt_f32_i32_sdwa v38, sext(v17) dst_sel:DWORD dst_unused:UNUSED_PAD src0_sel:BYTE_1
	v_cvt_f32_i32_sdwa v17, sext(v17) dst_sel:DWORD dst_unused:UNUSED_PAD src0_sel:BYTE_3
	v_cvt_f32_i32_sdwa v70, sext(v31) dst_sel:DWORD dst_unused:UNUSED_PAD src0_sel:BYTE_0
	v_cvt_f32_i32_sdwa v73, sext(v32) dst_sel:DWORD dst_unused:UNUSED_PAD src0_sel:BYTE_0
	v_cvt_f32_i32_sdwa v65, sext(v29) dst_sel:DWORD dst_unused:UNUSED_PAD src0_sel:BYTE_1
	v_cvt_f32_i32_sdwa v68, sext(v30) dst_sel:DWORD dst_unused:UNUSED_PAD src0_sel:BYTE_1
	;; [unrolled: 1-line block ×4, first 2 shown]
	v_cvt_f32_i32_sdwa v66, sext(v29) dst_sel:DWORD dst_unused:UNUSED_PAD src0_sel:BYTE_2
	v_cvt_f32_i32_sdwa v69, sext(v30) dst_sel:DWORD dst_unused:UNUSED_PAD src0_sel:BYTE_2
	;; [unrolled: 1-line block ×4, first 2 shown]
	v_cvt_f32_i32_sdwa v29, sext(v29) dst_sel:DWORD dst_unused:UNUSED_PAD src0_sel:BYTE_3
	v_cvt_f32_i32_sdwa v30, sext(v30) dst_sel:DWORD dst_unused:UNUSED_PAD src0_sel:BYTE_3
	;; [unrolled: 1-line block ×4, first 2 shown]
	s_waitcnt vmcnt(4)
	v_cvt_f32_i32_sdwa v76, sext(v33) dst_sel:DWORD dst_unused:UNUSED_PAD src0_sel:BYTE_0
	v_cvt_f32_i32_sdwa v79, sext(v34) dst_sel:DWORD dst_unused:UNUSED_PAD src0_sel:BYTE_0
	;; [unrolled: 1-line block ×4, first 2 shown]
	v_cvt_f32_i32_sdwa v77, sext(v33) dst_sel:DWORD dst_unused:UNUSED_PAD src0_sel:BYTE_1
	v_cvt_f32_i32_sdwa v80, sext(v34) dst_sel:DWORD dst_unused:UNUSED_PAD src0_sel:BYTE_1
	;; [unrolled: 1-line block ×4, first 2 shown]
	v_add_co_u32 v11, vcc_lo, 0x100, v11
	v_cvt_f32_i32_sdwa v78, sext(v33) dst_sel:DWORD dst_unused:UNUSED_PAD src0_sel:BYTE_2
	v_cvt_f32_i32_sdwa v81, sext(v34) dst_sel:DWORD dst_unused:UNUSED_PAD src0_sel:BYTE_2
	;; [unrolled: 1-line block ×4, first 2 shown]
	v_add_co_ci_u32_e64 v12, null, 0, v12, vcc_lo
	v_add_co_u32 v15, vcc_lo, 0x400, v15
	v_add_co_ci_u32_e64 v16, null, 0, v16, vcc_lo
	v_add_co_u32 v13, vcc_lo, 0x1000, v13
	v_cvt_f32_i32_sdwa v33, sext(v33) dst_sel:DWORD dst_unused:UNUSED_PAD src0_sel:BYTE_3
	v_cvt_f32_i32_sdwa v34, sext(v34) dst_sel:DWORD dst_unused:UNUSED_PAD src0_sel:BYTE_3
	;; [unrolled: 1-line block ×4, first 2 shown]
	v_add_co_ci_u32_e64 v14, null, 0, v14, vcc_lo
	v_cmp_ge_i64_e32 vcc_lo, v[11:12], v[2:3]
	s_or_b32 s8, vcc_lo, s8
	s_waitcnt vmcnt(3)
	v_cvt_f32_i32_sdwa v88, sext(v39) dst_sel:DWORD dst_unused:UNUSED_PAD src0_sel:BYTE_0
	v_cvt_f32_i32_sdwa v89, sext(v39) dst_sel:DWORD dst_unused:UNUSED_PAD src0_sel:BYTE_1
	v_fmac_f32_e32 v8, v37, v88
	v_fmac_f32_e32 v24, v43, v88
	v_fmac_f32_e32 v23, v46, v88
	v_fmac_f32_e32 v22, v49, v88
	v_cvt_f32_i32_sdwa v37, sext(v39) dst_sel:DWORD dst_unused:UNUSED_PAD src0_sel:BYTE_2
	v_fmac_f32_e32 v8, v38, v89
	v_fmac_f32_e32 v24, v44, v89
	v_fmac_f32_e32 v23, v47, v89
	v_fmac_f32_e32 v22, v50, v89
	v_cvt_f32_i32_sdwa v38, sext(v39) dst_sel:DWORD dst_unused:UNUSED_PAD src0_sel:BYTE_3
	v_fmac_f32_e32 v8, v42, v37
	v_fmac_f32_e32 v24, v45, v37
	v_fmac_f32_e32 v23, v48, v37
	v_fmac_f32_e32 v22, v51, v37
	s_waitcnt vmcnt(2)
	v_cvt_f32_i32_sdwa v37, sext(v40) dst_sel:DWORD dst_unused:UNUSED_PAD src0_sel:BYTE_0
	v_fmac_f32_e32 v8, v17, v38
	v_fmac_f32_e32 v24, v18, v38
	v_fmac_f32_e32 v23, v19, v38
	v_fmac_f32_e32 v22, v20, v38
	v_cvt_f32_i32_sdwa v17, sext(v40) dst_sel:DWORD dst_unused:UNUSED_PAD src0_sel:BYTE_1
	v_fmac_f32_e32 v8, v52, v37
	v_fmac_f32_e32 v24, v55, v37
	v_fmac_f32_e32 v23, v58, v37
	v_fmac_f32_e32 v22, v61, v37
	v_cvt_f32_i32_sdwa v18, sext(v40) dst_sel:DWORD dst_unused:UNUSED_PAD src0_sel:BYTE_2
	v_fmac_f32_e32 v8, v53, v17
	v_fmac_f32_e32 v24, v56, v17
	v_fmac_f32_e32 v23, v59, v17
	v_fmac_f32_e32 v22, v62, v17
	v_cvt_f32_i32_sdwa v17, sext(v40) dst_sel:DWORD dst_unused:UNUSED_PAD src0_sel:BYTE_3
	v_fmac_f32_e32 v8, v54, v18
	v_fmac_f32_e32 v24, v57, v18
	v_fmac_f32_e32 v23, v60, v18
	v_fmac_f32_e32 v22, v63, v18
	s_waitcnt vmcnt(1)
	v_cvt_f32_i32_sdwa v18, sext(v41) dst_sel:DWORD dst_unused:UNUSED_PAD src0_sel:BYTE_0
	v_fmac_f32_e32 v8, v25, v17
	v_fmac_f32_e32 v24, v26, v17
	v_fmac_f32_e32 v23, v27, v17
	v_fmac_f32_e32 v22, v28, v17
	;; [unrolled: 21-line block ×3, first 2 shown]
	v_cvt_f32_i32_sdwa v17, sext(v7) dst_sel:DWORD dst_unused:UNUSED_PAD src0_sel:BYTE_1
	v_fmac_f32_e32 v8, v76, v18
	v_fmac_f32_e32 v24, v79, v18
	;; [unrolled: 1-line block ×4, first 2 shown]
	v_cvt_f32_i32_sdwa v18, sext(v7) dst_sel:DWORD dst_unused:UNUSED_PAD src0_sel:BYTE_2
	v_fmac_f32_e32 v8, v77, v17
	v_fmac_f32_e32 v24, v80, v17
	;; [unrolled: 1-line block ×4, first 2 shown]
	v_cvt_f32_i32_sdwa v7, sext(v7) dst_sel:DWORD dst_unused:UNUSED_PAD src0_sel:BYTE_3
	v_fmac_f32_e32 v8, v78, v18
	v_fmac_f32_e32 v24, v81, v18
	;; [unrolled: 1-line block ×8, first 2 shown]
	s_andn2_b32 exec_lo, exec_lo, s8
	s_cbranch_execnz .LBB84_21
; %bb.22:
	s_or_b32 exec_lo, exec_lo, s8
.LBB84_23:
	s_or_b32 exec_lo, exec_lo, s3
.LBB84_24:
	s_or_b32 exec_lo, exec_lo, s1
	s_cbranch_execz .LBB84_26
	s_branch .LBB84_37
.LBB84_25:
                                        ; implicit-def: $vgpr22
                                        ; implicit-def: $vgpr23
                                        ; implicit-def: $vgpr24
                                        ; implicit-def: $vgpr8
.LBB84_26:
	v_mov_b32_e32 v22, 0
	v_mov_b32_e32 v23, 0
	;; [unrolled: 1-line block ×4, first 2 shown]
	s_and_saveexec_b32 s1, s0
	s_cbranch_execz .LBB84_36
; %bb.27:
	v_or_b32_e32 v7, 64, v21
	v_sub_co_u32 v7, s0, v7, s18
	v_sub_co_ci_u32_e64 v8, null, 0, 0, s0
	v_sub_co_u32 v11, s0, s18, v21
	v_add_co_u32 v7, vcc_lo, v7, v9
	v_add_co_ci_u32_e64 v8, null, v8, v10, vcc_lo
	v_not_b32_e32 v9, v9
	v_not_b32_e32 v10, v10
	v_sub_co_ci_u32_e64 v12, null, 0, 0, s0
	v_cmp_gt_i64_e32 vcc_lo, v[7:8], v[2:3]
	s_mov_b32 s0, exec_lo
	v_cndmask_b32_e32 v13, v3, v8, vcc_lo
	v_cndmask_b32_e32 v7, v2, v7, vcc_lo
	v_add_co_u32 v8, vcc_lo, v11, v9
	v_add_co_ci_u32_e64 v10, null, v12, v10, vcc_lo
	v_add_co_u32 v9, vcc_lo, v8, v7
	v_mov_b32_e32 v8, 0
	v_add_co_ci_u32_e64 v10, null, v10, v13, vcc_lo
	v_and_b32_e32 v7, 0xc0, v9
	v_mov_b32_e32 v24, v8
	v_mov_b32_e32 v23, v8
	;; [unrolled: 1-line block ×3, first 2 shown]
	v_cmpx_ne_u64_e32 0xc0, v[7:8]
	s_cbranch_execz .LBB84_31
; %bb.28:
	v_lshrrev_b32_e32 v7, 6, v9
	v_mov_b32_e32 v22, 0
	v_mov_b32_e32 v23, 0
	;; [unrolled: 1-line block ×3, first 2 shown]
	v_add_nc_u32_e32 v11, 1, v7
	v_lshlrev_b64 v[7:8], 2, v[0:1]
	v_and_b32_e32 v13, 3, v11
	v_add_co_u32 v11, vcc_lo, s12, v7
	v_add_co_ci_u32_e64 v12, null, s13, v8, vcc_lo
	v_sub_co_u32 v13, s3, 0, v13
	v_sub_co_ci_u32_e64 v14, null, 0, 0, s3
	v_mov_b32_e32 v8, 0
	s_mov_b32 s3, 0
.LBB84_29:                              ; =>This Inner Loop Header: Depth=1
	global_load_dword v7, v[11:12], off
	s_waitcnt vmcnt(0)
	v_subrev_nc_u32_e32 v7, s18, v7
	v_lshlrev_b32_e32 v7, 2, v7
	v_ashrrev_i32_e32 v15, 31, v7
	v_add_co_u32 v19, vcc_lo, s6, v7
	v_add_co_ci_u32_e64 v20, null, s7, v15, vcc_lo
	global_load_dwordx4 v[15:18], v[5:6], off
	global_load_dword v7, v[19:20], off
	v_add_co_u32 v5, vcc_lo, 0x400, v5
	v_add_co_ci_u32_e64 v6, null, 0, v6, vcc_lo
	v_add_co_u32 v0, vcc_lo, v0, 64
	v_add_co_ci_u32_e64 v1, null, 0, v1, vcc_lo
	;; [unrolled: 2-line block ×4, first 2 shown]
	v_cmp_eq_u64_e32 vcc_lo, 0, v[13:14]
	s_or_b32 s3, vcc_lo, s3
	s_waitcnt vmcnt(1)
	v_cvt_f32_i32_sdwa v19, sext(v15) dst_sel:DWORD dst_unused:UNUSED_PAD src0_sel:BYTE_0
	v_cvt_f32_i32_sdwa v20, sext(v15) dst_sel:DWORD dst_unused:UNUSED_PAD src0_sel:BYTE_1
	v_cvt_f32_i32_sdwa v25, sext(v15) dst_sel:DWORD dst_unused:UNUSED_PAD src0_sel:BYTE_2
	v_cvt_f32_i32_sdwa v15, sext(v15) dst_sel:DWORD dst_unused:UNUSED_PAD src0_sel:BYTE_3
	s_waitcnt vmcnt(0)
	v_cvt_f32_i32_sdwa v35, sext(v7) dst_sel:DWORD dst_unused:UNUSED_PAD src0_sel:BYTE_0
	v_cvt_f32_i32_sdwa v26, sext(v16) dst_sel:DWORD dst_unused:UNUSED_PAD src0_sel:BYTE_0
	v_cvt_f32_i32_sdwa v27, sext(v16) dst_sel:DWORD dst_unused:UNUSED_PAD src0_sel:BYTE_1
	v_cvt_f32_i32_sdwa v28, sext(v16) dst_sel:DWORD dst_unused:UNUSED_PAD src0_sel:BYTE_2
	v_cvt_f32_i32_sdwa v16, sext(v16) dst_sel:DWORD dst_unused:UNUSED_PAD src0_sel:BYTE_3
	v_cvt_f32_i32_sdwa v36, sext(v7) dst_sel:DWORD dst_unused:UNUSED_PAD src0_sel:BYTE_1
	v_fmac_f32_e32 v8, v19, v35
	v_fmac_f32_e32 v24, v20, v35
	;; [unrolled: 1-line block ×4, first 2 shown]
	v_cvt_f32_i32_sdwa v29, sext(v17) dst_sel:DWORD dst_unused:UNUSED_PAD src0_sel:BYTE_0
	v_cvt_f32_i32_sdwa v30, sext(v17) dst_sel:DWORD dst_unused:UNUSED_PAD src0_sel:BYTE_1
	v_cvt_f32_i32_sdwa v31, sext(v17) dst_sel:DWORD dst_unused:UNUSED_PAD src0_sel:BYTE_2
	v_cvt_f32_i32_sdwa v17, sext(v17) dst_sel:DWORD dst_unused:UNUSED_PAD src0_sel:BYTE_3
	v_cvt_f32_i32_sdwa v15, sext(v7) dst_sel:DWORD dst_unused:UNUSED_PAD src0_sel:BYTE_2
	v_fmac_f32_e32 v8, v26, v36
	v_fmac_f32_e32 v24, v27, v36
	v_fmac_f32_e32 v23, v28, v36
	v_fmac_f32_e32 v22, v16, v36
	v_cvt_f32_i32_sdwa v32, sext(v18) dst_sel:DWORD dst_unused:UNUSED_PAD src0_sel:BYTE_0
	v_cvt_f32_i32_sdwa v33, sext(v18) dst_sel:DWORD dst_unused:UNUSED_PAD src0_sel:BYTE_1
	v_cvt_f32_i32_sdwa v34, sext(v18) dst_sel:DWORD dst_unused:UNUSED_PAD src0_sel:BYTE_2
	v_cvt_f32_i32_sdwa v18, sext(v18) dst_sel:DWORD dst_unused:UNUSED_PAD src0_sel:BYTE_3
	v_cvt_f32_i32_sdwa v7, sext(v7) dst_sel:DWORD dst_unused:UNUSED_PAD src0_sel:BYTE_3
	v_fmac_f32_e32 v8, v29, v15
	v_fmac_f32_e32 v24, v30, v15
	;; [unrolled: 1-line block ×8, first 2 shown]
	s_andn2_b32 exec_lo, exec_lo, s3
	s_cbranch_execnz .LBB84_29
; %bb.30:
	s_or_b32 exec_lo, exec_lo, s3
.LBB84_31:
	s_or_b32 exec_lo, exec_lo, s0
	s_mov_b32 s0, exec_lo
	v_cmpx_lt_u64_e32 0xbf, v[9:10]
	s_cbranch_execz .LBB84_35
; %bb.32:
	v_lshlrev_b64 v[9:10], 2, v[0:1]
	s_mov_b32 s3, 0
	v_add_co_u32 v7, vcc_lo, s12, v9
	v_add_co_ci_u32_e64 v10, null, s13, v10, vcc_lo
	v_add_co_u32 v9, vcc_lo, 0x200, v7
	v_add_co_ci_u32_e64 v10, null, 0, v10, vcc_lo
.LBB84_33:                              ; =>This Inner Loop Header: Depth=1
	s_clause 0x3
	global_load_dword v7, v[9:10], off offset:-512
	global_load_dword v33, v[9:10], off offset:-256
	global_load_dword v34, v[9:10], off
	global_load_dword v35, v[9:10], off offset:256
	s_clause 0x1
	global_load_dwordx4 v[11:14], v[5:6], off
	global_load_dwordx4 v[15:18], v[5:6], off offset:1024
	v_add_co_u32 v19, vcc_lo, 0x800, v5
	v_add_co_ci_u32_e64 v20, null, 0, v6, vcc_lo
	s_clause 0x1
	global_load_dwordx4 v[25:28], v[19:20], off
	global_load_dwordx4 v[29:32], v[19:20], off offset:1024
	s_waitcnt vmcnt(7)
	v_subrev_nc_u32_e32 v7, s18, v7
	s_waitcnt vmcnt(6)
	v_subrev_nc_u32_e32 v33, s18, v33
	;; [unrolled: 2-line block ×3, first 2 shown]
	s_waitcnt vmcnt(3)
	v_cvt_f32_i32_sdwa v36, sext(v11) dst_sel:DWORD dst_unused:UNUSED_PAD src0_sel:BYTE_2
	v_lshlrev_b32_e32 v7, 2, v7
	v_cvt_f32_i32_sdwa v37, sext(v12) dst_sel:DWORD dst_unused:UNUSED_PAD src0_sel:BYTE_0
	v_cvt_f32_i32_sdwa v38, sext(v12) dst_sel:DWORD dst_unused:UNUSED_PAD src0_sel:BYTE_1
	v_cvt_f32_i32_sdwa v39, sext(v12) dst_sel:DWORD dst_unused:UNUSED_PAD src0_sel:BYTE_2
	v_cvt_f32_i32_sdwa v12, sext(v12) dst_sel:DWORD dst_unused:UNUSED_PAD src0_sel:BYTE_3
	v_ashrrev_i32_e32 v20, 31, v7
	v_add_co_u32 v19, vcc_lo, s6, v7
	v_subrev_nc_u32_e32 v7, s18, v35
	v_cvt_f32_i32_sdwa v40, sext(v13) dst_sel:DWORD dst_unused:UNUSED_PAD src0_sel:BYTE_0
	v_add_co_ci_u32_e64 v20, null, s7, v20, vcc_lo
	v_cvt_f32_i32_sdwa v41, sext(v13) dst_sel:DWORD dst_unused:UNUSED_PAD src0_sel:BYTE_1
	v_lshlrev_b32_e32 v7, 2, v7
	v_cvt_f32_i32_sdwa v42, sext(v13) dst_sel:DWORD dst_unused:UNUSED_PAD src0_sel:BYTE_2
	global_load_dword v35, v[19:20], off
	v_lshlrev_b32_e32 v19, 2, v33
	v_cvt_f32_i32_sdwa v13, sext(v13) dst_sel:DWORD dst_unused:UNUSED_PAD src0_sel:BYTE_3
	v_cvt_f32_i32_sdwa v43, sext(v14) dst_sel:DWORD dst_unused:UNUSED_PAD src0_sel:BYTE_0
	v_cvt_f32_i32_sdwa v44, sext(v14) dst_sel:DWORD dst_unused:UNUSED_PAD src0_sel:BYTE_1
	v_cvt_f32_i32_sdwa v45, sext(v14) dst_sel:DWORD dst_unused:UNUSED_PAD src0_sel:BYTE_2
	v_ashrrev_i32_e32 v20, 31, v19
	v_add_co_u32 v19, vcc_lo, s6, v19
	v_cvt_f32_i32_sdwa v14, sext(v14) dst_sel:DWORD dst_unused:UNUSED_PAD src0_sel:BYTE_3
	s_waitcnt vmcnt(3)
	v_cvt_f32_i32_sdwa v46, sext(v15) dst_sel:DWORD dst_unused:UNUSED_PAD src0_sel:BYTE_0
	v_add_co_ci_u32_e64 v20, null, s7, v20, vcc_lo
	v_cvt_f32_i32_sdwa v47, sext(v15) dst_sel:DWORD dst_unused:UNUSED_PAD src0_sel:BYTE_1
	v_cvt_f32_i32_sdwa v48, sext(v15) dst_sel:DWORD dst_unused:UNUSED_PAD src0_sel:BYTE_2
	v_cvt_f32_i32_sdwa v15, sext(v15) dst_sel:DWORD dst_unused:UNUSED_PAD src0_sel:BYTE_3
	global_load_dword v33, v[19:20], off
	v_lshlrev_b32_e32 v19, 2, v34
	v_cvt_f32_i32_sdwa v49, sext(v16) dst_sel:DWORD dst_unused:UNUSED_PAD src0_sel:BYTE_0
	v_cvt_f32_i32_sdwa v50, sext(v16) dst_sel:DWORD dst_unused:UNUSED_PAD src0_sel:BYTE_1
	v_cvt_f32_i32_sdwa v51, sext(v16) dst_sel:DWORD dst_unused:UNUSED_PAD src0_sel:BYTE_2
	v_cvt_f32_i32_sdwa v16, sext(v16) dst_sel:DWORD dst_unused:UNUSED_PAD src0_sel:BYTE_3
	v_ashrrev_i32_e32 v20, 31, v19
	v_add_co_u32 v19, vcc_lo, s6, v19
	v_cvt_f32_i32_sdwa v52, sext(v17) dst_sel:DWORD dst_unused:UNUSED_PAD src0_sel:BYTE_0
	v_cvt_f32_i32_sdwa v53, sext(v17) dst_sel:DWORD dst_unused:UNUSED_PAD src0_sel:BYTE_1
	v_add_co_ci_u32_e64 v20, null, s7, v20, vcc_lo
	v_cvt_f32_i32_sdwa v54, sext(v17) dst_sel:DWORD dst_unused:UNUSED_PAD src0_sel:BYTE_2
	v_cvt_f32_i32_sdwa v17, sext(v17) dst_sel:DWORD dst_unused:UNUSED_PAD src0_sel:BYTE_3
	v_cvt_f32_i32_sdwa v55, sext(v18) dst_sel:DWORD dst_unused:UNUSED_PAD src0_sel:BYTE_0
	global_load_dword v34, v[19:20], off
	v_ashrrev_i32_e32 v20, 31, v7
	v_add_co_u32 v19, vcc_lo, s6, v7
	v_cvt_f32_i32_sdwa v56, sext(v18) dst_sel:DWORD dst_unused:UNUSED_PAD src0_sel:BYTE_1
	v_cvt_f32_i32_sdwa v57, sext(v18) dst_sel:DWORD dst_unused:UNUSED_PAD src0_sel:BYTE_2
	v_add_co_ci_u32_e64 v20, null, s7, v20, vcc_lo
	v_cvt_f32_i32_sdwa v18, sext(v18) dst_sel:DWORD dst_unused:UNUSED_PAD src0_sel:BYTE_3
	s_waitcnt vmcnt(4)
	v_cvt_f32_i32_sdwa v58, sext(v25) dst_sel:DWORD dst_unused:UNUSED_PAD src0_sel:BYTE_0
	v_cvt_f32_i32_sdwa v59, sext(v25) dst_sel:DWORD dst_unused:UNUSED_PAD src0_sel:BYTE_1
	global_load_dword v7, v[19:20], off
	v_cvt_f32_i32_sdwa v19, sext(v11) dst_sel:DWORD dst_unused:UNUSED_PAD src0_sel:BYTE_0
	v_cvt_f32_i32_sdwa v20, sext(v11) dst_sel:DWORD dst_unused:UNUSED_PAD src0_sel:BYTE_1
	v_cvt_f32_i32_sdwa v11, sext(v11) dst_sel:DWORD dst_unused:UNUSED_PAD src0_sel:BYTE_3
	v_cvt_f32_i32_sdwa v60, sext(v25) dst_sel:DWORD dst_unused:UNUSED_PAD src0_sel:BYTE_2
	v_cvt_f32_i32_sdwa v25, sext(v25) dst_sel:DWORD dst_unused:UNUSED_PAD src0_sel:BYTE_3
	v_cvt_f32_i32_sdwa v61, sext(v26) dst_sel:DWORD dst_unused:UNUSED_PAD src0_sel:BYTE_0
	v_cvt_f32_i32_sdwa v62, sext(v26) dst_sel:DWORD dst_unused:UNUSED_PAD src0_sel:BYTE_1
	v_cvt_f32_i32_sdwa v63, sext(v26) dst_sel:DWORD dst_unused:UNUSED_PAD src0_sel:BYTE_2
	v_cvt_f32_i32_sdwa v26, sext(v26) dst_sel:DWORD dst_unused:UNUSED_PAD src0_sel:BYTE_3
	v_cvt_f32_i32_sdwa v64, sext(v27) dst_sel:DWORD dst_unused:UNUSED_PAD src0_sel:BYTE_0
	v_cvt_f32_i32_sdwa v65, sext(v27) dst_sel:DWORD dst_unused:UNUSED_PAD src0_sel:BYTE_1
	;; [unrolled: 4-line block ×3, first 2 shown]
	v_cvt_f32_i32_sdwa v69, sext(v28) dst_sel:DWORD dst_unused:UNUSED_PAD src0_sel:BYTE_2
	v_cvt_f32_i32_sdwa v28, sext(v28) dst_sel:DWORD dst_unused:UNUSED_PAD src0_sel:BYTE_3
	s_waitcnt vmcnt(4)
	v_cvt_f32_i32_sdwa v70, sext(v29) dst_sel:DWORD dst_unused:UNUSED_PAD src0_sel:BYTE_0
	v_cvt_f32_i32_sdwa v71, sext(v29) dst_sel:DWORD dst_unused:UNUSED_PAD src0_sel:BYTE_1
	v_cvt_f32_i32_sdwa v72, sext(v29) dst_sel:DWORD dst_unused:UNUSED_PAD src0_sel:BYTE_2
	v_cvt_f32_i32_sdwa v29, sext(v29) dst_sel:DWORD dst_unused:UNUSED_PAD src0_sel:BYTE_3
	v_cvt_f32_i32_sdwa v73, sext(v30) dst_sel:DWORD dst_unused:UNUSED_PAD src0_sel:BYTE_0
	v_cvt_f32_i32_sdwa v74, sext(v30) dst_sel:DWORD dst_unused:UNUSED_PAD src0_sel:BYTE_1
	v_cvt_f32_i32_sdwa v75, sext(v30) dst_sel:DWORD dst_unused:UNUSED_PAD src0_sel:BYTE_2
	v_cvt_f32_i32_sdwa v30, sext(v30) dst_sel:DWORD dst_unused:UNUSED_PAD src0_sel:BYTE_3
	v_add_co_u32 v0, vcc_lo, 0x100, v0
	v_cvt_f32_i32_sdwa v76, sext(v31) dst_sel:DWORD dst_unused:UNUSED_PAD src0_sel:BYTE_0
	v_cvt_f32_i32_sdwa v77, sext(v31) dst_sel:DWORD dst_unused:UNUSED_PAD src0_sel:BYTE_1
	v_cvt_f32_i32_sdwa v78, sext(v31) dst_sel:DWORD dst_unused:UNUSED_PAD src0_sel:BYTE_2
	v_cvt_f32_i32_sdwa v31, sext(v31) dst_sel:DWORD dst_unused:UNUSED_PAD src0_sel:BYTE_3
	v_add_co_ci_u32_e64 v1, null, 0, v1, vcc_lo
	v_add_co_u32 v9, vcc_lo, 0x400, v9
	v_add_co_ci_u32_e64 v10, null, 0, v10, vcc_lo
	v_add_co_u32 v5, vcc_lo, 0x1000, v5
	v_cvt_f32_i32_sdwa v79, sext(v32) dst_sel:DWORD dst_unused:UNUSED_PAD src0_sel:BYTE_0
	v_cvt_f32_i32_sdwa v80, sext(v32) dst_sel:DWORD dst_unused:UNUSED_PAD src0_sel:BYTE_1
	v_cvt_f32_i32_sdwa v81, sext(v32) dst_sel:DWORD dst_unused:UNUSED_PAD src0_sel:BYTE_2
	v_cvt_f32_i32_sdwa v32, sext(v32) dst_sel:DWORD dst_unused:UNUSED_PAD src0_sel:BYTE_3
	v_add_co_ci_u32_e64 v6, null, 0, v6, vcc_lo
	v_cmp_ge_i64_e32 vcc_lo, v[0:1], v[2:3]
	s_or_b32 s3, vcc_lo, s3
	s_waitcnt vmcnt(3)
	v_cvt_f32_i32_sdwa v82, sext(v35) dst_sel:DWORD dst_unused:UNUSED_PAD src0_sel:BYTE_0
	v_cvt_f32_i32_sdwa v83, sext(v35) dst_sel:DWORD dst_unused:UNUSED_PAD src0_sel:BYTE_1
	v_fmac_f32_e32 v8, v19, v82
	v_fmac_f32_e32 v24, v20, v82
	v_fmac_f32_e32 v23, v36, v82
	v_fmac_f32_e32 v22, v11, v82
	v_cvt_f32_i32_sdwa v11, sext(v35) dst_sel:DWORD dst_unused:UNUSED_PAD src0_sel:BYTE_2
	v_fmac_f32_e32 v8, v37, v83
	v_fmac_f32_e32 v24, v38, v83
	v_fmac_f32_e32 v23, v39, v83
	v_fmac_f32_e32 v22, v12, v83
	v_cvt_f32_i32_sdwa v12, sext(v35) dst_sel:DWORD dst_unused:UNUSED_PAD src0_sel:BYTE_3
	v_fmac_f32_e32 v8, v40, v11
	v_fmac_f32_e32 v24, v41, v11
	v_fmac_f32_e32 v23, v42, v11
	v_fmac_f32_e32 v22, v13, v11
	s_waitcnt vmcnt(2)
	v_cvt_f32_i32_sdwa v11, sext(v33) dst_sel:DWORD dst_unused:UNUSED_PAD src0_sel:BYTE_0
	v_fmac_f32_e32 v8, v43, v12
	v_fmac_f32_e32 v24, v44, v12
	v_fmac_f32_e32 v23, v45, v12
	v_fmac_f32_e32 v22, v14, v12
	v_cvt_f32_i32_sdwa v12, sext(v33) dst_sel:DWORD dst_unused:UNUSED_PAD src0_sel:BYTE_1
	v_fmac_f32_e32 v8, v46, v11
	v_fmac_f32_e32 v24, v47, v11
	v_fmac_f32_e32 v23, v48, v11
	v_fmac_f32_e32 v22, v15, v11
	v_cvt_f32_i32_sdwa v11, sext(v33) dst_sel:DWORD dst_unused:UNUSED_PAD src0_sel:BYTE_2
	v_fmac_f32_e32 v8, v49, v12
	v_fmac_f32_e32 v24, v50, v12
	v_fmac_f32_e32 v23, v51, v12
	v_fmac_f32_e32 v22, v16, v12
	v_cvt_f32_i32_sdwa v12, sext(v33) dst_sel:DWORD dst_unused:UNUSED_PAD src0_sel:BYTE_3
	v_fmac_f32_e32 v8, v52, v11
	v_fmac_f32_e32 v24, v53, v11
	v_fmac_f32_e32 v23, v54, v11
	v_fmac_f32_e32 v22, v17, v11
	s_waitcnt vmcnt(1)
	v_cvt_f32_i32_sdwa v11, sext(v34) dst_sel:DWORD dst_unused:UNUSED_PAD src0_sel:BYTE_0
	v_fmac_f32_e32 v8, v55, v12
	v_fmac_f32_e32 v24, v56, v12
	v_fmac_f32_e32 v23, v57, v12
	v_fmac_f32_e32 v22, v18, v12
	v_cvt_f32_i32_sdwa v12, sext(v34) dst_sel:DWORD dst_unused:UNUSED_PAD src0_sel:BYTE_1
	v_fmac_f32_e32 v8, v58, v11
	v_fmac_f32_e32 v24, v59, v11
	v_fmac_f32_e32 v23, v60, v11
	v_fmac_f32_e32 v22, v25, v11
	v_cvt_f32_i32_sdwa v11, sext(v34) dst_sel:DWORD dst_unused:UNUSED_PAD src0_sel:BYTE_2
	v_fmac_f32_e32 v8, v61, v12
	v_fmac_f32_e32 v24, v62, v12
	v_fmac_f32_e32 v23, v63, v12
	v_fmac_f32_e32 v22, v26, v12
	v_cvt_f32_i32_sdwa v12, sext(v34) dst_sel:DWORD dst_unused:UNUSED_PAD src0_sel:BYTE_3
	v_fmac_f32_e32 v8, v64, v11
	v_fmac_f32_e32 v24, v65, v11
	v_fmac_f32_e32 v23, v66, v11
	v_fmac_f32_e32 v22, v27, v11
	s_waitcnt vmcnt(0)
	v_cvt_f32_i32_sdwa v11, sext(v7) dst_sel:DWORD dst_unused:UNUSED_PAD src0_sel:BYTE_0
	v_fmac_f32_e32 v8, v67, v12
	v_fmac_f32_e32 v24, v68, v12
	v_fmac_f32_e32 v23, v69, v12
	v_fmac_f32_e32 v22, v28, v12
	v_cvt_f32_i32_sdwa v12, sext(v7) dst_sel:DWORD dst_unused:UNUSED_PAD src0_sel:BYTE_1
	v_fmac_f32_e32 v8, v70, v11
	v_fmac_f32_e32 v24, v71, v11
	;; [unrolled: 1-line block ×4, first 2 shown]
	v_cvt_f32_i32_sdwa v11, sext(v7) dst_sel:DWORD dst_unused:UNUSED_PAD src0_sel:BYTE_2
	v_fmac_f32_e32 v8, v73, v12
	v_fmac_f32_e32 v24, v74, v12
	v_fmac_f32_e32 v23, v75, v12
	v_fmac_f32_e32 v22, v30, v12
	v_cvt_f32_i32_sdwa v7, sext(v7) dst_sel:DWORD dst_unused:UNUSED_PAD src0_sel:BYTE_3
	v_fmac_f32_e32 v8, v76, v11
	v_fmac_f32_e32 v24, v77, v11
	;; [unrolled: 1-line block ×8, first 2 shown]
	s_andn2_b32 exec_lo, exec_lo, s3
	s_cbranch_execnz .LBB84_33
; %bb.34:
	s_or_b32 exec_lo, exec_lo, s3
.LBB84_35:
	s_or_b32 exec_lo, exec_lo, s0
.LBB84_36:
	s_or_b32 exec_lo, exec_lo, s1
.LBB84_37:
	v_mbcnt_lo_u32_b32 v0, -1, 0
	s_mov_b32 s3, -1
	v_or_b32_e32 v1, 32, v0
	v_xor_b32_e32 v6, 16, v0
	v_xor_b32_e32 v10, 8, v0
	v_cmp_gt_i32_e32 vcc_lo, 32, v1
	v_cndmask_b32_e32 v1, v0, v1, vcc_lo
	v_cmp_gt_i32_e32 vcc_lo, 32, v6
	v_lshlrev_b32_e32 v1, 2, v1
	v_cndmask_b32_e32 v6, v0, v6, vcc_lo
	v_cmp_gt_i32_e32 vcc_lo, 32, v10
	ds_bpermute_b32 v2, v1, v8
	ds_bpermute_b32 v3, v1, v24
	;; [unrolled: 1-line block ×4, first 2 shown]
	v_lshlrev_b32_e32 v6, 2, v6
	v_cndmask_b32_e32 v10, v0, v10, vcc_lo
	v_lshlrev_b32_e32 v10, 2, v10
	s_waitcnt lgkmcnt(3)
	v_add_f32_e32 v2, v8, v2
	s_waitcnt lgkmcnt(2)
	v_add_f32_e32 v3, v24, v3
	;; [unrolled: 2-line block ×4, first 2 shown]
	ds_bpermute_b32 v7, v6, v2
	ds_bpermute_b32 v8, v6, v3
	;; [unrolled: 1-line block ×4, first 2 shown]
	s_waitcnt lgkmcnt(3)
	v_add_f32_e32 v2, v2, v7
	s_waitcnt lgkmcnt(2)
	v_add_f32_e32 v3, v3, v8
	;; [unrolled: 2-line block ×4, first 2 shown]
	ds_bpermute_b32 v6, v10, v2
	ds_bpermute_b32 v7, v10, v3
	;; [unrolled: 1-line block ×4, first 2 shown]
	v_xor_b32_e32 v10, 4, v0
	v_cmp_gt_i32_e32 vcc_lo, 32, v10
	v_cndmask_b32_e32 v10, v0, v10, vcc_lo
	v_lshlrev_b32_e32 v10, 2, v10
	s_waitcnt lgkmcnt(3)
	v_add_f32_e32 v2, v2, v6
	s_waitcnt lgkmcnt(2)
	v_add_f32_e32 v3, v3, v7
	s_waitcnt lgkmcnt(1)
	v_add_f32_e32 v5, v5, v8
	s_waitcnt lgkmcnt(0)
	v_add_f32_e32 v1, v1, v9
	ds_bpermute_b32 v6, v10, v2
	ds_bpermute_b32 v7, v10, v3
	;; [unrolled: 1-line block ×4, first 2 shown]
	v_xor_b32_e32 v10, 2, v0
	v_cmp_gt_i32_e32 vcc_lo, 32, v10
	v_cndmask_b32_e32 v10, v0, v10, vcc_lo
	v_lshlrev_b32_e32 v10, 2, v10
	s_waitcnt lgkmcnt(3)
	v_add_f32_e32 v2, v2, v6
	s_waitcnt lgkmcnt(2)
	v_add_f32_e32 v3, v3, v7
	;; [unrolled: 2-line block ×4, first 2 shown]
	ds_bpermute_b32 v1, v10, v2
	ds_bpermute_b32 v7, v10, v3
	;; [unrolled: 1-line block ×4, first 2 shown]
	v_xor_b32_e32 v10, 1, v0
	v_cmp_gt_i32_e32 vcc_lo, 32, v10
	v_cndmask_b32_e32 v0, v0, v10, vcc_lo
	v_cmp_eq_u32_e32 vcc_lo, 63, v21
	v_lshlrev_b32_e32 v10, 2, v0
	s_waitcnt lgkmcnt(3)
	v_add_f32_e32 v0, v2, v1
	s_waitcnt lgkmcnt(2)
	v_add_f32_e32 v1, v3, v7
	;; [unrolled: 2-line block ×4, first 2 shown]
	ds_bpermute_b32 v5, v10, v0
	ds_bpermute_b32 v6, v10, v1
	;; [unrolled: 1-line block ×4, first 2 shown]
	s_and_b32 exec_lo, exec_lo, vcc_lo
	s_cbranch_execz .LBB84_10
; %bb.38:
	s_load_dwordx2 s[0:1], s[4:5], 0x50
	s_waitcnt lgkmcnt(0)
	v_add_f32_e32 v0, v0, v5
	v_add_f32_e32 v1, v1, v6
	;; [unrolled: 1-line block ×4, first 2 shown]
	v_cmp_eq_f32_e64 s4, s2, 0
	v_mul_f32_e32 v0, s16, v0
	v_mul_f32_e32 v1, s16, v1
	;; [unrolled: 1-line block ×4, first 2 shown]
	v_lshlrev_b32_e32 v4, 2, v4
	s_and_b32 vcc_lo, exec_lo, s4
	s_cbranch_vccz .LBB84_40
; %bb.39:
	v_ashrrev_i32_e32 v5, 31, v4
	s_mov_b32 s3, 0
	v_lshlrev_b64 v[5:6], 2, v[4:5]
	v_add_co_u32 v5, vcc_lo, s0, v5
	v_add_co_ci_u32_e64 v6, null, s1, v6, vcc_lo
	global_store_dwordx4 v[5:6], v[0:3], off
.LBB84_40:
	s_andn2_b32 vcc_lo, exec_lo, s3
	s_cbranch_vccnz .LBB84_10
; %bb.41:
	v_ashrrev_i32_e32 v5, 31, v4
	v_lshlrev_b64 v[4:5], 2, v[4:5]
	v_add_co_u32 v8, vcc_lo, s0, v4
	v_add_co_ci_u32_e64 v9, null, s1, v5, vcc_lo
	global_load_dwordx4 v[4:7], v[8:9], off
	s_waitcnt vmcnt(0)
	v_fmac_f32_e32 v0, s2, v4
	v_fmac_f32_e32 v1, s2, v5
	;; [unrolled: 1-line block ×4, first 2 shown]
	global_store_dwordx4 v[8:9], v[0:3], off
	s_endpgm
	.section	.rodata,"a",@progbits
	.p2align	6, 0x0
	.amdhsa_kernel _ZN9rocsparseL18bsrxmvn_4x4_kernelILj128ELj64EfliaafEEvT3_20rocsparse_direction_NS_24const_host_device_scalarIT1_EES1_PKS1_PKT2_SA_S7_PKT4_PKT5_S5_PT6_21rocsparse_index_base_b
		.amdhsa_group_segment_fixed_size 0
		.amdhsa_private_segment_fixed_size 0
		.amdhsa_kernarg_size 96
		.amdhsa_user_sgpr_count 6
		.amdhsa_user_sgpr_private_segment_buffer 1
		.amdhsa_user_sgpr_dispatch_ptr 0
		.amdhsa_user_sgpr_queue_ptr 0
		.amdhsa_user_sgpr_kernarg_segment_ptr 1
		.amdhsa_user_sgpr_dispatch_id 0
		.amdhsa_user_sgpr_flat_scratch_init 0
		.amdhsa_user_sgpr_private_segment_size 0
		.amdhsa_wavefront_size32 1
		.amdhsa_uses_dynamic_stack 0
		.amdhsa_system_sgpr_private_segment_wavefront_offset 0
		.amdhsa_system_sgpr_workgroup_id_x 1
		.amdhsa_system_sgpr_workgroup_id_y 0
		.amdhsa_system_sgpr_workgroup_id_z 0
		.amdhsa_system_sgpr_workgroup_info 0
		.amdhsa_system_vgpr_workitem_id 0
		.amdhsa_next_free_vgpr 90
		.amdhsa_next_free_sgpr 20
		.amdhsa_reserve_vcc 1
		.amdhsa_reserve_flat_scratch 0
		.amdhsa_float_round_mode_32 0
		.amdhsa_float_round_mode_16_64 0
		.amdhsa_float_denorm_mode_32 3
		.amdhsa_float_denorm_mode_16_64 3
		.amdhsa_dx10_clamp 1
		.amdhsa_ieee_mode 1
		.amdhsa_fp16_overflow 0
		.amdhsa_workgroup_processor_mode 1
		.amdhsa_memory_ordered 1
		.amdhsa_forward_progress 1
		.amdhsa_shared_vgpr_count 0
		.amdhsa_exception_fp_ieee_invalid_op 0
		.amdhsa_exception_fp_denorm_src 0
		.amdhsa_exception_fp_ieee_div_zero 0
		.amdhsa_exception_fp_ieee_overflow 0
		.amdhsa_exception_fp_ieee_underflow 0
		.amdhsa_exception_fp_ieee_inexact 0
		.amdhsa_exception_int_div_zero 0
	.end_amdhsa_kernel
	.section	.text._ZN9rocsparseL18bsrxmvn_4x4_kernelILj128ELj64EfliaafEEvT3_20rocsparse_direction_NS_24const_host_device_scalarIT1_EES1_PKS1_PKT2_SA_S7_PKT4_PKT5_S5_PT6_21rocsparse_index_base_b,"axG",@progbits,_ZN9rocsparseL18bsrxmvn_4x4_kernelILj128ELj64EfliaafEEvT3_20rocsparse_direction_NS_24const_host_device_scalarIT1_EES1_PKS1_PKT2_SA_S7_PKT4_PKT5_S5_PT6_21rocsparse_index_base_b,comdat
.Lfunc_end84:
	.size	_ZN9rocsparseL18bsrxmvn_4x4_kernelILj128ELj64EfliaafEEvT3_20rocsparse_direction_NS_24const_host_device_scalarIT1_EES1_PKS1_PKT2_SA_S7_PKT4_PKT5_S5_PT6_21rocsparse_index_base_b, .Lfunc_end84-_ZN9rocsparseL18bsrxmvn_4x4_kernelILj128ELj64EfliaafEEvT3_20rocsparse_direction_NS_24const_host_device_scalarIT1_EES1_PKS1_PKT2_SA_S7_PKT4_PKT5_S5_PT6_21rocsparse_index_base_b
                                        ; -- End function
	.set _ZN9rocsparseL18bsrxmvn_4x4_kernelILj128ELj64EfliaafEEvT3_20rocsparse_direction_NS_24const_host_device_scalarIT1_EES1_PKS1_PKT2_SA_S7_PKT4_PKT5_S5_PT6_21rocsparse_index_base_b.num_vgpr, 90
	.set _ZN9rocsparseL18bsrxmvn_4x4_kernelILj128ELj64EfliaafEEvT3_20rocsparse_direction_NS_24const_host_device_scalarIT1_EES1_PKS1_PKT2_SA_S7_PKT4_PKT5_S5_PT6_21rocsparse_index_base_b.num_agpr, 0
	.set _ZN9rocsparseL18bsrxmvn_4x4_kernelILj128ELj64EfliaafEEvT3_20rocsparse_direction_NS_24const_host_device_scalarIT1_EES1_PKS1_PKT2_SA_S7_PKT4_PKT5_S5_PT6_21rocsparse_index_base_b.numbered_sgpr, 20
	.set _ZN9rocsparseL18bsrxmvn_4x4_kernelILj128ELj64EfliaafEEvT3_20rocsparse_direction_NS_24const_host_device_scalarIT1_EES1_PKS1_PKT2_SA_S7_PKT4_PKT5_S5_PT6_21rocsparse_index_base_b.num_named_barrier, 0
	.set _ZN9rocsparseL18bsrxmvn_4x4_kernelILj128ELj64EfliaafEEvT3_20rocsparse_direction_NS_24const_host_device_scalarIT1_EES1_PKS1_PKT2_SA_S7_PKT4_PKT5_S5_PT6_21rocsparse_index_base_b.private_seg_size, 0
	.set _ZN9rocsparseL18bsrxmvn_4x4_kernelILj128ELj64EfliaafEEvT3_20rocsparse_direction_NS_24const_host_device_scalarIT1_EES1_PKS1_PKT2_SA_S7_PKT4_PKT5_S5_PT6_21rocsparse_index_base_b.uses_vcc, 1
	.set _ZN9rocsparseL18bsrxmvn_4x4_kernelILj128ELj64EfliaafEEvT3_20rocsparse_direction_NS_24const_host_device_scalarIT1_EES1_PKS1_PKT2_SA_S7_PKT4_PKT5_S5_PT6_21rocsparse_index_base_b.uses_flat_scratch, 0
	.set _ZN9rocsparseL18bsrxmvn_4x4_kernelILj128ELj64EfliaafEEvT3_20rocsparse_direction_NS_24const_host_device_scalarIT1_EES1_PKS1_PKT2_SA_S7_PKT4_PKT5_S5_PT6_21rocsparse_index_base_b.has_dyn_sized_stack, 0
	.set _ZN9rocsparseL18bsrxmvn_4x4_kernelILj128ELj64EfliaafEEvT3_20rocsparse_direction_NS_24const_host_device_scalarIT1_EES1_PKS1_PKT2_SA_S7_PKT4_PKT5_S5_PT6_21rocsparse_index_base_b.has_recursion, 0
	.set _ZN9rocsparseL18bsrxmvn_4x4_kernelILj128ELj64EfliaafEEvT3_20rocsparse_direction_NS_24const_host_device_scalarIT1_EES1_PKS1_PKT2_SA_S7_PKT4_PKT5_S5_PT6_21rocsparse_index_base_b.has_indirect_call, 0
	.section	.AMDGPU.csdata,"",@progbits
; Kernel info:
; codeLenInByte = 5112
; TotalNumSgprs: 22
; NumVgprs: 90
; ScratchSize: 0
; MemoryBound: 0
; FloatMode: 240
; IeeeMode: 1
; LDSByteSize: 0 bytes/workgroup (compile time only)
; SGPRBlocks: 0
; VGPRBlocks: 11
; NumSGPRsForWavesPerEU: 22
; NumVGPRsForWavesPerEU: 90
; Occupancy: 10
; WaveLimiterHint : 1
; COMPUTE_PGM_RSRC2:SCRATCH_EN: 0
; COMPUTE_PGM_RSRC2:USER_SGPR: 6
; COMPUTE_PGM_RSRC2:TRAP_HANDLER: 0
; COMPUTE_PGM_RSRC2:TGID_X_EN: 1
; COMPUTE_PGM_RSRC2:TGID_Y_EN: 0
; COMPUTE_PGM_RSRC2:TGID_Z_EN: 0
; COMPUTE_PGM_RSRC2:TIDIG_COMP_CNT: 0
	.section	.text._ZN9rocsparseL18bsrxmvn_4x4_kernelILj128ELj4EfllaafEEvT3_20rocsparse_direction_NS_24const_host_device_scalarIT1_EES1_PKS1_PKT2_SA_S7_PKT4_PKT5_S5_PT6_21rocsparse_index_base_b,"axG",@progbits,_ZN9rocsparseL18bsrxmvn_4x4_kernelILj128ELj4EfllaafEEvT3_20rocsparse_direction_NS_24const_host_device_scalarIT1_EES1_PKS1_PKT2_SA_S7_PKT4_PKT5_S5_PT6_21rocsparse_index_base_b,comdat
	.globl	_ZN9rocsparseL18bsrxmvn_4x4_kernelILj128ELj4EfllaafEEvT3_20rocsparse_direction_NS_24const_host_device_scalarIT1_EES1_PKS1_PKT2_SA_S7_PKT4_PKT5_S5_PT6_21rocsparse_index_base_b ; -- Begin function _ZN9rocsparseL18bsrxmvn_4x4_kernelILj128ELj4EfllaafEEvT3_20rocsparse_direction_NS_24const_host_device_scalarIT1_EES1_PKS1_PKT2_SA_S7_PKT4_PKT5_S5_PT6_21rocsparse_index_base_b
	.p2align	8
	.type	_ZN9rocsparseL18bsrxmvn_4x4_kernelILj128ELj4EfllaafEEvT3_20rocsparse_direction_NS_24const_host_device_scalarIT1_EES1_PKS1_PKT2_SA_S7_PKT4_PKT5_S5_PT6_21rocsparse_index_base_b,@function
_ZN9rocsparseL18bsrxmvn_4x4_kernelILj128ELj4EfllaafEEvT3_20rocsparse_direction_NS_24const_host_device_scalarIT1_EES1_PKS1_PKT2_SA_S7_PKT4_PKT5_S5_PT6_21rocsparse_index_base_b: ; @_ZN9rocsparseL18bsrxmvn_4x4_kernelILj128ELj4EfllaafEEvT3_20rocsparse_direction_NS_24const_host_device_scalarIT1_EES1_PKS1_PKT2_SA_S7_PKT4_PKT5_S5_PT6_21rocsparse_index_base_b
; %bb.0:
	s_clause 0x2
	s_load_dwordx2 s[0:1], s[4:5], 0x60
	s_load_dwordx4 s[16:19], s[4:5], 0x10
	s_load_dwordx2 s[2:3], s[4:5], 0x50
	s_waitcnt lgkmcnt(0)
	s_bitcmp1_b32 s1, 0
	s_cselect_b32 s1, -1, 0
	s_and_b32 vcc_lo, exec_lo, s1
	s_xor_b32 s1, s1, -1
	s_cbranch_vccnz .LBB85_2
; %bb.1:
	s_load_dword s16, s[16:17], 0x0
.LBB85_2:
	s_andn2_b32 vcc_lo, exec_lo, s1
	s_cbranch_vccnz .LBB85_4
; %bb.3:
	s_load_dword s2, s[2:3], 0x0
.LBB85_4:
	s_waitcnt lgkmcnt(0)
	v_cmp_neq_f32_e64 s1, s16, 0
	v_cmp_neq_f32_e64 s3, s2, 1.0
	s_or_b32 s1, s1, s3
	s_mov_b32 s3, 0
	s_andn2_b32 vcc_lo, exec_lo, s1
	s_cbranch_vccnz .LBB85_10
; %bb.5:
	s_load_dwordx2 s[8:9], s[4:5], 0x20
	v_lshrrev_b32_e32 v1, 2, v0
	v_mov_b32_e32 v6, 0
	v_lshl_or_b32 v5, s6, 5, v1
	s_waitcnt lgkmcnt(0)
	s_cmp_lg_u64 s[8:9], 0
	s_cbranch_scc0 .LBB85_11
; %bb.6:
	s_mov_b32 s6, 0
                                        ; implicit-def: $vgpr3_vgpr4
                                        ; implicit-def: $vgpr1_vgpr2
	s_mov_b32 s1, exec_lo
	v_cmpx_gt_i64_e64 s[18:19], v[5:6]
	s_xor_b32 s7, exec_lo, s1
	s_cbranch_execz .LBB85_8
; %bb.7:
	v_lshlrev_b64 v[1:2], 3, v[5:6]
	s_mov_b32 s1, 0
	s_mov_b32 s3, exec_lo
	v_add_co_u32 v1, vcc_lo, s8, v1
	v_add_co_ci_u32_e64 v2, null, s9, v2, vcc_lo
	global_load_dwordx2 v[1:2], v[1:2], off
	s_waitcnt vmcnt(0)
	v_sub_co_u32 v3, vcc_lo, v1, s0
	v_subrev_co_ci_u32_e64 v4, null, 0, v2, vcc_lo
	v_mov_b32_e32 v2, s1
	v_mov_b32_e32 v1, s0
.LBB85_8:
	s_or_b32 exec_lo, exec_lo, s7
	s_and_b32 vcc_lo, exec_lo, s6
	s_cbranch_vccnz .LBB85_12
.LBB85_9:
	s_and_saveexec_b32 s0, s3
	s_cbranch_execnz .LBB85_15
.LBB85_10:
	s_endpgm
.LBB85_11:
                                        ; implicit-def: $vgpr3_vgpr4
                                        ; implicit-def: $vgpr1_vgpr2
	s_cbranch_execz .LBB85_9
.LBB85_12:
	s_load_dwordx2 s[6:7], s[4:5], 0x0
	s_waitcnt lgkmcnt(0)
	v_cmp_gt_i64_e32 vcc_lo, s[6:7], v[5:6]
	s_and_saveexec_b32 s6, vcc_lo
; %bb.13:
	s_mov_b32 s1, 0
	s_or_b32 s3, s3, exec_lo
; %bb.14:
	s_or_b32 exec_lo, exec_lo, s6
	v_mov_b32_e32 v2, s1
	v_mov_b32_e32 v3, v5
	;; [unrolled: 1-line block ×4, first 2 shown]
	s_and_saveexec_b32 s0, s3
	s_cbranch_execz .LBB85_10
.LBB85_15:
	s_load_dwordx8 s[8:15], s[4:5], 0x28
	v_lshlrev_b64 v[5:6], 3, v[3:4]
	v_and_b32_e32 v0, 3, v0
	s_clause 0x1
	s_load_dword s1, s[4:5], 0x8
	s_load_dwordx2 s[6:7], s[4:5], 0x48
	v_mov_b32_e32 v25, 0
	s_waitcnt lgkmcnt(0)
	v_add_co_u32 v7, vcc_lo, s8, v5
	v_add_co_ci_u32_e64 v8, null, s9, v6, vcc_lo
	v_add_co_u32 v5, vcc_lo, s10, v5
	v_add_co_ci_u32_e64 v6, null, s11, v6, vcc_lo
	v_add_co_u32 v9, vcc_lo, v7, 8
	global_load_dwordx2 v[13:14], v[7:8], off
	v_add_co_ci_u32_e64 v10, null, 0, v8, vcc_lo
	s_cmp_eq_u64 s[10:11], 0
	s_cselect_b32 vcc_lo, -1, 0
	s_cmp_eq_u32 s1, 1
	v_cndmask_b32_e32 v6, v6, v10, vcc_lo
	v_cndmask_b32_e32 v5, v5, v9, vcc_lo
	global_load_dwordx2 v[7:8], v[5:6], off
	s_waitcnt vmcnt(1)
	v_sub_co_u32 v5, vcc_lo, v13, v1
	v_sub_co_ci_u32_e64 v6, null, v14, v2, vcc_lo
	v_add_co_u32 v5, vcc_lo, v5, v0
	v_add_co_ci_u32_e64 v6, null, 0, v6, vcc_lo
	v_lshlrev_b64 v[9:10], 4, v[5:6]
	s_waitcnt vmcnt(0)
	v_sub_co_u32 v7, vcc_lo, v7, v1
	v_sub_co_ci_u32_e64 v8, null, v8, v2, vcc_lo
	v_add_co_u32 v9, vcc_lo, s14, v9
	v_cmp_lt_i64_e64 s0, v[5:6], v[7:8]
	v_add_co_ci_u32_e64 v10, null, s15, v10, vcc_lo
	s_cbranch_scc1 .LBB85_27
; %bb.16:
	v_mov_b32_e32 v26, 0
	v_mov_b32_e32 v27, 0
	;; [unrolled: 1-line block ×3, first 2 shown]
	s_and_saveexec_b32 s3, s0
	s_cbranch_execz .LBB85_26
; %bb.17:
	v_or_b32_e32 v11, 4, v0
	v_not_b32_e32 v16, v13
	v_sub_co_u32 v17, s1, v1, v0
	v_not_b32_e32 v15, v14
	v_sub_co_u32 v11, vcc_lo, v11, v1
	v_sub_co_ci_u32_e64 v12, null, 0, v2, vcc_lo
	v_subrev_co_ci_u32_e64 v18, null, 0, v2, s1
	v_add_co_u32 v11, vcc_lo, v11, v13
	v_add_co_ci_u32_e64 v12, null, v12, v14, vcc_lo
	s_mov_b32 s1, exec_lo
	v_cmp_gt_i64_e32 vcc_lo, v[11:12], v[7:8]
	v_cndmask_b32_e32 v20, v8, v12, vcc_lo
	v_cndmask_b32_e32 v11, v7, v11, vcc_lo
	v_add_co_u32 v12, vcc_lo, v17, v16
	v_add_co_ci_u32_e64 v15, null, v18, v15, vcc_lo
	v_mov_b32_e32 v18, v10
	v_add_co_u32 v19, vcc_lo, v12, v11
	v_mov_b32_e32 v12, 0
	v_add_co_ci_u32_e64 v20, null, v15, v20, vcc_lo
	v_mov_b32_e32 v16, v6
	v_and_b32_e32 v11, 12, v19
	v_mov_b32_e32 v27, v12
	v_mov_b32_e32 v26, v12
	;; [unrolled: 1-line block ×5, first 2 shown]
	v_cmpx_ne_u64_e32 12, v[11:12]
	s_cbranch_execz .LBB85_21
; %bb.18:
	v_lshrrev_b32_e32 v11, 2, v19
	v_mov_b32_e32 v18, v10
	v_mov_b32_e32 v16, v6
	;; [unrolled: 1-line block ×4, first 2 shown]
	v_add_nc_u32_e32 v21, 1, v11
	v_lshlrev_b64 v[11:12], 3, v[5:6]
	v_mov_b32_e32 v15, v5
	v_mov_b32_e32 v26, 0
	;; [unrolled: 1-line block ×3, first 2 shown]
	v_and_b32_e32 v23, 3, v21
	v_add_co_u32 v21, vcc_lo, s12, v11
	v_add_co_ci_u32_e64 v22, null, s13, v12, vcc_lo
	v_sub_co_u32 v23, s8, 0, v23
	v_sub_co_ci_u32_e64 v24, null, 0, 0, s8
	v_mov_b32_e32 v12, 0
	s_mov_b32 s8, 0
.LBB85_19:                              ; =>This Inner Loop Header: Depth=1
	global_load_dwordx2 v[28:29], v[21:22], off
	s_waitcnt vmcnt(0)
	v_sub_co_u32 v28, vcc_lo, v28, v1
	v_sub_co_ci_u32_e64 v29, null, v29, v2, vcc_lo
	v_lshlrev_b64 v[28:29], 2, v[28:29]
	v_add_co_u32 v32, vcc_lo, s6, v28
	v_add_co_ci_u32_e64 v33, null, s7, v29, vcc_lo
	global_load_dwordx4 v[28:31], v[17:18], off
	global_load_dword v11, v[32:33], off
	v_add_co_u32 v17, vcc_lo, v17, 64
	v_add_co_ci_u32_e64 v18, null, 0, v18, vcc_lo
	v_add_co_u32 v15, vcc_lo, v15, 4
	v_add_co_ci_u32_e64 v16, null, 0, v16, vcc_lo
	;; [unrolled: 2-line block ×4, first 2 shown]
	v_cmp_eq_u64_e32 vcc_lo, 0, v[23:24]
	s_or_b32 s8, vcc_lo, s8
	s_waitcnt vmcnt(1)
	v_cvt_f32_i32_sdwa v32, sext(v28) dst_sel:DWORD dst_unused:UNUSED_PAD src0_sel:BYTE_0
	v_cvt_f32_i32_sdwa v35, sext(v29) dst_sel:DWORD dst_unused:UNUSED_PAD src0_sel:BYTE_0
	;; [unrolled: 1-line block ×4, first 2 shown]
	s_waitcnt vmcnt(0)
	v_cvt_f32_i32_sdwa v44, sext(v11) dst_sel:DWORD dst_unused:UNUSED_PAD src0_sel:BYTE_0
	v_cvt_f32_i32_sdwa v33, sext(v28) dst_sel:DWORD dst_unused:UNUSED_PAD src0_sel:BYTE_1
	v_cvt_f32_i32_sdwa v36, sext(v29) dst_sel:DWORD dst_unused:UNUSED_PAD src0_sel:BYTE_1
	;; [unrolled: 1-line block ×5, first 2 shown]
	v_fmac_f32_e32 v12, v32, v44
	v_fmac_f32_e32 v27, v35, v44
	;; [unrolled: 1-line block ×4, first 2 shown]
	v_cvt_f32_i32_sdwa v34, sext(v28) dst_sel:DWORD dst_unused:UNUSED_PAD src0_sel:BYTE_2
	v_cvt_f32_i32_sdwa v37, sext(v29) dst_sel:DWORD dst_unused:UNUSED_PAD src0_sel:BYTE_2
	v_cvt_f32_i32_sdwa v40, sext(v30) dst_sel:DWORD dst_unused:UNUSED_PAD src0_sel:BYTE_2
	v_cvt_f32_i32_sdwa v43, sext(v31) dst_sel:DWORD dst_unused:UNUSED_PAD src0_sel:BYTE_2
	v_cvt_f32_i32_sdwa v32, sext(v11) dst_sel:DWORD dst_unused:UNUSED_PAD src0_sel:BYTE_2
	v_fmac_f32_e32 v12, v33, v45
	v_fmac_f32_e32 v27, v36, v45
	;; [unrolled: 1-line block ×4, first 2 shown]
	v_cvt_f32_i32_sdwa v28, sext(v28) dst_sel:DWORD dst_unused:UNUSED_PAD src0_sel:BYTE_3
	v_cvt_f32_i32_sdwa v29, sext(v29) dst_sel:DWORD dst_unused:UNUSED_PAD src0_sel:BYTE_3
	;; [unrolled: 1-line block ×5, first 2 shown]
	v_fmac_f32_e32 v12, v34, v32
	v_fmac_f32_e32 v27, v37, v32
	;; [unrolled: 1-line block ×8, first 2 shown]
	s_andn2_b32 exec_lo, exec_lo, s8
	s_cbranch_execnz .LBB85_19
; %bb.20:
	s_or_b32 exec_lo, exec_lo, s8
.LBB85_21:
	s_or_b32 exec_lo, exec_lo, s1
	s_mov_b32 s8, exec_lo
	v_cmpx_lt_u64_e32 11, v[19:20]
	s_cbranch_execz .LBB85_25
; %bb.22:
	v_lshlrev_b64 v[19:20], 3, v[15:16]
	s_mov_b32 s9, 0
	v_add_co_u32 v11, vcc_lo, s12, v19
	v_add_co_ci_u32_e64 v20, null, s13, v20, vcc_lo
	v_add_co_u32 v19, vcc_lo, v11, 64
	v_add_co_ci_u32_e64 v20, null, 0, v20, vcc_lo
.LBB85_23:                              ; =>This Inner Loop Header: Depth=1
	s_clause 0x3
	global_load_dwordx2 v[40:41], v[19:20], off offset:-64
	global_load_dwordx2 v[42:43], v[19:20], off offset:-32
	global_load_dwordx2 v[44:45], v[19:20], off
	global_load_dwordx2 v[46:47], v[19:20], off offset:32
	s_clause 0x3
	global_load_dwordx4 v[21:24], v[17:18], off
	global_load_dwordx4 v[28:31], v[17:18], off offset:64
	global_load_dwordx4 v[32:35], v[17:18], off offset:128
	;; [unrolled: 1-line block ×3, first 2 shown]
	s_waitcnt vmcnt(7)
	v_sub_co_u32 v40, vcc_lo, v40, v1
	v_sub_co_ci_u32_e64 v41, null, v41, v2, vcc_lo
	s_waitcnt vmcnt(6)
	v_sub_co_u32 v42, vcc_lo, v42, v1
	v_sub_co_ci_u32_e64 v43, null, v43, v2, vcc_lo
	v_lshlrev_b64 v[40:41], 2, v[40:41]
	s_waitcnt vmcnt(3)
	v_cvt_f32_i32_sdwa v49, sext(v23) dst_sel:DWORD dst_unused:UNUSED_PAD src0_sel:BYTE_0
	v_cvt_f32_i32_sdwa v52, sext(v24) dst_sel:DWORD dst_unused:UNUSED_PAD src0_sel:BYTE_0
	v_cvt_f32_i32_sdwa v50, sext(v23) dst_sel:DWORD dst_unused:UNUSED_PAD src0_sel:BYTE_1
	v_cvt_f32_i32_sdwa v53, sext(v24) dst_sel:DWORD dst_unused:UNUSED_PAD src0_sel:BYTE_1
	v_cvt_f32_i32_sdwa v48, sext(v22) dst_sel:DWORD dst_unused:UNUSED_PAD src0_sel:BYTE_2
	v_add_co_u32 v40, vcc_lo, s6, v40
	v_add_co_ci_u32_e64 v41, null, s7, v41, vcc_lo
	v_sub_co_u32 v44, vcc_lo, v44, v1
	v_sub_co_ci_u32_e64 v45, null, v45, v2, vcc_lo
	global_load_dword v11, v[40:41], off
	v_lshlrev_b64 v[40:41], 2, v[42:43]
	v_cvt_f32_i32_sdwa v51, sext(v23) dst_sel:DWORD dst_unused:UNUSED_PAD src0_sel:BYTE_2
	v_cvt_f32_i32_sdwa v54, sext(v24) dst_sel:DWORD dst_unused:UNUSED_PAD src0_sel:BYTE_2
	v_cvt_f32_i32_sdwa v23, sext(v23) dst_sel:DWORD dst_unused:UNUSED_PAD src0_sel:BYTE_3
	v_cvt_f32_i32_sdwa v24, sext(v24) dst_sel:DWORD dst_unused:UNUSED_PAD src0_sel:BYTE_3
	s_waitcnt vmcnt(3)
	v_cvt_f32_i32_sdwa v55, sext(v28) dst_sel:DWORD dst_unused:UNUSED_PAD src0_sel:BYTE_0
	v_add_co_u32 v40, vcc_lo, s6, v40
	v_add_co_ci_u32_e64 v41, null, s7, v41, vcc_lo
	v_cvt_f32_i32_sdwa v58, sext(v29) dst_sel:DWORD dst_unused:UNUSED_PAD src0_sel:BYTE_0
	v_cvt_f32_i32_sdwa v61, sext(v30) dst_sel:DWORD dst_unused:UNUSED_PAD src0_sel:BYTE_0
	;; [unrolled: 1-line block ×3, first 2 shown]
	global_load_dword v43, v[40:41], off
	v_lshlrev_b64 v[41:42], 2, v[44:45]
	v_sub_co_u32 v40, vcc_lo, v46, v1
	v_cvt_f32_i32_sdwa v46, sext(v22) dst_sel:DWORD dst_unused:UNUSED_PAD src0_sel:BYTE_0
	v_cvt_f32_i32_sdwa v44, sext(v21) dst_sel:DWORD dst_unused:UNUSED_PAD src0_sel:BYTE_1
	v_cvt_f32_i32_sdwa v45, sext(v21) dst_sel:DWORD dst_unused:UNUSED_PAD src0_sel:BYTE_2
	v_add_co_u32 v41, s1, s6, v41
	v_add_co_ci_u32_e64 v42, null, s7, v42, s1
	v_cvt_f32_i32_sdwa v56, sext(v28) dst_sel:DWORD dst_unused:UNUSED_PAD src0_sel:BYTE_1
	v_cvt_f32_i32_sdwa v59, sext(v29) dst_sel:DWORD dst_unused:UNUSED_PAD src0_sel:BYTE_1
	;; [unrolled: 1-line block ×3, first 2 shown]
	global_load_dword v42, v[41:42], off
	v_sub_co_ci_u32_e64 v41, null, v47, v2, vcc_lo
	v_cvt_f32_i32_sdwa v47, sext(v22) dst_sel:DWORD dst_unused:UNUSED_PAD src0_sel:BYTE_1
	v_cvt_f32_i32_sdwa v22, sext(v22) dst_sel:DWORD dst_unused:UNUSED_PAD src0_sel:BYTE_3
	v_cvt_f32_i32_sdwa v65, sext(v31) dst_sel:DWORD dst_unused:UNUSED_PAD src0_sel:BYTE_1
	v_lshlrev_b64 v[40:41], 2, v[40:41]
	v_cvt_f32_i32_sdwa v57, sext(v28) dst_sel:DWORD dst_unused:UNUSED_PAD src0_sel:BYTE_2
	v_cvt_f32_i32_sdwa v60, sext(v29) dst_sel:DWORD dst_unused:UNUSED_PAD src0_sel:BYTE_2
	;; [unrolled: 1-line block ×4, first 2 shown]
	v_cvt_f32_i32_sdwa v28, sext(v28) dst_sel:DWORD dst_unused:UNUSED_PAD src0_sel:BYTE_3
	v_add_co_u32 v40, vcc_lo, s6, v40
	v_add_co_ci_u32_e64 v41, null, s7, v41, vcc_lo
	v_cvt_f32_i32_sdwa v29, sext(v29) dst_sel:DWORD dst_unused:UNUSED_PAD src0_sel:BYTE_3
	v_cvt_f32_i32_sdwa v30, sext(v30) dst_sel:DWORD dst_unused:UNUSED_PAD src0_sel:BYTE_3
	v_cvt_f32_i32_sdwa v31, sext(v31) dst_sel:DWORD dst_unused:UNUSED_PAD src0_sel:BYTE_3
	global_load_dword v40, v[40:41], off
	v_cvt_f32_i32_sdwa v41, sext(v21) dst_sel:DWORD dst_unused:UNUSED_PAD src0_sel:BYTE_0
	v_cvt_f32_i32_sdwa v21, sext(v21) dst_sel:DWORD dst_unused:UNUSED_PAD src0_sel:BYTE_3
	s_waitcnt vmcnt(5)
	v_cvt_f32_i32_sdwa v67, sext(v32) dst_sel:DWORD dst_unused:UNUSED_PAD src0_sel:BYTE_0
	v_cvt_f32_i32_sdwa v70, sext(v33) dst_sel:DWORD dst_unused:UNUSED_PAD src0_sel:BYTE_0
	;; [unrolled: 1-line block ×4, first 2 shown]
	v_cvt_f32_i32_sdwa v68, sext(v32) dst_sel:DWORD dst_unused:UNUSED_PAD src0_sel:BYTE_1
	v_cvt_f32_i32_sdwa v71, sext(v33) dst_sel:DWORD dst_unused:UNUSED_PAD src0_sel:BYTE_1
	;; [unrolled: 1-line block ×4, first 2 shown]
	v_cvt_f32_i32_sdwa v69, sext(v32) dst_sel:DWORD dst_unused:UNUSED_PAD src0_sel:BYTE_2
	v_cvt_f32_i32_sdwa v72, sext(v33) dst_sel:DWORD dst_unused:UNUSED_PAD src0_sel:BYTE_2
	;; [unrolled: 1-line block ×4, first 2 shown]
	v_cvt_f32_i32_sdwa v32, sext(v32) dst_sel:DWORD dst_unused:UNUSED_PAD src0_sel:BYTE_3
	v_cvt_f32_i32_sdwa v33, sext(v33) dst_sel:DWORD dst_unused:UNUSED_PAD src0_sel:BYTE_3
	v_cvt_f32_i32_sdwa v34, sext(v34) dst_sel:DWORD dst_unused:UNUSED_PAD src0_sel:BYTE_3
	v_cvt_f32_i32_sdwa v35, sext(v35) dst_sel:DWORD dst_unused:UNUSED_PAD src0_sel:BYTE_3
	s_waitcnt vmcnt(4)
	v_cvt_f32_i32_sdwa v79, sext(v36) dst_sel:DWORD dst_unused:UNUSED_PAD src0_sel:BYTE_0
	v_cvt_f32_i32_sdwa v82, sext(v37) dst_sel:DWORD dst_unused:UNUSED_PAD src0_sel:BYTE_0
	;; [unrolled: 1-line block ×4, first 2 shown]
	v_cvt_f32_i32_sdwa v80, sext(v36) dst_sel:DWORD dst_unused:UNUSED_PAD src0_sel:BYTE_1
	v_cvt_f32_i32_sdwa v83, sext(v37) dst_sel:DWORD dst_unused:UNUSED_PAD src0_sel:BYTE_1
	;; [unrolled: 1-line block ×4, first 2 shown]
	v_add_co_u32 v17, vcc_lo, 0x100, v17
	v_add_co_ci_u32_e64 v18, null, 0, v18, vcc_lo
	v_add_co_u32 v15, vcc_lo, v15, 16
	v_cvt_f32_i32_sdwa v81, sext(v36) dst_sel:DWORD dst_unused:UNUSED_PAD src0_sel:BYTE_2
	v_cvt_f32_i32_sdwa v84, sext(v37) dst_sel:DWORD dst_unused:UNUSED_PAD src0_sel:BYTE_2
	;; [unrolled: 1-line block ×4, first 2 shown]
	v_add_co_ci_u32_e64 v16, null, 0, v16, vcc_lo
	v_add_co_u32 v19, vcc_lo, 0x80, v19
	v_cvt_f32_i32_sdwa v36, sext(v36) dst_sel:DWORD dst_unused:UNUSED_PAD src0_sel:BYTE_3
	v_cvt_f32_i32_sdwa v37, sext(v37) dst_sel:DWORD dst_unused:UNUSED_PAD src0_sel:BYTE_3
	;; [unrolled: 1-line block ×4, first 2 shown]
	v_add_co_ci_u32_e64 v20, null, 0, v20, vcc_lo
	v_cmp_ge_i64_e32 vcc_lo, v[15:16], v[7:8]
	s_or_b32 s9, vcc_lo, s9
	s_waitcnt vmcnt(3)
	v_cvt_f32_i32_sdwa v91, sext(v11) dst_sel:DWORD dst_unused:UNUSED_PAD src0_sel:BYTE_0
	v_cvt_f32_i32_sdwa v92, sext(v11) dst_sel:DWORD dst_unused:UNUSED_PAD src0_sel:BYTE_1
	v_fmac_f32_e32 v12, v41, v91
	v_fmac_f32_e32 v27, v46, v91
	v_fmac_f32_e32 v26, v49, v91
	v_fmac_f32_e32 v25, v52, v91
	v_cvt_f32_i32_sdwa v41, sext(v11) dst_sel:DWORD dst_unused:UNUSED_PAD src0_sel:BYTE_2
	v_fmac_f32_e32 v12, v44, v92
	v_fmac_f32_e32 v27, v47, v92
	v_fmac_f32_e32 v26, v50, v92
	v_fmac_f32_e32 v25, v53, v92
	v_cvt_f32_i32_sdwa v11, sext(v11) dst_sel:DWORD dst_unused:UNUSED_PAD src0_sel:BYTE_3
	v_fmac_f32_e32 v12, v45, v41
	v_fmac_f32_e32 v27, v48, v41
	v_fmac_f32_e32 v26, v51, v41
	v_fmac_f32_e32 v25, v54, v41
	s_waitcnt vmcnt(2)
	v_cvt_f32_i32_sdwa v41, sext(v43) dst_sel:DWORD dst_unused:UNUSED_PAD src0_sel:BYTE_0
	v_fmac_f32_e32 v12, v21, v11
	v_fmac_f32_e32 v27, v22, v11
	v_fmac_f32_e32 v26, v23, v11
	v_fmac_f32_e32 v25, v24, v11
	v_cvt_f32_i32_sdwa v11, sext(v43) dst_sel:DWORD dst_unused:UNUSED_PAD src0_sel:BYTE_1
	v_fmac_f32_e32 v12, v55, v41
	v_fmac_f32_e32 v27, v58, v41
	v_fmac_f32_e32 v26, v61, v41
	v_fmac_f32_e32 v25, v64, v41
	v_cvt_f32_i32_sdwa v21, sext(v43) dst_sel:DWORD dst_unused:UNUSED_PAD src0_sel:BYTE_2
	v_fmac_f32_e32 v12, v56, v11
	v_fmac_f32_e32 v27, v59, v11
	v_fmac_f32_e32 v26, v62, v11
	v_fmac_f32_e32 v25, v65, v11
	v_cvt_f32_i32_sdwa v11, sext(v43) dst_sel:DWORD dst_unused:UNUSED_PAD src0_sel:BYTE_3
	v_fmac_f32_e32 v12, v57, v21
	v_fmac_f32_e32 v27, v60, v21
	v_fmac_f32_e32 v26, v63, v21
	v_fmac_f32_e32 v25, v66, v21
	s_waitcnt vmcnt(1)
	v_cvt_f32_i32_sdwa v21, sext(v42) dst_sel:DWORD dst_unused:UNUSED_PAD src0_sel:BYTE_0
	v_fmac_f32_e32 v12, v28, v11
	v_fmac_f32_e32 v27, v29, v11
	v_fmac_f32_e32 v26, v30, v11
	v_fmac_f32_e32 v25, v31, v11
	;; [unrolled: 21-line block ×3, first 2 shown]
	v_cvt_f32_i32_sdwa v11, sext(v40) dst_sel:DWORD dst_unused:UNUSED_PAD src0_sel:BYTE_1
	v_fmac_f32_e32 v12, v79, v21
	v_fmac_f32_e32 v27, v82, v21
	;; [unrolled: 1-line block ×4, first 2 shown]
	v_cvt_f32_i32_sdwa v21, sext(v40) dst_sel:DWORD dst_unused:UNUSED_PAD src0_sel:BYTE_2
	v_fmac_f32_e32 v12, v80, v11
	v_fmac_f32_e32 v27, v83, v11
	;; [unrolled: 1-line block ×4, first 2 shown]
	v_cvt_f32_i32_sdwa v11, sext(v40) dst_sel:DWORD dst_unused:UNUSED_PAD src0_sel:BYTE_3
	v_fmac_f32_e32 v12, v81, v21
	v_fmac_f32_e32 v27, v84, v21
	;; [unrolled: 1-line block ×8, first 2 shown]
	s_andn2_b32 exec_lo, exec_lo, s9
	s_cbranch_execnz .LBB85_23
; %bb.24:
	s_or_b32 exec_lo, exec_lo, s9
.LBB85_25:
	s_or_b32 exec_lo, exec_lo, s8
.LBB85_26:
	s_or_b32 exec_lo, exec_lo, s3
	s_cbranch_execz .LBB85_28
	s_branch .LBB85_39
.LBB85_27:
                                        ; implicit-def: $vgpr25
                                        ; implicit-def: $vgpr26
                                        ; implicit-def: $vgpr27
                                        ; implicit-def: $vgpr12
.LBB85_28:
	v_mov_b32_e32 v25, 0
	v_mov_b32_e32 v26, 0
	;; [unrolled: 1-line block ×4, first 2 shown]
	s_and_saveexec_b32 s1, s0
	s_cbranch_execz .LBB85_38
; %bb.29:
	v_or_b32_e32 v11, 4, v0
	v_sub_co_u32 v15, s0, v1, v0
	v_subrev_co_ci_u32_e64 v16, null, 0, v2, s0
	v_sub_co_u32 v11, vcc_lo, v11, v1
	v_sub_co_ci_u32_e64 v12, null, 0, v2, vcc_lo
	s_mov_b32 s0, exec_lo
	v_add_co_u32 v11, vcc_lo, v11, v13
	v_add_co_ci_u32_e64 v12, null, v12, v14, vcc_lo
	v_not_b32_e32 v13, v13
	v_not_b32_e32 v14, v14
	v_cmp_gt_i64_e32 vcc_lo, v[11:12], v[7:8]
	v_cndmask_b32_e32 v17, v8, v12, vcc_lo
	v_cndmask_b32_e32 v11, v7, v11, vcc_lo
	v_add_co_u32 v12, vcc_lo, v15, v13
	v_add_co_ci_u32_e64 v14, null, v16, v14, vcc_lo
	v_add_co_u32 v13, vcc_lo, v12, v11
	v_mov_b32_e32 v12, 0
	v_add_co_ci_u32_e64 v14, null, v14, v17, vcc_lo
	v_and_b32_e32 v11, 12, v13
	v_mov_b32_e32 v27, v12
	v_mov_b32_e32 v26, v12
	;; [unrolled: 1-line block ×3, first 2 shown]
	v_cmpx_ne_u64_e32 12, v[11:12]
	s_cbranch_execz .LBB85_33
; %bb.30:
	v_lshrrev_b32_e32 v11, 2, v13
	v_mov_b32_e32 v25, 0
	v_mov_b32_e32 v26, 0
	;; [unrolled: 1-line block ×3, first 2 shown]
	v_add_nc_u32_e32 v15, 1, v11
	v_lshlrev_b64 v[11:12], 3, v[5:6]
	v_and_b32_e32 v17, 3, v15
	v_add_co_u32 v15, vcc_lo, s12, v11
	v_add_co_ci_u32_e64 v16, null, s13, v12, vcc_lo
	v_sub_co_u32 v17, s3, 0, v17
	v_sub_co_ci_u32_e64 v18, null, 0, 0, s3
	v_mov_b32_e32 v12, 0
	s_mov_b32 s3, 0
.LBB85_31:                              ; =>This Inner Loop Header: Depth=1
	global_load_dwordx2 v[19:20], v[15:16], off
	s_waitcnt vmcnt(0)
	v_sub_co_u32 v19, vcc_lo, v19, v1
	v_sub_co_ci_u32_e64 v20, null, v20, v2, vcc_lo
	v_lshlrev_b64 v[19:20], 2, v[19:20]
	v_add_co_u32 v23, vcc_lo, s6, v19
	v_add_co_ci_u32_e64 v24, null, s7, v20, vcc_lo
	global_load_dwordx4 v[19:22], v[9:10], off
	global_load_dword v11, v[23:24], off
	v_add_co_u32 v9, vcc_lo, v9, 64
	v_add_co_ci_u32_e64 v10, null, 0, v10, vcc_lo
	v_add_co_u32 v5, vcc_lo, v5, 4
	v_add_co_ci_u32_e64 v6, null, 0, v6, vcc_lo
	;; [unrolled: 2-line block ×4, first 2 shown]
	v_cmp_eq_u64_e32 vcc_lo, 0, v[17:18]
	s_or_b32 s3, vcc_lo, s3
	s_waitcnt vmcnt(1)
	v_cvt_f32_i32_sdwa v23, sext(v19) dst_sel:DWORD dst_unused:UNUSED_PAD src0_sel:BYTE_0
	v_cvt_f32_i32_sdwa v24, sext(v19) dst_sel:DWORD dst_unused:UNUSED_PAD src0_sel:BYTE_1
	v_cvt_f32_i32_sdwa v28, sext(v19) dst_sel:DWORD dst_unused:UNUSED_PAD src0_sel:BYTE_2
	v_cvt_f32_i32_sdwa v19, sext(v19) dst_sel:DWORD dst_unused:UNUSED_PAD src0_sel:BYTE_3
	s_waitcnt vmcnt(0)
	v_cvt_f32_i32_sdwa v38, sext(v11) dst_sel:DWORD dst_unused:UNUSED_PAD src0_sel:BYTE_0
	v_cvt_f32_i32_sdwa v29, sext(v20) dst_sel:DWORD dst_unused:UNUSED_PAD src0_sel:BYTE_0
	v_cvt_f32_i32_sdwa v30, sext(v20) dst_sel:DWORD dst_unused:UNUSED_PAD src0_sel:BYTE_1
	v_cvt_f32_i32_sdwa v31, sext(v20) dst_sel:DWORD dst_unused:UNUSED_PAD src0_sel:BYTE_2
	v_cvt_f32_i32_sdwa v20, sext(v20) dst_sel:DWORD dst_unused:UNUSED_PAD src0_sel:BYTE_3
	v_cvt_f32_i32_sdwa v39, sext(v11) dst_sel:DWORD dst_unused:UNUSED_PAD src0_sel:BYTE_1
	v_fmac_f32_e32 v12, v23, v38
	v_fmac_f32_e32 v27, v24, v38
	;; [unrolled: 1-line block ×4, first 2 shown]
	v_cvt_f32_i32_sdwa v32, sext(v21) dst_sel:DWORD dst_unused:UNUSED_PAD src0_sel:BYTE_0
	v_cvt_f32_i32_sdwa v33, sext(v21) dst_sel:DWORD dst_unused:UNUSED_PAD src0_sel:BYTE_1
	v_cvt_f32_i32_sdwa v34, sext(v21) dst_sel:DWORD dst_unused:UNUSED_PAD src0_sel:BYTE_2
	v_cvt_f32_i32_sdwa v21, sext(v21) dst_sel:DWORD dst_unused:UNUSED_PAD src0_sel:BYTE_3
	v_cvt_f32_i32_sdwa v19, sext(v11) dst_sel:DWORD dst_unused:UNUSED_PAD src0_sel:BYTE_2
	v_fmac_f32_e32 v12, v29, v39
	v_fmac_f32_e32 v27, v30, v39
	;; [unrolled: 1-line block ×4, first 2 shown]
	v_cvt_f32_i32_sdwa v35, sext(v22) dst_sel:DWORD dst_unused:UNUSED_PAD src0_sel:BYTE_0
	v_cvt_f32_i32_sdwa v36, sext(v22) dst_sel:DWORD dst_unused:UNUSED_PAD src0_sel:BYTE_1
	v_cvt_f32_i32_sdwa v37, sext(v22) dst_sel:DWORD dst_unused:UNUSED_PAD src0_sel:BYTE_2
	v_cvt_f32_i32_sdwa v22, sext(v22) dst_sel:DWORD dst_unused:UNUSED_PAD src0_sel:BYTE_3
	v_cvt_f32_i32_sdwa v11, sext(v11) dst_sel:DWORD dst_unused:UNUSED_PAD src0_sel:BYTE_3
	v_fmac_f32_e32 v12, v32, v19
	v_fmac_f32_e32 v27, v33, v19
	;; [unrolled: 1-line block ×8, first 2 shown]
	s_andn2_b32 exec_lo, exec_lo, s3
	s_cbranch_execnz .LBB85_31
; %bb.32:
	s_or_b32 exec_lo, exec_lo, s3
.LBB85_33:
	s_or_b32 exec_lo, exec_lo, s0
	s_mov_b32 s3, exec_lo
	v_cmpx_lt_u64_e32 11, v[13:14]
	s_cbranch_execz .LBB85_37
; %bb.34:
	v_lshlrev_b64 v[13:14], 3, v[5:6]
	s_mov_b32 s8, 0
	v_add_co_u32 v11, vcc_lo, s12, v13
	v_add_co_ci_u32_e64 v14, null, s13, v14, vcc_lo
	v_add_co_u32 v13, vcc_lo, v11, 64
	v_add_co_ci_u32_e64 v14, null, 0, v14, vcc_lo
.LBB85_35:                              ; =>This Inner Loop Header: Depth=1
	s_clause 0x3
	global_load_dwordx2 v[23:24], v[13:14], off offset:-64
	global_load_dwordx2 v[36:37], v[13:14], off offset:-32
	global_load_dwordx2 v[38:39], v[13:14], off
	global_load_dwordx2 v[40:41], v[13:14], off offset:32
	s_clause 0x3
	global_load_dwordx4 v[15:18], v[9:10], off
	global_load_dwordx4 v[19:22], v[9:10], off offset:64
	global_load_dwordx4 v[28:31], v[9:10], off offset:128
	;; [unrolled: 1-line block ×3, first 2 shown]
	s_waitcnt vmcnt(7)
	v_sub_co_u32 v23, vcc_lo, v23, v1
	v_sub_co_ci_u32_e64 v24, null, v24, v2, vcc_lo
	s_waitcnt vmcnt(6)
	v_sub_co_u32 v36, vcc_lo, v36, v1
	v_sub_co_ci_u32_e64 v37, null, v37, v2, vcc_lo
	v_lshlrev_b64 v[23:24], 2, v[23:24]
	s_waitcnt vmcnt(3)
	v_cvt_f32_i32_sdwa v43, sext(v17) dst_sel:DWORD dst_unused:UNUSED_PAD src0_sel:BYTE_0
	v_cvt_f32_i32_sdwa v44, sext(v17) dst_sel:DWORD dst_unused:UNUSED_PAD src0_sel:BYTE_1
	v_cvt_f32_i32_sdwa v45, sext(v17) dst_sel:DWORD dst_unused:UNUSED_PAD src0_sel:BYTE_2
	v_cvt_f32_i32_sdwa v17, sext(v17) dst_sel:DWORD dst_unused:UNUSED_PAD src0_sel:BYTE_3
	v_cvt_f32_i32_sdwa v46, sext(v18) dst_sel:DWORD dst_unused:UNUSED_PAD src0_sel:BYTE_0
	v_add_co_u32 v23, vcc_lo, s6, v23
	v_add_co_ci_u32_e64 v24, null, s7, v24, vcc_lo
	v_sub_co_u32 v38, vcc_lo, v38, v1
	v_sub_co_ci_u32_e64 v39, null, v39, v2, vcc_lo
	global_load_dword v11, v[23:24], off
	v_lshlrev_b64 v[23:24], 2, v[36:37]
	v_cvt_f32_i32_sdwa v47, sext(v18) dst_sel:DWORD dst_unused:UNUSED_PAD src0_sel:BYTE_1
	v_lshlrev_b64 v[36:37], 2, v[38:39]
	v_cvt_f32_i32_sdwa v38, sext(v15) dst_sel:DWORD dst_unused:UNUSED_PAD src0_sel:BYTE_2
	v_cvt_f32_i32_sdwa v39, sext(v16) dst_sel:DWORD dst_unused:UNUSED_PAD src0_sel:BYTE_0
	v_cvt_f32_i32_sdwa v48, sext(v18) dst_sel:DWORD dst_unused:UNUSED_PAD src0_sel:BYTE_2
	v_add_co_u32 v23, vcc_lo, s6, v23
	v_add_co_ci_u32_e64 v24, null, s7, v24, vcc_lo
	v_add_co_u32 v36, s0, s6, v36
	v_add_co_ci_u32_e64 v37, null, s7, v37, s0
	global_load_dword v42, v[23:24], off
	v_cvt_f32_i32_sdwa v18, sext(v18) dst_sel:DWORD dst_unused:UNUSED_PAD src0_sel:BYTE_3
	s_waitcnt vmcnt(4)
	v_cvt_f32_i32_sdwa v49, sext(v19) dst_sel:DWORD dst_unused:UNUSED_PAD src0_sel:BYTE_0
	global_load_dword v36, v[36:37], off
	v_sub_co_u32 v23, vcc_lo, v40, v1
	v_sub_co_ci_u32_e64 v24, null, v41, v2, vcc_lo
	v_cvt_f32_i32_sdwa v37, sext(v15) dst_sel:DWORD dst_unused:UNUSED_PAD src0_sel:BYTE_1
	v_cvt_f32_i32_sdwa v40, sext(v16) dst_sel:DWORD dst_unused:UNUSED_PAD src0_sel:BYTE_1
	v_cvt_f32_i32_sdwa v41, sext(v16) dst_sel:DWORD dst_unused:UNUSED_PAD src0_sel:BYTE_2
	v_lshlrev_b64 v[23:24], 2, v[23:24]
	v_cvt_f32_i32_sdwa v16, sext(v16) dst_sel:DWORD dst_unused:UNUSED_PAD src0_sel:BYTE_3
	v_cvt_f32_i32_sdwa v50, sext(v19) dst_sel:DWORD dst_unused:UNUSED_PAD src0_sel:BYTE_1
	v_cvt_f32_i32_sdwa v51, sext(v19) dst_sel:DWORD dst_unused:UNUSED_PAD src0_sel:BYTE_2
	v_cvt_f32_i32_sdwa v19, sext(v19) dst_sel:DWORD dst_unused:UNUSED_PAD src0_sel:BYTE_3
	v_cvt_f32_i32_sdwa v52, sext(v20) dst_sel:DWORD dst_unused:UNUSED_PAD src0_sel:BYTE_0
	v_add_co_u32 v23, vcc_lo, s6, v23
	v_add_co_ci_u32_e64 v24, null, s7, v24, vcc_lo
	v_cvt_f32_i32_sdwa v53, sext(v20) dst_sel:DWORD dst_unused:UNUSED_PAD src0_sel:BYTE_1
	v_cvt_f32_i32_sdwa v54, sext(v20) dst_sel:DWORD dst_unused:UNUSED_PAD src0_sel:BYTE_2
	v_cvt_f32_i32_sdwa v20, sext(v20) dst_sel:DWORD dst_unused:UNUSED_PAD src0_sel:BYTE_3
	global_load_dword v23, v[23:24], off
	v_cvt_f32_i32_sdwa v24, sext(v15) dst_sel:DWORD dst_unused:UNUSED_PAD src0_sel:BYTE_0
	v_cvt_f32_i32_sdwa v15, sext(v15) dst_sel:DWORD dst_unused:UNUSED_PAD src0_sel:BYTE_3
	v_cvt_f32_i32_sdwa v55, sext(v21) dst_sel:DWORD dst_unused:UNUSED_PAD src0_sel:BYTE_0
	v_cvt_f32_i32_sdwa v56, sext(v21) dst_sel:DWORD dst_unused:UNUSED_PAD src0_sel:BYTE_1
	v_cvt_f32_i32_sdwa v57, sext(v21) dst_sel:DWORD dst_unused:UNUSED_PAD src0_sel:BYTE_2
	v_cvt_f32_i32_sdwa v21, sext(v21) dst_sel:DWORD dst_unused:UNUSED_PAD src0_sel:BYTE_3
	v_cvt_f32_i32_sdwa v58, sext(v22) dst_sel:DWORD dst_unused:UNUSED_PAD src0_sel:BYTE_0
	v_cvt_f32_i32_sdwa v59, sext(v22) dst_sel:DWORD dst_unused:UNUSED_PAD src0_sel:BYTE_1
	v_cvt_f32_i32_sdwa v60, sext(v22) dst_sel:DWORD dst_unused:UNUSED_PAD src0_sel:BYTE_2
	v_cvt_f32_i32_sdwa v22, sext(v22) dst_sel:DWORD dst_unused:UNUSED_PAD src0_sel:BYTE_3
	s_waitcnt vmcnt(5)
	v_cvt_f32_i32_sdwa v61, sext(v28) dst_sel:DWORD dst_unused:UNUSED_PAD src0_sel:BYTE_0
	v_cvt_f32_i32_sdwa v62, sext(v28) dst_sel:DWORD dst_unused:UNUSED_PAD src0_sel:BYTE_1
	v_cvt_f32_i32_sdwa v63, sext(v28) dst_sel:DWORD dst_unused:UNUSED_PAD src0_sel:BYTE_2
	v_cvt_f32_i32_sdwa v28, sext(v28) dst_sel:DWORD dst_unused:UNUSED_PAD src0_sel:BYTE_3
	v_cvt_f32_i32_sdwa v64, sext(v29) dst_sel:DWORD dst_unused:UNUSED_PAD src0_sel:BYTE_0
	v_cvt_f32_i32_sdwa v65, sext(v29) dst_sel:DWORD dst_unused:UNUSED_PAD src0_sel:BYTE_1
	v_cvt_f32_i32_sdwa v66, sext(v29) dst_sel:DWORD dst_unused:UNUSED_PAD src0_sel:BYTE_2
	v_cvt_f32_i32_sdwa v29, sext(v29) dst_sel:DWORD dst_unused:UNUSED_PAD src0_sel:BYTE_3
	;; [unrolled: 4-line block ×4, first 2 shown]
	s_waitcnt vmcnt(4)
	v_cvt_f32_i32_sdwa v73, sext(v32) dst_sel:DWORD dst_unused:UNUSED_PAD src0_sel:BYTE_0
	v_cvt_f32_i32_sdwa v74, sext(v32) dst_sel:DWORD dst_unused:UNUSED_PAD src0_sel:BYTE_1
	v_cvt_f32_i32_sdwa v75, sext(v32) dst_sel:DWORD dst_unused:UNUSED_PAD src0_sel:BYTE_2
	v_cvt_f32_i32_sdwa v32, sext(v32) dst_sel:DWORD dst_unused:UNUSED_PAD src0_sel:BYTE_3
	v_cvt_f32_i32_sdwa v76, sext(v33) dst_sel:DWORD dst_unused:UNUSED_PAD src0_sel:BYTE_0
	v_cvt_f32_i32_sdwa v77, sext(v33) dst_sel:DWORD dst_unused:UNUSED_PAD src0_sel:BYTE_1
	v_cvt_f32_i32_sdwa v78, sext(v33) dst_sel:DWORD dst_unused:UNUSED_PAD src0_sel:BYTE_2
	v_cvt_f32_i32_sdwa v33, sext(v33) dst_sel:DWORD dst_unused:UNUSED_PAD src0_sel:BYTE_3
	v_add_co_u32 v9, vcc_lo, 0x100, v9
	v_add_co_ci_u32_e64 v10, null, 0, v10, vcc_lo
	v_add_co_u32 v5, vcc_lo, v5, 16
	v_cvt_f32_i32_sdwa v79, sext(v34) dst_sel:DWORD dst_unused:UNUSED_PAD src0_sel:BYTE_0
	v_cvt_f32_i32_sdwa v80, sext(v34) dst_sel:DWORD dst_unused:UNUSED_PAD src0_sel:BYTE_1
	v_cvt_f32_i32_sdwa v81, sext(v34) dst_sel:DWORD dst_unused:UNUSED_PAD src0_sel:BYTE_2
	v_cvt_f32_i32_sdwa v34, sext(v34) dst_sel:DWORD dst_unused:UNUSED_PAD src0_sel:BYTE_3
	v_add_co_ci_u32_e64 v6, null, 0, v6, vcc_lo
	v_add_co_u32 v13, vcc_lo, 0x80, v13
	v_cvt_f32_i32_sdwa v82, sext(v35) dst_sel:DWORD dst_unused:UNUSED_PAD src0_sel:BYTE_0
	v_cvt_f32_i32_sdwa v83, sext(v35) dst_sel:DWORD dst_unused:UNUSED_PAD src0_sel:BYTE_1
	v_cvt_f32_i32_sdwa v84, sext(v35) dst_sel:DWORD dst_unused:UNUSED_PAD src0_sel:BYTE_2
	v_cvt_f32_i32_sdwa v35, sext(v35) dst_sel:DWORD dst_unused:UNUSED_PAD src0_sel:BYTE_3
	v_add_co_ci_u32_e64 v14, null, 0, v14, vcc_lo
	v_cmp_ge_i64_e32 vcc_lo, v[5:6], v[7:8]
	s_or_b32 s8, vcc_lo, s8
	s_waitcnt vmcnt(3)
	v_cvt_f32_i32_sdwa v85, sext(v11) dst_sel:DWORD dst_unused:UNUSED_PAD src0_sel:BYTE_0
	v_cvt_f32_i32_sdwa v86, sext(v11) dst_sel:DWORD dst_unused:UNUSED_PAD src0_sel:BYTE_1
	v_fmac_f32_e32 v12, v24, v85
	v_fmac_f32_e32 v27, v37, v85
	v_fmac_f32_e32 v26, v38, v85
	v_fmac_f32_e32 v25, v15, v85
	v_cvt_f32_i32_sdwa v15, sext(v11) dst_sel:DWORD dst_unused:UNUSED_PAD src0_sel:BYTE_2
	v_fmac_f32_e32 v12, v39, v86
	v_fmac_f32_e32 v27, v40, v86
	v_fmac_f32_e32 v26, v41, v86
	v_fmac_f32_e32 v25, v16, v86
	v_cvt_f32_i32_sdwa v11, sext(v11) dst_sel:DWORD dst_unused:UNUSED_PAD src0_sel:BYTE_3
	v_fmac_f32_e32 v12, v43, v15
	v_fmac_f32_e32 v27, v44, v15
	v_fmac_f32_e32 v26, v45, v15
	v_fmac_f32_e32 v25, v17, v15
	s_waitcnt vmcnt(2)
	v_cvt_f32_i32_sdwa v15, sext(v42) dst_sel:DWORD dst_unused:UNUSED_PAD src0_sel:BYTE_0
	v_fmac_f32_e32 v12, v46, v11
	v_fmac_f32_e32 v27, v47, v11
	v_fmac_f32_e32 v26, v48, v11
	v_fmac_f32_e32 v25, v18, v11
	v_cvt_f32_i32_sdwa v11, sext(v42) dst_sel:DWORD dst_unused:UNUSED_PAD src0_sel:BYTE_1
	v_fmac_f32_e32 v12, v49, v15
	v_fmac_f32_e32 v27, v50, v15
	v_fmac_f32_e32 v26, v51, v15
	v_fmac_f32_e32 v25, v19, v15
	v_cvt_f32_i32_sdwa v15, sext(v42) dst_sel:DWORD dst_unused:UNUSED_PAD src0_sel:BYTE_2
	v_fmac_f32_e32 v12, v52, v11
	v_fmac_f32_e32 v27, v53, v11
	v_fmac_f32_e32 v26, v54, v11
	v_fmac_f32_e32 v25, v20, v11
	v_cvt_f32_i32_sdwa v11, sext(v42) dst_sel:DWORD dst_unused:UNUSED_PAD src0_sel:BYTE_3
	v_fmac_f32_e32 v12, v55, v15
	v_fmac_f32_e32 v27, v56, v15
	v_fmac_f32_e32 v26, v57, v15
	v_fmac_f32_e32 v25, v21, v15
	s_waitcnt vmcnt(1)
	v_cvt_f32_i32_sdwa v15, sext(v36) dst_sel:DWORD dst_unused:UNUSED_PAD src0_sel:BYTE_0
	v_fmac_f32_e32 v12, v58, v11
	v_fmac_f32_e32 v27, v59, v11
	v_fmac_f32_e32 v26, v60, v11
	v_fmac_f32_e32 v25, v22, v11
	;; [unrolled: 21-line block ×3, first 2 shown]
	v_cvt_f32_i32_sdwa v11, sext(v23) dst_sel:DWORD dst_unused:UNUSED_PAD src0_sel:BYTE_1
	v_fmac_f32_e32 v12, v73, v15
	v_fmac_f32_e32 v27, v74, v15
	v_fmac_f32_e32 v26, v75, v15
	v_fmac_f32_e32 v25, v32, v15
	v_cvt_f32_i32_sdwa v15, sext(v23) dst_sel:DWORD dst_unused:UNUSED_PAD src0_sel:BYTE_2
	v_fmac_f32_e32 v12, v76, v11
	v_fmac_f32_e32 v27, v77, v11
	v_fmac_f32_e32 v26, v78, v11
	v_fmac_f32_e32 v25, v33, v11
	v_cvt_f32_i32_sdwa v11, sext(v23) dst_sel:DWORD dst_unused:UNUSED_PAD src0_sel:BYTE_3
	v_fmac_f32_e32 v12, v79, v15
	v_fmac_f32_e32 v27, v80, v15
	;; [unrolled: 1-line block ×8, first 2 shown]
	s_andn2_b32 exec_lo, exec_lo, s8
	s_cbranch_execnz .LBB85_35
; %bb.36:
	s_or_b32 exec_lo, exec_lo, s8
.LBB85_37:
	s_or_b32 exec_lo, exec_lo, s3
.LBB85_38:
	s_or_b32 exec_lo, exec_lo, s1
.LBB85_39:
	v_mbcnt_lo_u32_b32 v1, -1, 0
	s_mov_b32 s3, -1
	v_xor_b32_e32 v2, 2, v1
	v_cmp_gt_i32_e32 vcc_lo, 32, v2
	v_cndmask_b32_e32 v2, v1, v2, vcc_lo
	v_lshlrev_b32_e32 v2, 2, v2
	ds_bpermute_b32 v5, v2, v12
	ds_bpermute_b32 v6, v2, v27
	;; [unrolled: 1-line block ×4, first 2 shown]
	v_xor_b32_e32 v2, 1, v1
	v_cmp_gt_i32_e32 vcc_lo, 32, v2
	v_cndmask_b32_e32 v1, v1, v2, vcc_lo
	v_cmp_eq_u32_e32 vcc_lo, 3, v0
	v_lshlrev_b32_e32 v10, 2, v1
	s_waitcnt lgkmcnt(3)
	v_add_f32_e32 v1, v12, v5
	s_waitcnt lgkmcnt(2)
	v_add_f32_e32 v2, v27, v6
	;; [unrolled: 2-line block ×4, first 2 shown]
	ds_bpermute_b32 v7, v10, v1
	ds_bpermute_b32 v8, v10, v2
	;; [unrolled: 1-line block ×4, first 2 shown]
	s_and_b32 exec_lo, exec_lo, vcc_lo
	s_cbranch_execz .LBB85_10
; %bb.40:
	s_load_dwordx2 s[0:1], s[4:5], 0x58
	s_waitcnt lgkmcnt(0)
	v_add_f32_e32 v0, v1, v7
	v_add_f32_e32 v1, v2, v8
	;; [unrolled: 1-line block ×4, first 2 shown]
	v_cmp_eq_f32_e64 s4, s2, 0
	v_lshlrev_b64 v[4:5], 4, v[3:4]
	v_mul_f32_e32 v0, s16, v0
	v_mul_f32_e32 v1, s16, v1
	;; [unrolled: 1-line block ×4, first 2 shown]
	s_and_b32 vcc_lo, exec_lo, s4
	s_cbranch_vccz .LBB85_42
; %bb.41:
	v_add_co_u32 v6, vcc_lo, s0, v4
	v_add_co_ci_u32_e64 v7, null, s1, v5, vcc_lo
	s_mov_b32 s3, 0
	global_store_dwordx4 v[6:7], v[0:3], off
.LBB85_42:
	s_andn2_b32 vcc_lo, exec_lo, s3
	s_cbranch_vccnz .LBB85_10
; %bb.43:
	v_add_co_u32 v8, vcc_lo, s0, v4
	v_add_co_ci_u32_e64 v9, null, s1, v5, vcc_lo
	global_load_dwordx4 v[4:7], v[8:9], off
	s_waitcnt vmcnt(0)
	v_fmac_f32_e32 v0, s2, v4
	v_fmac_f32_e32 v1, s2, v5
	;; [unrolled: 1-line block ×4, first 2 shown]
	global_store_dwordx4 v[8:9], v[0:3], off
	s_endpgm
	.section	.rodata,"a",@progbits
	.p2align	6, 0x0
	.amdhsa_kernel _ZN9rocsparseL18bsrxmvn_4x4_kernelILj128ELj4EfllaafEEvT3_20rocsparse_direction_NS_24const_host_device_scalarIT1_EES1_PKS1_PKT2_SA_S7_PKT4_PKT5_S5_PT6_21rocsparse_index_base_b
		.amdhsa_group_segment_fixed_size 0
		.amdhsa_private_segment_fixed_size 0
		.amdhsa_kernarg_size 104
		.amdhsa_user_sgpr_count 6
		.amdhsa_user_sgpr_private_segment_buffer 1
		.amdhsa_user_sgpr_dispatch_ptr 0
		.amdhsa_user_sgpr_queue_ptr 0
		.amdhsa_user_sgpr_kernarg_segment_ptr 1
		.amdhsa_user_sgpr_dispatch_id 0
		.amdhsa_user_sgpr_flat_scratch_init 0
		.amdhsa_user_sgpr_private_segment_size 0
		.amdhsa_wavefront_size32 1
		.amdhsa_uses_dynamic_stack 0
		.amdhsa_system_sgpr_private_segment_wavefront_offset 0
		.amdhsa_system_sgpr_workgroup_id_x 1
		.amdhsa_system_sgpr_workgroup_id_y 0
		.amdhsa_system_sgpr_workgroup_id_z 0
		.amdhsa_system_sgpr_workgroup_info 0
		.amdhsa_system_vgpr_workitem_id 0
		.amdhsa_next_free_vgpr 93
		.amdhsa_next_free_sgpr 20
		.amdhsa_reserve_vcc 1
		.amdhsa_reserve_flat_scratch 0
		.amdhsa_float_round_mode_32 0
		.amdhsa_float_round_mode_16_64 0
		.amdhsa_float_denorm_mode_32 3
		.amdhsa_float_denorm_mode_16_64 3
		.amdhsa_dx10_clamp 1
		.amdhsa_ieee_mode 1
		.amdhsa_fp16_overflow 0
		.amdhsa_workgroup_processor_mode 1
		.amdhsa_memory_ordered 1
		.amdhsa_forward_progress 1
		.amdhsa_shared_vgpr_count 0
		.amdhsa_exception_fp_ieee_invalid_op 0
		.amdhsa_exception_fp_denorm_src 0
		.amdhsa_exception_fp_ieee_div_zero 0
		.amdhsa_exception_fp_ieee_overflow 0
		.amdhsa_exception_fp_ieee_underflow 0
		.amdhsa_exception_fp_ieee_inexact 0
		.amdhsa_exception_int_div_zero 0
	.end_amdhsa_kernel
	.section	.text._ZN9rocsparseL18bsrxmvn_4x4_kernelILj128ELj4EfllaafEEvT3_20rocsparse_direction_NS_24const_host_device_scalarIT1_EES1_PKS1_PKT2_SA_S7_PKT4_PKT5_S5_PT6_21rocsparse_index_base_b,"axG",@progbits,_ZN9rocsparseL18bsrxmvn_4x4_kernelILj128ELj4EfllaafEEvT3_20rocsparse_direction_NS_24const_host_device_scalarIT1_EES1_PKS1_PKT2_SA_S7_PKT4_PKT5_S5_PT6_21rocsparse_index_base_b,comdat
.Lfunc_end85:
	.size	_ZN9rocsparseL18bsrxmvn_4x4_kernelILj128ELj4EfllaafEEvT3_20rocsparse_direction_NS_24const_host_device_scalarIT1_EES1_PKS1_PKT2_SA_S7_PKT4_PKT5_S5_PT6_21rocsparse_index_base_b, .Lfunc_end85-_ZN9rocsparseL18bsrxmvn_4x4_kernelILj128ELj4EfllaafEEvT3_20rocsparse_direction_NS_24const_host_device_scalarIT1_EES1_PKS1_PKT2_SA_S7_PKT4_PKT5_S5_PT6_21rocsparse_index_base_b
                                        ; -- End function
	.set _ZN9rocsparseL18bsrxmvn_4x4_kernelILj128ELj4EfllaafEEvT3_20rocsparse_direction_NS_24const_host_device_scalarIT1_EES1_PKS1_PKT2_SA_S7_PKT4_PKT5_S5_PT6_21rocsparse_index_base_b.num_vgpr, 93
	.set _ZN9rocsparseL18bsrxmvn_4x4_kernelILj128ELj4EfllaafEEvT3_20rocsparse_direction_NS_24const_host_device_scalarIT1_EES1_PKS1_PKT2_SA_S7_PKT4_PKT5_S5_PT6_21rocsparse_index_base_b.num_agpr, 0
	.set _ZN9rocsparseL18bsrxmvn_4x4_kernelILj128ELj4EfllaafEEvT3_20rocsparse_direction_NS_24const_host_device_scalarIT1_EES1_PKS1_PKT2_SA_S7_PKT4_PKT5_S5_PT6_21rocsparse_index_base_b.numbered_sgpr, 20
	.set _ZN9rocsparseL18bsrxmvn_4x4_kernelILj128ELj4EfllaafEEvT3_20rocsparse_direction_NS_24const_host_device_scalarIT1_EES1_PKS1_PKT2_SA_S7_PKT4_PKT5_S5_PT6_21rocsparse_index_base_b.num_named_barrier, 0
	.set _ZN9rocsparseL18bsrxmvn_4x4_kernelILj128ELj4EfllaafEEvT3_20rocsparse_direction_NS_24const_host_device_scalarIT1_EES1_PKS1_PKT2_SA_S7_PKT4_PKT5_S5_PT6_21rocsparse_index_base_b.private_seg_size, 0
	.set _ZN9rocsparseL18bsrxmvn_4x4_kernelILj128ELj4EfllaafEEvT3_20rocsparse_direction_NS_24const_host_device_scalarIT1_EES1_PKS1_PKT2_SA_S7_PKT4_PKT5_S5_PT6_21rocsparse_index_base_b.uses_vcc, 1
	.set _ZN9rocsparseL18bsrxmvn_4x4_kernelILj128ELj4EfllaafEEvT3_20rocsparse_direction_NS_24const_host_device_scalarIT1_EES1_PKS1_PKT2_SA_S7_PKT4_PKT5_S5_PT6_21rocsparse_index_base_b.uses_flat_scratch, 0
	.set _ZN9rocsparseL18bsrxmvn_4x4_kernelILj128ELj4EfllaafEEvT3_20rocsparse_direction_NS_24const_host_device_scalarIT1_EES1_PKS1_PKT2_SA_S7_PKT4_PKT5_S5_PT6_21rocsparse_index_base_b.has_dyn_sized_stack, 0
	.set _ZN9rocsparseL18bsrxmvn_4x4_kernelILj128ELj4EfllaafEEvT3_20rocsparse_direction_NS_24const_host_device_scalarIT1_EES1_PKS1_PKT2_SA_S7_PKT4_PKT5_S5_PT6_21rocsparse_index_base_b.has_recursion, 0
	.set _ZN9rocsparseL18bsrxmvn_4x4_kernelILj128ELj4EfllaafEEvT3_20rocsparse_direction_NS_24const_host_device_scalarIT1_EES1_PKS1_PKT2_SA_S7_PKT4_PKT5_S5_PT6_21rocsparse_index_base_b.has_indirect_call, 0
	.section	.AMDGPU.csdata,"",@progbits
; Kernel info:
; codeLenInByte = 4816
; TotalNumSgprs: 22
; NumVgprs: 93
; ScratchSize: 0
; MemoryBound: 0
; FloatMode: 240
; IeeeMode: 1
; LDSByteSize: 0 bytes/workgroup (compile time only)
; SGPRBlocks: 0
; VGPRBlocks: 11
; NumSGPRsForWavesPerEU: 22
; NumVGPRsForWavesPerEU: 93
; Occupancy: 10
; WaveLimiterHint : 1
; COMPUTE_PGM_RSRC2:SCRATCH_EN: 0
; COMPUTE_PGM_RSRC2:USER_SGPR: 6
; COMPUTE_PGM_RSRC2:TRAP_HANDLER: 0
; COMPUTE_PGM_RSRC2:TGID_X_EN: 1
; COMPUTE_PGM_RSRC2:TGID_Y_EN: 0
; COMPUTE_PGM_RSRC2:TGID_Z_EN: 0
; COMPUTE_PGM_RSRC2:TIDIG_COMP_CNT: 0
	.section	.text._ZN9rocsparseL18bsrxmvn_4x4_kernelILj128ELj8EfllaafEEvT3_20rocsparse_direction_NS_24const_host_device_scalarIT1_EES1_PKS1_PKT2_SA_S7_PKT4_PKT5_S5_PT6_21rocsparse_index_base_b,"axG",@progbits,_ZN9rocsparseL18bsrxmvn_4x4_kernelILj128ELj8EfllaafEEvT3_20rocsparse_direction_NS_24const_host_device_scalarIT1_EES1_PKS1_PKT2_SA_S7_PKT4_PKT5_S5_PT6_21rocsparse_index_base_b,comdat
	.globl	_ZN9rocsparseL18bsrxmvn_4x4_kernelILj128ELj8EfllaafEEvT3_20rocsparse_direction_NS_24const_host_device_scalarIT1_EES1_PKS1_PKT2_SA_S7_PKT4_PKT5_S5_PT6_21rocsparse_index_base_b ; -- Begin function _ZN9rocsparseL18bsrxmvn_4x4_kernelILj128ELj8EfllaafEEvT3_20rocsparse_direction_NS_24const_host_device_scalarIT1_EES1_PKS1_PKT2_SA_S7_PKT4_PKT5_S5_PT6_21rocsparse_index_base_b
	.p2align	8
	.type	_ZN9rocsparseL18bsrxmvn_4x4_kernelILj128ELj8EfllaafEEvT3_20rocsparse_direction_NS_24const_host_device_scalarIT1_EES1_PKS1_PKT2_SA_S7_PKT4_PKT5_S5_PT6_21rocsparse_index_base_b,@function
_ZN9rocsparseL18bsrxmvn_4x4_kernelILj128ELj8EfllaafEEvT3_20rocsparse_direction_NS_24const_host_device_scalarIT1_EES1_PKS1_PKT2_SA_S7_PKT4_PKT5_S5_PT6_21rocsparse_index_base_b: ; @_ZN9rocsparseL18bsrxmvn_4x4_kernelILj128ELj8EfllaafEEvT3_20rocsparse_direction_NS_24const_host_device_scalarIT1_EES1_PKS1_PKT2_SA_S7_PKT4_PKT5_S5_PT6_21rocsparse_index_base_b
; %bb.0:
	s_clause 0x2
	s_load_dwordx2 s[0:1], s[4:5], 0x60
	s_load_dwordx4 s[16:19], s[4:5], 0x10
	s_load_dwordx2 s[2:3], s[4:5], 0x50
	s_waitcnt lgkmcnt(0)
	s_bitcmp1_b32 s1, 0
	s_cselect_b32 s1, -1, 0
	s_and_b32 vcc_lo, exec_lo, s1
	s_xor_b32 s1, s1, -1
	s_cbranch_vccnz .LBB86_2
; %bb.1:
	s_load_dword s16, s[16:17], 0x0
.LBB86_2:
	s_andn2_b32 vcc_lo, exec_lo, s1
	s_cbranch_vccnz .LBB86_4
; %bb.3:
	s_load_dword s2, s[2:3], 0x0
.LBB86_4:
	s_waitcnt lgkmcnt(0)
	v_cmp_neq_f32_e64 s1, s16, 0
	v_cmp_neq_f32_e64 s3, s2, 1.0
	s_or_b32 s1, s1, s3
	s_mov_b32 s3, 0
	s_andn2_b32 vcc_lo, exec_lo, s1
	s_cbranch_vccnz .LBB86_10
; %bb.5:
	s_load_dwordx2 s[8:9], s[4:5], 0x20
	v_lshrrev_b32_e32 v1, 3, v0
	v_mov_b32_e32 v6, 0
	v_lshl_or_b32 v5, s6, 4, v1
	s_waitcnt lgkmcnt(0)
	s_cmp_lg_u64 s[8:9], 0
	s_cbranch_scc0 .LBB86_11
; %bb.6:
	s_mov_b32 s6, 0
                                        ; implicit-def: $vgpr3_vgpr4
                                        ; implicit-def: $vgpr1_vgpr2
	s_mov_b32 s1, exec_lo
	v_cmpx_gt_i64_e64 s[18:19], v[5:6]
	s_xor_b32 s7, exec_lo, s1
	s_cbranch_execz .LBB86_8
; %bb.7:
	v_lshlrev_b64 v[1:2], 3, v[5:6]
	s_mov_b32 s1, 0
	s_mov_b32 s3, exec_lo
	v_add_co_u32 v1, vcc_lo, s8, v1
	v_add_co_ci_u32_e64 v2, null, s9, v2, vcc_lo
	global_load_dwordx2 v[1:2], v[1:2], off
	s_waitcnt vmcnt(0)
	v_sub_co_u32 v3, vcc_lo, v1, s0
	v_subrev_co_ci_u32_e64 v4, null, 0, v2, vcc_lo
	v_mov_b32_e32 v2, s1
	v_mov_b32_e32 v1, s0
.LBB86_8:
	s_or_b32 exec_lo, exec_lo, s7
	s_and_b32 vcc_lo, exec_lo, s6
	s_cbranch_vccnz .LBB86_12
.LBB86_9:
	s_and_saveexec_b32 s0, s3
	s_cbranch_execnz .LBB86_15
.LBB86_10:
	s_endpgm
.LBB86_11:
                                        ; implicit-def: $vgpr3_vgpr4
                                        ; implicit-def: $vgpr1_vgpr2
	s_cbranch_execz .LBB86_9
.LBB86_12:
	s_load_dwordx2 s[6:7], s[4:5], 0x0
	s_waitcnt lgkmcnt(0)
	v_cmp_gt_i64_e32 vcc_lo, s[6:7], v[5:6]
	s_and_saveexec_b32 s6, vcc_lo
; %bb.13:
	s_mov_b32 s1, 0
	s_or_b32 s3, s3, exec_lo
; %bb.14:
	s_or_b32 exec_lo, exec_lo, s6
	v_mov_b32_e32 v2, s1
	v_mov_b32_e32 v3, v5
	;; [unrolled: 1-line block ×4, first 2 shown]
	s_and_saveexec_b32 s0, s3
	s_cbranch_execz .LBB86_10
.LBB86_15:
	s_load_dwordx8 s[8:15], s[4:5], 0x28
	v_lshlrev_b64 v[5:6], 3, v[3:4]
	v_and_b32_e32 v0, 7, v0
	s_clause 0x1
	s_load_dword s1, s[4:5], 0x8
	s_load_dwordx2 s[6:7], s[4:5], 0x48
	v_mov_b32_e32 v25, 0
	s_waitcnt lgkmcnt(0)
	v_add_co_u32 v7, vcc_lo, s8, v5
	v_add_co_ci_u32_e64 v8, null, s9, v6, vcc_lo
	v_add_co_u32 v5, vcc_lo, s10, v5
	v_add_co_ci_u32_e64 v6, null, s11, v6, vcc_lo
	v_add_co_u32 v9, vcc_lo, v7, 8
	global_load_dwordx2 v[13:14], v[7:8], off
	v_add_co_ci_u32_e64 v10, null, 0, v8, vcc_lo
	s_cmp_eq_u64 s[10:11], 0
	s_cselect_b32 vcc_lo, -1, 0
	s_cmp_eq_u32 s1, 1
	v_cndmask_b32_e32 v6, v6, v10, vcc_lo
	v_cndmask_b32_e32 v5, v5, v9, vcc_lo
	global_load_dwordx2 v[7:8], v[5:6], off
	s_waitcnt vmcnt(1)
	v_sub_co_u32 v5, vcc_lo, v13, v1
	v_sub_co_ci_u32_e64 v6, null, v14, v2, vcc_lo
	v_add_co_u32 v5, vcc_lo, v5, v0
	v_add_co_ci_u32_e64 v6, null, 0, v6, vcc_lo
	v_lshlrev_b64 v[9:10], 4, v[5:6]
	s_waitcnt vmcnt(0)
	v_sub_co_u32 v7, vcc_lo, v7, v1
	v_sub_co_ci_u32_e64 v8, null, v8, v2, vcc_lo
	v_add_co_u32 v9, vcc_lo, s14, v9
	v_cmp_lt_i64_e64 s0, v[5:6], v[7:8]
	v_add_co_ci_u32_e64 v10, null, s15, v10, vcc_lo
	s_cbranch_scc1 .LBB86_27
; %bb.16:
	v_mov_b32_e32 v26, 0
	v_mov_b32_e32 v27, 0
	;; [unrolled: 1-line block ×3, first 2 shown]
	s_and_saveexec_b32 s3, s0
	s_cbranch_execz .LBB86_26
; %bb.17:
	v_or_b32_e32 v11, 8, v0
	v_not_b32_e32 v16, v13
	v_sub_co_u32 v17, s1, v1, v0
	v_not_b32_e32 v15, v14
	v_sub_co_u32 v11, vcc_lo, v11, v1
	v_sub_co_ci_u32_e64 v12, null, 0, v2, vcc_lo
	v_subrev_co_ci_u32_e64 v18, null, 0, v2, s1
	v_add_co_u32 v11, vcc_lo, v11, v13
	v_add_co_ci_u32_e64 v12, null, v12, v14, vcc_lo
	s_mov_b32 s1, exec_lo
	v_cmp_gt_i64_e32 vcc_lo, v[11:12], v[7:8]
	v_cndmask_b32_e32 v20, v8, v12, vcc_lo
	v_cndmask_b32_e32 v11, v7, v11, vcc_lo
	v_add_co_u32 v12, vcc_lo, v17, v16
	v_add_co_ci_u32_e64 v15, null, v18, v15, vcc_lo
	v_mov_b32_e32 v18, v10
	v_add_co_u32 v19, vcc_lo, v12, v11
	v_mov_b32_e32 v12, 0
	v_add_co_ci_u32_e64 v20, null, v15, v20, vcc_lo
	v_mov_b32_e32 v16, v6
	v_and_b32_e32 v11, 24, v19
	v_mov_b32_e32 v27, v12
	v_mov_b32_e32 v26, v12
	;; [unrolled: 1-line block ×5, first 2 shown]
	v_cmpx_ne_u64_e32 24, v[11:12]
	s_cbranch_execz .LBB86_21
; %bb.18:
	v_lshrrev_b32_e32 v11, 3, v19
	v_mov_b32_e32 v18, v10
	v_mov_b32_e32 v16, v6
	;; [unrolled: 1-line block ×4, first 2 shown]
	v_add_nc_u32_e32 v21, 1, v11
	v_lshlrev_b64 v[11:12], 3, v[5:6]
	v_mov_b32_e32 v15, v5
	v_mov_b32_e32 v26, 0
	;; [unrolled: 1-line block ×3, first 2 shown]
	v_and_b32_e32 v23, 3, v21
	v_add_co_u32 v21, vcc_lo, s12, v11
	v_add_co_ci_u32_e64 v22, null, s13, v12, vcc_lo
	v_sub_co_u32 v23, s8, 0, v23
	v_sub_co_ci_u32_e64 v24, null, 0, 0, s8
	v_mov_b32_e32 v12, 0
	s_mov_b32 s8, 0
.LBB86_19:                              ; =>This Inner Loop Header: Depth=1
	global_load_dwordx2 v[28:29], v[21:22], off
	s_waitcnt vmcnt(0)
	v_sub_co_u32 v28, vcc_lo, v28, v1
	v_sub_co_ci_u32_e64 v29, null, v29, v2, vcc_lo
	v_lshlrev_b64 v[28:29], 2, v[28:29]
	v_add_co_u32 v32, vcc_lo, s6, v28
	v_add_co_ci_u32_e64 v33, null, s7, v29, vcc_lo
	global_load_dwordx4 v[28:31], v[17:18], off
	global_load_dword v11, v[32:33], off
	v_add_co_u32 v17, vcc_lo, 0x80, v17
	v_add_co_ci_u32_e64 v18, null, 0, v18, vcc_lo
	v_add_co_u32 v15, vcc_lo, v15, 8
	v_add_co_ci_u32_e64 v16, null, 0, v16, vcc_lo
	;; [unrolled: 2-line block ×4, first 2 shown]
	v_cmp_eq_u64_e32 vcc_lo, 0, v[23:24]
	s_or_b32 s8, vcc_lo, s8
	s_waitcnt vmcnt(1)
	v_cvt_f32_i32_sdwa v32, sext(v28) dst_sel:DWORD dst_unused:UNUSED_PAD src0_sel:BYTE_0
	v_cvt_f32_i32_sdwa v35, sext(v29) dst_sel:DWORD dst_unused:UNUSED_PAD src0_sel:BYTE_0
	;; [unrolled: 1-line block ×4, first 2 shown]
	s_waitcnt vmcnt(0)
	v_cvt_f32_i32_sdwa v44, sext(v11) dst_sel:DWORD dst_unused:UNUSED_PAD src0_sel:BYTE_0
	v_cvt_f32_i32_sdwa v33, sext(v28) dst_sel:DWORD dst_unused:UNUSED_PAD src0_sel:BYTE_1
	v_cvt_f32_i32_sdwa v36, sext(v29) dst_sel:DWORD dst_unused:UNUSED_PAD src0_sel:BYTE_1
	v_cvt_f32_i32_sdwa v39, sext(v30) dst_sel:DWORD dst_unused:UNUSED_PAD src0_sel:BYTE_1
	v_cvt_f32_i32_sdwa v42, sext(v31) dst_sel:DWORD dst_unused:UNUSED_PAD src0_sel:BYTE_1
	v_cvt_f32_i32_sdwa v45, sext(v11) dst_sel:DWORD dst_unused:UNUSED_PAD src0_sel:BYTE_1
	v_fmac_f32_e32 v12, v32, v44
	v_fmac_f32_e32 v27, v35, v44
	;; [unrolled: 1-line block ×4, first 2 shown]
	v_cvt_f32_i32_sdwa v34, sext(v28) dst_sel:DWORD dst_unused:UNUSED_PAD src0_sel:BYTE_2
	v_cvt_f32_i32_sdwa v37, sext(v29) dst_sel:DWORD dst_unused:UNUSED_PAD src0_sel:BYTE_2
	;; [unrolled: 1-line block ×5, first 2 shown]
	v_fmac_f32_e32 v12, v33, v45
	v_fmac_f32_e32 v27, v36, v45
	;; [unrolled: 1-line block ×4, first 2 shown]
	v_cvt_f32_i32_sdwa v28, sext(v28) dst_sel:DWORD dst_unused:UNUSED_PAD src0_sel:BYTE_3
	v_cvt_f32_i32_sdwa v29, sext(v29) dst_sel:DWORD dst_unused:UNUSED_PAD src0_sel:BYTE_3
	;; [unrolled: 1-line block ×5, first 2 shown]
	v_fmac_f32_e32 v12, v34, v32
	v_fmac_f32_e32 v27, v37, v32
	;; [unrolled: 1-line block ×8, first 2 shown]
	s_andn2_b32 exec_lo, exec_lo, s8
	s_cbranch_execnz .LBB86_19
; %bb.20:
	s_or_b32 exec_lo, exec_lo, s8
.LBB86_21:
	s_or_b32 exec_lo, exec_lo, s1
	s_mov_b32 s8, exec_lo
	v_cmpx_lt_u64_e32 23, v[19:20]
	s_cbranch_execz .LBB86_25
; %bb.22:
	v_lshlrev_b64 v[19:20], 3, v[15:16]
	s_mov_b32 s9, 0
	v_add_co_u32 v11, vcc_lo, s12, v19
	v_add_co_ci_u32_e64 v20, null, s13, v20, vcc_lo
	v_add_co_u32 v19, vcc_lo, 0x80, v11
	v_add_co_ci_u32_e64 v20, null, 0, v20, vcc_lo
.LBB86_23:                              ; =>This Inner Loop Header: Depth=1
	s_clause 0x3
	global_load_dwordx2 v[40:41], v[19:20], off offset:-128
	global_load_dwordx2 v[42:43], v[19:20], off offset:-64
	global_load_dwordx2 v[44:45], v[19:20], off
	global_load_dwordx2 v[46:47], v[19:20], off offset:64
	s_clause 0x3
	global_load_dwordx4 v[21:24], v[17:18], off
	global_load_dwordx4 v[28:31], v[17:18], off offset:128
	global_load_dwordx4 v[32:35], v[17:18], off offset:256
	;; [unrolled: 1-line block ×3, first 2 shown]
	s_waitcnt vmcnt(7)
	v_sub_co_u32 v40, vcc_lo, v40, v1
	v_sub_co_ci_u32_e64 v41, null, v41, v2, vcc_lo
	s_waitcnt vmcnt(6)
	v_sub_co_u32 v42, vcc_lo, v42, v1
	v_sub_co_ci_u32_e64 v43, null, v43, v2, vcc_lo
	v_lshlrev_b64 v[40:41], 2, v[40:41]
	s_waitcnt vmcnt(3)
	v_cvt_f32_i32_sdwa v49, sext(v23) dst_sel:DWORD dst_unused:UNUSED_PAD src0_sel:BYTE_0
	v_cvt_f32_i32_sdwa v52, sext(v24) dst_sel:DWORD dst_unused:UNUSED_PAD src0_sel:BYTE_0
	v_cvt_f32_i32_sdwa v50, sext(v23) dst_sel:DWORD dst_unused:UNUSED_PAD src0_sel:BYTE_1
	v_cvt_f32_i32_sdwa v53, sext(v24) dst_sel:DWORD dst_unused:UNUSED_PAD src0_sel:BYTE_1
	v_cvt_f32_i32_sdwa v48, sext(v22) dst_sel:DWORD dst_unused:UNUSED_PAD src0_sel:BYTE_2
	v_add_co_u32 v40, vcc_lo, s6, v40
	v_add_co_ci_u32_e64 v41, null, s7, v41, vcc_lo
	v_sub_co_u32 v44, vcc_lo, v44, v1
	v_sub_co_ci_u32_e64 v45, null, v45, v2, vcc_lo
	global_load_dword v11, v[40:41], off
	v_lshlrev_b64 v[40:41], 2, v[42:43]
	v_cvt_f32_i32_sdwa v51, sext(v23) dst_sel:DWORD dst_unused:UNUSED_PAD src0_sel:BYTE_2
	v_cvt_f32_i32_sdwa v54, sext(v24) dst_sel:DWORD dst_unused:UNUSED_PAD src0_sel:BYTE_2
	v_cvt_f32_i32_sdwa v23, sext(v23) dst_sel:DWORD dst_unused:UNUSED_PAD src0_sel:BYTE_3
	v_cvt_f32_i32_sdwa v24, sext(v24) dst_sel:DWORD dst_unused:UNUSED_PAD src0_sel:BYTE_3
	s_waitcnt vmcnt(3)
	v_cvt_f32_i32_sdwa v55, sext(v28) dst_sel:DWORD dst_unused:UNUSED_PAD src0_sel:BYTE_0
	v_add_co_u32 v40, vcc_lo, s6, v40
	v_add_co_ci_u32_e64 v41, null, s7, v41, vcc_lo
	v_cvt_f32_i32_sdwa v58, sext(v29) dst_sel:DWORD dst_unused:UNUSED_PAD src0_sel:BYTE_0
	v_cvt_f32_i32_sdwa v61, sext(v30) dst_sel:DWORD dst_unused:UNUSED_PAD src0_sel:BYTE_0
	;; [unrolled: 1-line block ×3, first 2 shown]
	global_load_dword v43, v[40:41], off
	v_lshlrev_b64 v[41:42], 2, v[44:45]
	v_sub_co_u32 v40, vcc_lo, v46, v1
	v_cvt_f32_i32_sdwa v46, sext(v22) dst_sel:DWORD dst_unused:UNUSED_PAD src0_sel:BYTE_0
	v_cvt_f32_i32_sdwa v44, sext(v21) dst_sel:DWORD dst_unused:UNUSED_PAD src0_sel:BYTE_1
	v_cvt_f32_i32_sdwa v45, sext(v21) dst_sel:DWORD dst_unused:UNUSED_PAD src0_sel:BYTE_2
	v_add_co_u32 v41, s1, s6, v41
	v_add_co_ci_u32_e64 v42, null, s7, v42, s1
	v_cvt_f32_i32_sdwa v56, sext(v28) dst_sel:DWORD dst_unused:UNUSED_PAD src0_sel:BYTE_1
	v_cvt_f32_i32_sdwa v59, sext(v29) dst_sel:DWORD dst_unused:UNUSED_PAD src0_sel:BYTE_1
	;; [unrolled: 1-line block ×3, first 2 shown]
	global_load_dword v42, v[41:42], off
	v_sub_co_ci_u32_e64 v41, null, v47, v2, vcc_lo
	v_cvt_f32_i32_sdwa v47, sext(v22) dst_sel:DWORD dst_unused:UNUSED_PAD src0_sel:BYTE_1
	v_cvt_f32_i32_sdwa v22, sext(v22) dst_sel:DWORD dst_unused:UNUSED_PAD src0_sel:BYTE_3
	v_cvt_f32_i32_sdwa v65, sext(v31) dst_sel:DWORD dst_unused:UNUSED_PAD src0_sel:BYTE_1
	v_lshlrev_b64 v[40:41], 2, v[40:41]
	v_cvt_f32_i32_sdwa v57, sext(v28) dst_sel:DWORD dst_unused:UNUSED_PAD src0_sel:BYTE_2
	v_cvt_f32_i32_sdwa v60, sext(v29) dst_sel:DWORD dst_unused:UNUSED_PAD src0_sel:BYTE_2
	;; [unrolled: 1-line block ×4, first 2 shown]
	v_cvt_f32_i32_sdwa v28, sext(v28) dst_sel:DWORD dst_unused:UNUSED_PAD src0_sel:BYTE_3
	v_add_co_u32 v40, vcc_lo, s6, v40
	v_add_co_ci_u32_e64 v41, null, s7, v41, vcc_lo
	v_cvt_f32_i32_sdwa v29, sext(v29) dst_sel:DWORD dst_unused:UNUSED_PAD src0_sel:BYTE_3
	v_cvt_f32_i32_sdwa v30, sext(v30) dst_sel:DWORD dst_unused:UNUSED_PAD src0_sel:BYTE_3
	;; [unrolled: 1-line block ×3, first 2 shown]
	global_load_dword v40, v[40:41], off
	v_cvt_f32_i32_sdwa v41, sext(v21) dst_sel:DWORD dst_unused:UNUSED_PAD src0_sel:BYTE_0
	v_cvt_f32_i32_sdwa v21, sext(v21) dst_sel:DWORD dst_unused:UNUSED_PAD src0_sel:BYTE_3
	s_waitcnt vmcnt(5)
	v_cvt_f32_i32_sdwa v67, sext(v32) dst_sel:DWORD dst_unused:UNUSED_PAD src0_sel:BYTE_0
	v_cvt_f32_i32_sdwa v70, sext(v33) dst_sel:DWORD dst_unused:UNUSED_PAD src0_sel:BYTE_0
	;; [unrolled: 1-line block ×4, first 2 shown]
	v_cvt_f32_i32_sdwa v68, sext(v32) dst_sel:DWORD dst_unused:UNUSED_PAD src0_sel:BYTE_1
	v_cvt_f32_i32_sdwa v71, sext(v33) dst_sel:DWORD dst_unused:UNUSED_PAD src0_sel:BYTE_1
	;; [unrolled: 1-line block ×4, first 2 shown]
	v_cvt_f32_i32_sdwa v69, sext(v32) dst_sel:DWORD dst_unused:UNUSED_PAD src0_sel:BYTE_2
	v_cvt_f32_i32_sdwa v72, sext(v33) dst_sel:DWORD dst_unused:UNUSED_PAD src0_sel:BYTE_2
	v_cvt_f32_i32_sdwa v75, sext(v34) dst_sel:DWORD dst_unused:UNUSED_PAD src0_sel:BYTE_2
	v_cvt_f32_i32_sdwa v78, sext(v35) dst_sel:DWORD dst_unused:UNUSED_PAD src0_sel:BYTE_2
	v_cvt_f32_i32_sdwa v32, sext(v32) dst_sel:DWORD dst_unused:UNUSED_PAD src0_sel:BYTE_3
	v_cvt_f32_i32_sdwa v33, sext(v33) dst_sel:DWORD dst_unused:UNUSED_PAD src0_sel:BYTE_3
	v_cvt_f32_i32_sdwa v34, sext(v34) dst_sel:DWORD dst_unused:UNUSED_PAD src0_sel:BYTE_3
	v_cvt_f32_i32_sdwa v35, sext(v35) dst_sel:DWORD dst_unused:UNUSED_PAD src0_sel:BYTE_3
	s_waitcnt vmcnt(4)
	v_cvt_f32_i32_sdwa v79, sext(v36) dst_sel:DWORD dst_unused:UNUSED_PAD src0_sel:BYTE_0
	v_cvt_f32_i32_sdwa v82, sext(v37) dst_sel:DWORD dst_unused:UNUSED_PAD src0_sel:BYTE_0
	;; [unrolled: 1-line block ×4, first 2 shown]
	v_cvt_f32_i32_sdwa v80, sext(v36) dst_sel:DWORD dst_unused:UNUSED_PAD src0_sel:BYTE_1
	v_cvt_f32_i32_sdwa v83, sext(v37) dst_sel:DWORD dst_unused:UNUSED_PAD src0_sel:BYTE_1
	v_cvt_f32_i32_sdwa v86, sext(v38) dst_sel:DWORD dst_unused:UNUSED_PAD src0_sel:BYTE_1
	v_cvt_f32_i32_sdwa v89, sext(v39) dst_sel:DWORD dst_unused:UNUSED_PAD src0_sel:BYTE_1
	v_add_co_u32 v17, vcc_lo, 0x200, v17
	v_add_co_ci_u32_e64 v18, null, 0, v18, vcc_lo
	v_add_co_u32 v15, vcc_lo, v15, 32
	v_cvt_f32_i32_sdwa v81, sext(v36) dst_sel:DWORD dst_unused:UNUSED_PAD src0_sel:BYTE_2
	v_cvt_f32_i32_sdwa v84, sext(v37) dst_sel:DWORD dst_unused:UNUSED_PAD src0_sel:BYTE_2
	;; [unrolled: 1-line block ×4, first 2 shown]
	v_add_co_ci_u32_e64 v16, null, 0, v16, vcc_lo
	v_add_co_u32 v19, vcc_lo, 0x100, v19
	v_cvt_f32_i32_sdwa v36, sext(v36) dst_sel:DWORD dst_unused:UNUSED_PAD src0_sel:BYTE_3
	v_cvt_f32_i32_sdwa v37, sext(v37) dst_sel:DWORD dst_unused:UNUSED_PAD src0_sel:BYTE_3
	;; [unrolled: 1-line block ×4, first 2 shown]
	v_add_co_ci_u32_e64 v20, null, 0, v20, vcc_lo
	v_cmp_ge_i64_e32 vcc_lo, v[15:16], v[7:8]
	s_or_b32 s9, vcc_lo, s9
	s_waitcnt vmcnt(3)
	v_cvt_f32_i32_sdwa v91, sext(v11) dst_sel:DWORD dst_unused:UNUSED_PAD src0_sel:BYTE_0
	v_cvt_f32_i32_sdwa v92, sext(v11) dst_sel:DWORD dst_unused:UNUSED_PAD src0_sel:BYTE_1
	v_fmac_f32_e32 v12, v41, v91
	v_fmac_f32_e32 v27, v46, v91
	v_fmac_f32_e32 v26, v49, v91
	v_fmac_f32_e32 v25, v52, v91
	v_cvt_f32_i32_sdwa v41, sext(v11) dst_sel:DWORD dst_unused:UNUSED_PAD src0_sel:BYTE_2
	v_fmac_f32_e32 v12, v44, v92
	v_fmac_f32_e32 v27, v47, v92
	v_fmac_f32_e32 v26, v50, v92
	v_fmac_f32_e32 v25, v53, v92
	v_cvt_f32_i32_sdwa v11, sext(v11) dst_sel:DWORD dst_unused:UNUSED_PAD src0_sel:BYTE_3
	v_fmac_f32_e32 v12, v45, v41
	v_fmac_f32_e32 v27, v48, v41
	v_fmac_f32_e32 v26, v51, v41
	v_fmac_f32_e32 v25, v54, v41
	s_waitcnt vmcnt(2)
	v_cvt_f32_i32_sdwa v41, sext(v43) dst_sel:DWORD dst_unused:UNUSED_PAD src0_sel:BYTE_0
	v_fmac_f32_e32 v12, v21, v11
	v_fmac_f32_e32 v27, v22, v11
	v_fmac_f32_e32 v26, v23, v11
	v_fmac_f32_e32 v25, v24, v11
	v_cvt_f32_i32_sdwa v11, sext(v43) dst_sel:DWORD dst_unused:UNUSED_PAD src0_sel:BYTE_1
	v_fmac_f32_e32 v12, v55, v41
	v_fmac_f32_e32 v27, v58, v41
	v_fmac_f32_e32 v26, v61, v41
	v_fmac_f32_e32 v25, v64, v41
	v_cvt_f32_i32_sdwa v21, sext(v43) dst_sel:DWORD dst_unused:UNUSED_PAD src0_sel:BYTE_2
	v_fmac_f32_e32 v12, v56, v11
	v_fmac_f32_e32 v27, v59, v11
	v_fmac_f32_e32 v26, v62, v11
	v_fmac_f32_e32 v25, v65, v11
	v_cvt_f32_i32_sdwa v11, sext(v43) dst_sel:DWORD dst_unused:UNUSED_PAD src0_sel:BYTE_3
	v_fmac_f32_e32 v12, v57, v21
	v_fmac_f32_e32 v27, v60, v21
	v_fmac_f32_e32 v26, v63, v21
	v_fmac_f32_e32 v25, v66, v21
	s_waitcnt vmcnt(1)
	v_cvt_f32_i32_sdwa v21, sext(v42) dst_sel:DWORD dst_unused:UNUSED_PAD src0_sel:BYTE_0
	v_fmac_f32_e32 v12, v28, v11
	v_fmac_f32_e32 v27, v29, v11
	v_fmac_f32_e32 v26, v30, v11
	v_fmac_f32_e32 v25, v31, v11
	;; [unrolled: 21-line block ×3, first 2 shown]
	v_cvt_f32_i32_sdwa v11, sext(v40) dst_sel:DWORD dst_unused:UNUSED_PAD src0_sel:BYTE_1
	v_fmac_f32_e32 v12, v79, v21
	v_fmac_f32_e32 v27, v82, v21
	;; [unrolled: 1-line block ×4, first 2 shown]
	v_cvt_f32_i32_sdwa v21, sext(v40) dst_sel:DWORD dst_unused:UNUSED_PAD src0_sel:BYTE_2
	v_fmac_f32_e32 v12, v80, v11
	v_fmac_f32_e32 v27, v83, v11
	;; [unrolled: 1-line block ×4, first 2 shown]
	v_cvt_f32_i32_sdwa v11, sext(v40) dst_sel:DWORD dst_unused:UNUSED_PAD src0_sel:BYTE_3
	v_fmac_f32_e32 v12, v81, v21
	v_fmac_f32_e32 v27, v84, v21
	;; [unrolled: 1-line block ×8, first 2 shown]
	s_andn2_b32 exec_lo, exec_lo, s9
	s_cbranch_execnz .LBB86_23
; %bb.24:
	s_or_b32 exec_lo, exec_lo, s9
.LBB86_25:
	s_or_b32 exec_lo, exec_lo, s8
.LBB86_26:
	s_or_b32 exec_lo, exec_lo, s3
	s_cbranch_execz .LBB86_28
	s_branch .LBB86_39
.LBB86_27:
                                        ; implicit-def: $vgpr25
                                        ; implicit-def: $vgpr26
                                        ; implicit-def: $vgpr27
                                        ; implicit-def: $vgpr12
.LBB86_28:
	v_mov_b32_e32 v25, 0
	v_mov_b32_e32 v26, 0
	;; [unrolled: 1-line block ×4, first 2 shown]
	s_and_saveexec_b32 s1, s0
	s_cbranch_execz .LBB86_38
; %bb.29:
	v_or_b32_e32 v11, 8, v0
	v_sub_co_u32 v15, s0, v1, v0
	v_subrev_co_ci_u32_e64 v16, null, 0, v2, s0
	v_sub_co_u32 v11, vcc_lo, v11, v1
	v_sub_co_ci_u32_e64 v12, null, 0, v2, vcc_lo
	s_mov_b32 s0, exec_lo
	v_add_co_u32 v11, vcc_lo, v11, v13
	v_add_co_ci_u32_e64 v12, null, v12, v14, vcc_lo
	v_not_b32_e32 v13, v13
	v_not_b32_e32 v14, v14
	v_cmp_gt_i64_e32 vcc_lo, v[11:12], v[7:8]
	v_cndmask_b32_e32 v17, v8, v12, vcc_lo
	v_cndmask_b32_e32 v11, v7, v11, vcc_lo
	v_add_co_u32 v12, vcc_lo, v15, v13
	v_add_co_ci_u32_e64 v14, null, v16, v14, vcc_lo
	v_add_co_u32 v13, vcc_lo, v12, v11
	v_mov_b32_e32 v12, 0
	v_add_co_ci_u32_e64 v14, null, v14, v17, vcc_lo
	v_and_b32_e32 v11, 24, v13
	v_mov_b32_e32 v27, v12
	v_mov_b32_e32 v26, v12
	;; [unrolled: 1-line block ×3, first 2 shown]
	v_cmpx_ne_u64_e32 24, v[11:12]
	s_cbranch_execz .LBB86_33
; %bb.30:
	v_lshrrev_b32_e32 v11, 3, v13
	v_mov_b32_e32 v25, 0
	v_mov_b32_e32 v26, 0
	;; [unrolled: 1-line block ×3, first 2 shown]
	v_add_nc_u32_e32 v15, 1, v11
	v_lshlrev_b64 v[11:12], 3, v[5:6]
	v_and_b32_e32 v17, 3, v15
	v_add_co_u32 v15, vcc_lo, s12, v11
	v_add_co_ci_u32_e64 v16, null, s13, v12, vcc_lo
	v_sub_co_u32 v17, s3, 0, v17
	v_sub_co_ci_u32_e64 v18, null, 0, 0, s3
	v_mov_b32_e32 v12, 0
	s_mov_b32 s3, 0
.LBB86_31:                              ; =>This Inner Loop Header: Depth=1
	global_load_dwordx2 v[19:20], v[15:16], off
	s_waitcnt vmcnt(0)
	v_sub_co_u32 v19, vcc_lo, v19, v1
	v_sub_co_ci_u32_e64 v20, null, v20, v2, vcc_lo
	v_lshlrev_b64 v[19:20], 2, v[19:20]
	v_add_co_u32 v23, vcc_lo, s6, v19
	v_add_co_ci_u32_e64 v24, null, s7, v20, vcc_lo
	global_load_dwordx4 v[19:22], v[9:10], off
	global_load_dword v11, v[23:24], off
	v_add_co_u32 v9, vcc_lo, 0x80, v9
	v_add_co_ci_u32_e64 v10, null, 0, v10, vcc_lo
	v_add_co_u32 v5, vcc_lo, v5, 8
	v_add_co_ci_u32_e64 v6, null, 0, v6, vcc_lo
	;; [unrolled: 2-line block ×4, first 2 shown]
	v_cmp_eq_u64_e32 vcc_lo, 0, v[17:18]
	s_or_b32 s3, vcc_lo, s3
	s_waitcnt vmcnt(1)
	v_cvt_f32_i32_sdwa v23, sext(v19) dst_sel:DWORD dst_unused:UNUSED_PAD src0_sel:BYTE_0
	v_cvt_f32_i32_sdwa v24, sext(v19) dst_sel:DWORD dst_unused:UNUSED_PAD src0_sel:BYTE_1
	v_cvt_f32_i32_sdwa v28, sext(v19) dst_sel:DWORD dst_unused:UNUSED_PAD src0_sel:BYTE_2
	v_cvt_f32_i32_sdwa v19, sext(v19) dst_sel:DWORD dst_unused:UNUSED_PAD src0_sel:BYTE_3
	s_waitcnt vmcnt(0)
	v_cvt_f32_i32_sdwa v38, sext(v11) dst_sel:DWORD dst_unused:UNUSED_PAD src0_sel:BYTE_0
	v_cvt_f32_i32_sdwa v29, sext(v20) dst_sel:DWORD dst_unused:UNUSED_PAD src0_sel:BYTE_0
	v_cvt_f32_i32_sdwa v30, sext(v20) dst_sel:DWORD dst_unused:UNUSED_PAD src0_sel:BYTE_1
	v_cvt_f32_i32_sdwa v31, sext(v20) dst_sel:DWORD dst_unused:UNUSED_PAD src0_sel:BYTE_2
	v_cvt_f32_i32_sdwa v20, sext(v20) dst_sel:DWORD dst_unused:UNUSED_PAD src0_sel:BYTE_3
	v_cvt_f32_i32_sdwa v39, sext(v11) dst_sel:DWORD dst_unused:UNUSED_PAD src0_sel:BYTE_1
	v_fmac_f32_e32 v12, v23, v38
	v_fmac_f32_e32 v27, v24, v38
	;; [unrolled: 1-line block ×4, first 2 shown]
	v_cvt_f32_i32_sdwa v32, sext(v21) dst_sel:DWORD dst_unused:UNUSED_PAD src0_sel:BYTE_0
	v_cvt_f32_i32_sdwa v33, sext(v21) dst_sel:DWORD dst_unused:UNUSED_PAD src0_sel:BYTE_1
	v_cvt_f32_i32_sdwa v34, sext(v21) dst_sel:DWORD dst_unused:UNUSED_PAD src0_sel:BYTE_2
	v_cvt_f32_i32_sdwa v21, sext(v21) dst_sel:DWORD dst_unused:UNUSED_PAD src0_sel:BYTE_3
	v_cvt_f32_i32_sdwa v19, sext(v11) dst_sel:DWORD dst_unused:UNUSED_PAD src0_sel:BYTE_2
	v_fmac_f32_e32 v12, v29, v39
	v_fmac_f32_e32 v27, v30, v39
	;; [unrolled: 1-line block ×4, first 2 shown]
	v_cvt_f32_i32_sdwa v35, sext(v22) dst_sel:DWORD dst_unused:UNUSED_PAD src0_sel:BYTE_0
	v_cvt_f32_i32_sdwa v36, sext(v22) dst_sel:DWORD dst_unused:UNUSED_PAD src0_sel:BYTE_1
	v_cvt_f32_i32_sdwa v37, sext(v22) dst_sel:DWORD dst_unused:UNUSED_PAD src0_sel:BYTE_2
	v_cvt_f32_i32_sdwa v22, sext(v22) dst_sel:DWORD dst_unused:UNUSED_PAD src0_sel:BYTE_3
	v_cvt_f32_i32_sdwa v11, sext(v11) dst_sel:DWORD dst_unused:UNUSED_PAD src0_sel:BYTE_3
	v_fmac_f32_e32 v12, v32, v19
	v_fmac_f32_e32 v27, v33, v19
	;; [unrolled: 1-line block ×8, first 2 shown]
	s_andn2_b32 exec_lo, exec_lo, s3
	s_cbranch_execnz .LBB86_31
; %bb.32:
	s_or_b32 exec_lo, exec_lo, s3
.LBB86_33:
	s_or_b32 exec_lo, exec_lo, s0
	s_mov_b32 s3, exec_lo
	v_cmpx_lt_u64_e32 23, v[13:14]
	s_cbranch_execz .LBB86_37
; %bb.34:
	v_lshlrev_b64 v[13:14], 3, v[5:6]
	s_mov_b32 s8, 0
	v_add_co_u32 v11, vcc_lo, s12, v13
	v_add_co_ci_u32_e64 v14, null, s13, v14, vcc_lo
	v_add_co_u32 v13, vcc_lo, 0x80, v11
	v_add_co_ci_u32_e64 v14, null, 0, v14, vcc_lo
.LBB86_35:                              ; =>This Inner Loop Header: Depth=1
	s_clause 0x3
	global_load_dwordx2 v[23:24], v[13:14], off offset:-128
	global_load_dwordx2 v[36:37], v[13:14], off offset:-64
	global_load_dwordx2 v[38:39], v[13:14], off
	global_load_dwordx2 v[40:41], v[13:14], off offset:64
	s_clause 0x3
	global_load_dwordx4 v[15:18], v[9:10], off
	global_load_dwordx4 v[19:22], v[9:10], off offset:128
	global_load_dwordx4 v[28:31], v[9:10], off offset:256
	;; [unrolled: 1-line block ×3, first 2 shown]
	s_waitcnt vmcnt(7)
	v_sub_co_u32 v23, vcc_lo, v23, v1
	v_sub_co_ci_u32_e64 v24, null, v24, v2, vcc_lo
	s_waitcnt vmcnt(6)
	v_sub_co_u32 v36, vcc_lo, v36, v1
	v_sub_co_ci_u32_e64 v37, null, v37, v2, vcc_lo
	v_lshlrev_b64 v[23:24], 2, v[23:24]
	s_waitcnt vmcnt(3)
	v_cvt_f32_i32_sdwa v43, sext(v17) dst_sel:DWORD dst_unused:UNUSED_PAD src0_sel:BYTE_0
	v_cvt_f32_i32_sdwa v44, sext(v17) dst_sel:DWORD dst_unused:UNUSED_PAD src0_sel:BYTE_1
	v_cvt_f32_i32_sdwa v45, sext(v17) dst_sel:DWORD dst_unused:UNUSED_PAD src0_sel:BYTE_2
	v_cvt_f32_i32_sdwa v17, sext(v17) dst_sel:DWORD dst_unused:UNUSED_PAD src0_sel:BYTE_3
	v_cvt_f32_i32_sdwa v46, sext(v18) dst_sel:DWORD dst_unused:UNUSED_PAD src0_sel:BYTE_0
	v_add_co_u32 v23, vcc_lo, s6, v23
	v_add_co_ci_u32_e64 v24, null, s7, v24, vcc_lo
	v_sub_co_u32 v38, vcc_lo, v38, v1
	v_sub_co_ci_u32_e64 v39, null, v39, v2, vcc_lo
	global_load_dword v11, v[23:24], off
	v_lshlrev_b64 v[23:24], 2, v[36:37]
	v_cvt_f32_i32_sdwa v47, sext(v18) dst_sel:DWORD dst_unused:UNUSED_PAD src0_sel:BYTE_1
	v_lshlrev_b64 v[36:37], 2, v[38:39]
	v_cvt_f32_i32_sdwa v38, sext(v15) dst_sel:DWORD dst_unused:UNUSED_PAD src0_sel:BYTE_2
	v_cvt_f32_i32_sdwa v39, sext(v16) dst_sel:DWORD dst_unused:UNUSED_PAD src0_sel:BYTE_0
	v_cvt_f32_i32_sdwa v48, sext(v18) dst_sel:DWORD dst_unused:UNUSED_PAD src0_sel:BYTE_2
	v_add_co_u32 v23, vcc_lo, s6, v23
	v_add_co_ci_u32_e64 v24, null, s7, v24, vcc_lo
	v_add_co_u32 v36, s0, s6, v36
	v_add_co_ci_u32_e64 v37, null, s7, v37, s0
	global_load_dword v42, v[23:24], off
	v_cvt_f32_i32_sdwa v18, sext(v18) dst_sel:DWORD dst_unused:UNUSED_PAD src0_sel:BYTE_3
	s_waitcnt vmcnt(4)
	v_cvt_f32_i32_sdwa v49, sext(v19) dst_sel:DWORD dst_unused:UNUSED_PAD src0_sel:BYTE_0
	global_load_dword v36, v[36:37], off
	v_sub_co_u32 v23, vcc_lo, v40, v1
	v_sub_co_ci_u32_e64 v24, null, v41, v2, vcc_lo
	v_cvt_f32_i32_sdwa v37, sext(v15) dst_sel:DWORD dst_unused:UNUSED_PAD src0_sel:BYTE_1
	v_cvt_f32_i32_sdwa v40, sext(v16) dst_sel:DWORD dst_unused:UNUSED_PAD src0_sel:BYTE_1
	v_cvt_f32_i32_sdwa v41, sext(v16) dst_sel:DWORD dst_unused:UNUSED_PAD src0_sel:BYTE_2
	v_lshlrev_b64 v[23:24], 2, v[23:24]
	v_cvt_f32_i32_sdwa v16, sext(v16) dst_sel:DWORD dst_unused:UNUSED_PAD src0_sel:BYTE_3
	v_cvt_f32_i32_sdwa v50, sext(v19) dst_sel:DWORD dst_unused:UNUSED_PAD src0_sel:BYTE_1
	v_cvt_f32_i32_sdwa v51, sext(v19) dst_sel:DWORD dst_unused:UNUSED_PAD src0_sel:BYTE_2
	v_cvt_f32_i32_sdwa v19, sext(v19) dst_sel:DWORD dst_unused:UNUSED_PAD src0_sel:BYTE_3
	v_cvt_f32_i32_sdwa v52, sext(v20) dst_sel:DWORD dst_unused:UNUSED_PAD src0_sel:BYTE_0
	v_add_co_u32 v23, vcc_lo, s6, v23
	v_add_co_ci_u32_e64 v24, null, s7, v24, vcc_lo
	v_cvt_f32_i32_sdwa v53, sext(v20) dst_sel:DWORD dst_unused:UNUSED_PAD src0_sel:BYTE_1
	v_cvt_f32_i32_sdwa v54, sext(v20) dst_sel:DWORD dst_unused:UNUSED_PAD src0_sel:BYTE_2
	v_cvt_f32_i32_sdwa v20, sext(v20) dst_sel:DWORD dst_unused:UNUSED_PAD src0_sel:BYTE_3
	global_load_dword v23, v[23:24], off
	v_cvt_f32_i32_sdwa v24, sext(v15) dst_sel:DWORD dst_unused:UNUSED_PAD src0_sel:BYTE_0
	v_cvt_f32_i32_sdwa v15, sext(v15) dst_sel:DWORD dst_unused:UNUSED_PAD src0_sel:BYTE_3
	v_cvt_f32_i32_sdwa v55, sext(v21) dst_sel:DWORD dst_unused:UNUSED_PAD src0_sel:BYTE_0
	v_cvt_f32_i32_sdwa v56, sext(v21) dst_sel:DWORD dst_unused:UNUSED_PAD src0_sel:BYTE_1
	v_cvt_f32_i32_sdwa v57, sext(v21) dst_sel:DWORD dst_unused:UNUSED_PAD src0_sel:BYTE_2
	v_cvt_f32_i32_sdwa v21, sext(v21) dst_sel:DWORD dst_unused:UNUSED_PAD src0_sel:BYTE_3
	v_cvt_f32_i32_sdwa v58, sext(v22) dst_sel:DWORD dst_unused:UNUSED_PAD src0_sel:BYTE_0
	v_cvt_f32_i32_sdwa v59, sext(v22) dst_sel:DWORD dst_unused:UNUSED_PAD src0_sel:BYTE_1
	v_cvt_f32_i32_sdwa v60, sext(v22) dst_sel:DWORD dst_unused:UNUSED_PAD src0_sel:BYTE_2
	v_cvt_f32_i32_sdwa v22, sext(v22) dst_sel:DWORD dst_unused:UNUSED_PAD src0_sel:BYTE_3
	s_waitcnt vmcnt(5)
	v_cvt_f32_i32_sdwa v61, sext(v28) dst_sel:DWORD dst_unused:UNUSED_PAD src0_sel:BYTE_0
	v_cvt_f32_i32_sdwa v62, sext(v28) dst_sel:DWORD dst_unused:UNUSED_PAD src0_sel:BYTE_1
	v_cvt_f32_i32_sdwa v63, sext(v28) dst_sel:DWORD dst_unused:UNUSED_PAD src0_sel:BYTE_2
	v_cvt_f32_i32_sdwa v28, sext(v28) dst_sel:DWORD dst_unused:UNUSED_PAD src0_sel:BYTE_3
	v_cvt_f32_i32_sdwa v64, sext(v29) dst_sel:DWORD dst_unused:UNUSED_PAD src0_sel:BYTE_0
	v_cvt_f32_i32_sdwa v65, sext(v29) dst_sel:DWORD dst_unused:UNUSED_PAD src0_sel:BYTE_1
	v_cvt_f32_i32_sdwa v66, sext(v29) dst_sel:DWORD dst_unused:UNUSED_PAD src0_sel:BYTE_2
	v_cvt_f32_i32_sdwa v29, sext(v29) dst_sel:DWORD dst_unused:UNUSED_PAD src0_sel:BYTE_3
	;; [unrolled: 4-line block ×4, first 2 shown]
	s_waitcnt vmcnt(4)
	v_cvt_f32_i32_sdwa v73, sext(v32) dst_sel:DWORD dst_unused:UNUSED_PAD src0_sel:BYTE_0
	v_cvt_f32_i32_sdwa v74, sext(v32) dst_sel:DWORD dst_unused:UNUSED_PAD src0_sel:BYTE_1
	v_cvt_f32_i32_sdwa v75, sext(v32) dst_sel:DWORD dst_unused:UNUSED_PAD src0_sel:BYTE_2
	v_cvt_f32_i32_sdwa v32, sext(v32) dst_sel:DWORD dst_unused:UNUSED_PAD src0_sel:BYTE_3
	v_cvt_f32_i32_sdwa v76, sext(v33) dst_sel:DWORD dst_unused:UNUSED_PAD src0_sel:BYTE_0
	v_cvt_f32_i32_sdwa v77, sext(v33) dst_sel:DWORD dst_unused:UNUSED_PAD src0_sel:BYTE_1
	v_cvt_f32_i32_sdwa v78, sext(v33) dst_sel:DWORD dst_unused:UNUSED_PAD src0_sel:BYTE_2
	v_cvt_f32_i32_sdwa v33, sext(v33) dst_sel:DWORD dst_unused:UNUSED_PAD src0_sel:BYTE_3
	v_add_co_u32 v9, vcc_lo, 0x200, v9
	v_add_co_ci_u32_e64 v10, null, 0, v10, vcc_lo
	v_add_co_u32 v5, vcc_lo, v5, 32
	v_cvt_f32_i32_sdwa v79, sext(v34) dst_sel:DWORD dst_unused:UNUSED_PAD src0_sel:BYTE_0
	v_cvt_f32_i32_sdwa v80, sext(v34) dst_sel:DWORD dst_unused:UNUSED_PAD src0_sel:BYTE_1
	v_cvt_f32_i32_sdwa v81, sext(v34) dst_sel:DWORD dst_unused:UNUSED_PAD src0_sel:BYTE_2
	v_cvt_f32_i32_sdwa v34, sext(v34) dst_sel:DWORD dst_unused:UNUSED_PAD src0_sel:BYTE_3
	v_add_co_ci_u32_e64 v6, null, 0, v6, vcc_lo
	v_add_co_u32 v13, vcc_lo, 0x100, v13
	v_cvt_f32_i32_sdwa v82, sext(v35) dst_sel:DWORD dst_unused:UNUSED_PAD src0_sel:BYTE_0
	v_cvt_f32_i32_sdwa v83, sext(v35) dst_sel:DWORD dst_unused:UNUSED_PAD src0_sel:BYTE_1
	v_cvt_f32_i32_sdwa v84, sext(v35) dst_sel:DWORD dst_unused:UNUSED_PAD src0_sel:BYTE_2
	v_cvt_f32_i32_sdwa v35, sext(v35) dst_sel:DWORD dst_unused:UNUSED_PAD src0_sel:BYTE_3
	v_add_co_ci_u32_e64 v14, null, 0, v14, vcc_lo
	v_cmp_ge_i64_e32 vcc_lo, v[5:6], v[7:8]
	s_or_b32 s8, vcc_lo, s8
	s_waitcnt vmcnt(3)
	v_cvt_f32_i32_sdwa v85, sext(v11) dst_sel:DWORD dst_unused:UNUSED_PAD src0_sel:BYTE_0
	v_cvt_f32_i32_sdwa v86, sext(v11) dst_sel:DWORD dst_unused:UNUSED_PAD src0_sel:BYTE_1
	v_fmac_f32_e32 v12, v24, v85
	v_fmac_f32_e32 v27, v37, v85
	v_fmac_f32_e32 v26, v38, v85
	v_fmac_f32_e32 v25, v15, v85
	v_cvt_f32_i32_sdwa v15, sext(v11) dst_sel:DWORD dst_unused:UNUSED_PAD src0_sel:BYTE_2
	v_fmac_f32_e32 v12, v39, v86
	v_fmac_f32_e32 v27, v40, v86
	v_fmac_f32_e32 v26, v41, v86
	v_fmac_f32_e32 v25, v16, v86
	v_cvt_f32_i32_sdwa v11, sext(v11) dst_sel:DWORD dst_unused:UNUSED_PAD src0_sel:BYTE_3
	v_fmac_f32_e32 v12, v43, v15
	v_fmac_f32_e32 v27, v44, v15
	v_fmac_f32_e32 v26, v45, v15
	v_fmac_f32_e32 v25, v17, v15
	s_waitcnt vmcnt(2)
	v_cvt_f32_i32_sdwa v15, sext(v42) dst_sel:DWORD dst_unused:UNUSED_PAD src0_sel:BYTE_0
	v_fmac_f32_e32 v12, v46, v11
	v_fmac_f32_e32 v27, v47, v11
	v_fmac_f32_e32 v26, v48, v11
	v_fmac_f32_e32 v25, v18, v11
	v_cvt_f32_i32_sdwa v11, sext(v42) dst_sel:DWORD dst_unused:UNUSED_PAD src0_sel:BYTE_1
	v_fmac_f32_e32 v12, v49, v15
	v_fmac_f32_e32 v27, v50, v15
	v_fmac_f32_e32 v26, v51, v15
	v_fmac_f32_e32 v25, v19, v15
	v_cvt_f32_i32_sdwa v15, sext(v42) dst_sel:DWORD dst_unused:UNUSED_PAD src0_sel:BYTE_2
	v_fmac_f32_e32 v12, v52, v11
	v_fmac_f32_e32 v27, v53, v11
	v_fmac_f32_e32 v26, v54, v11
	v_fmac_f32_e32 v25, v20, v11
	v_cvt_f32_i32_sdwa v11, sext(v42) dst_sel:DWORD dst_unused:UNUSED_PAD src0_sel:BYTE_3
	v_fmac_f32_e32 v12, v55, v15
	v_fmac_f32_e32 v27, v56, v15
	v_fmac_f32_e32 v26, v57, v15
	v_fmac_f32_e32 v25, v21, v15
	s_waitcnt vmcnt(1)
	v_cvt_f32_i32_sdwa v15, sext(v36) dst_sel:DWORD dst_unused:UNUSED_PAD src0_sel:BYTE_0
	v_fmac_f32_e32 v12, v58, v11
	v_fmac_f32_e32 v27, v59, v11
	v_fmac_f32_e32 v26, v60, v11
	v_fmac_f32_e32 v25, v22, v11
	;; [unrolled: 21-line block ×3, first 2 shown]
	v_cvt_f32_i32_sdwa v11, sext(v23) dst_sel:DWORD dst_unused:UNUSED_PAD src0_sel:BYTE_1
	v_fmac_f32_e32 v12, v73, v15
	v_fmac_f32_e32 v27, v74, v15
	;; [unrolled: 1-line block ×4, first 2 shown]
	v_cvt_f32_i32_sdwa v15, sext(v23) dst_sel:DWORD dst_unused:UNUSED_PAD src0_sel:BYTE_2
	v_fmac_f32_e32 v12, v76, v11
	v_fmac_f32_e32 v27, v77, v11
	;; [unrolled: 1-line block ×4, first 2 shown]
	v_cvt_f32_i32_sdwa v11, sext(v23) dst_sel:DWORD dst_unused:UNUSED_PAD src0_sel:BYTE_3
	v_fmac_f32_e32 v12, v79, v15
	v_fmac_f32_e32 v27, v80, v15
	;; [unrolled: 1-line block ×8, first 2 shown]
	s_andn2_b32 exec_lo, exec_lo, s8
	s_cbranch_execnz .LBB86_35
; %bb.36:
	s_or_b32 exec_lo, exec_lo, s8
.LBB86_37:
	s_or_b32 exec_lo, exec_lo, s3
.LBB86_38:
	s_or_b32 exec_lo, exec_lo, s1
.LBB86_39:
	v_mbcnt_lo_u32_b32 v1, -1, 0
	s_mov_b32 s3, -1
	v_xor_b32_e32 v2, 4, v1
	v_xor_b32_e32 v8, 2, v1
	v_cmp_gt_i32_e32 vcc_lo, 32, v2
	v_cndmask_b32_e32 v2, v1, v2, vcc_lo
	v_cmp_gt_i32_e32 vcc_lo, 32, v8
	v_lshlrev_b32_e32 v2, 2, v2
	v_cndmask_b32_e32 v8, v1, v8, vcc_lo
	ds_bpermute_b32 v5, v2, v12
	ds_bpermute_b32 v6, v2, v27
	ds_bpermute_b32 v7, v2, v26
	ds_bpermute_b32 v2, v2, v25
	v_lshlrev_b32_e32 v8, 2, v8
	s_waitcnt lgkmcnt(3)
	v_add_f32_e32 v5, v12, v5
	s_waitcnt lgkmcnt(2)
	v_add_f32_e32 v6, v27, v6
	;; [unrolled: 2-line block ×4, first 2 shown]
	v_xor_b32_e32 v12, 1, v1
	ds_bpermute_b32 v2, v8, v5
	ds_bpermute_b32 v10, v8, v6
	;; [unrolled: 1-line block ×4, first 2 shown]
	v_cmp_gt_i32_e32 vcc_lo, 32, v12
	v_cndmask_b32_e32 v1, v1, v12, vcc_lo
	v_cmp_eq_u32_e32 vcc_lo, 7, v0
	v_lshlrev_b32_e32 v12, 2, v1
	s_waitcnt lgkmcnt(3)
	v_add_f32_e32 v1, v5, v2
	s_waitcnt lgkmcnt(2)
	v_add_f32_e32 v2, v6, v10
	;; [unrolled: 2-line block ×4, first 2 shown]
	ds_bpermute_b32 v7, v12, v1
	ds_bpermute_b32 v8, v12, v2
	;; [unrolled: 1-line block ×4, first 2 shown]
	s_and_b32 exec_lo, exec_lo, vcc_lo
	s_cbranch_execz .LBB86_10
; %bb.40:
	s_load_dwordx2 s[0:1], s[4:5], 0x58
	s_waitcnt lgkmcnt(0)
	v_add_f32_e32 v0, v1, v7
	v_add_f32_e32 v1, v2, v8
	v_add_f32_e32 v2, v5, v9
	v_add_f32_e32 v6, v6, v10
	v_cmp_eq_f32_e64 s4, s2, 0
	v_lshlrev_b64 v[4:5], 4, v[3:4]
	v_mul_f32_e32 v0, s16, v0
	v_mul_f32_e32 v1, s16, v1
	;; [unrolled: 1-line block ×4, first 2 shown]
	s_and_b32 vcc_lo, exec_lo, s4
	s_cbranch_vccz .LBB86_42
; %bb.41:
	v_add_co_u32 v6, vcc_lo, s0, v4
	v_add_co_ci_u32_e64 v7, null, s1, v5, vcc_lo
	s_mov_b32 s3, 0
	global_store_dwordx4 v[6:7], v[0:3], off
.LBB86_42:
	s_andn2_b32 vcc_lo, exec_lo, s3
	s_cbranch_vccnz .LBB86_10
; %bb.43:
	v_add_co_u32 v8, vcc_lo, s0, v4
	v_add_co_ci_u32_e64 v9, null, s1, v5, vcc_lo
	global_load_dwordx4 v[4:7], v[8:9], off
	s_waitcnt vmcnt(0)
	v_fmac_f32_e32 v0, s2, v4
	v_fmac_f32_e32 v1, s2, v5
	;; [unrolled: 1-line block ×4, first 2 shown]
	global_store_dwordx4 v[8:9], v[0:3], off
	s_endpgm
	.section	.rodata,"a",@progbits
	.p2align	6, 0x0
	.amdhsa_kernel _ZN9rocsparseL18bsrxmvn_4x4_kernelILj128ELj8EfllaafEEvT3_20rocsparse_direction_NS_24const_host_device_scalarIT1_EES1_PKS1_PKT2_SA_S7_PKT4_PKT5_S5_PT6_21rocsparse_index_base_b
		.amdhsa_group_segment_fixed_size 0
		.amdhsa_private_segment_fixed_size 0
		.amdhsa_kernarg_size 104
		.amdhsa_user_sgpr_count 6
		.amdhsa_user_sgpr_private_segment_buffer 1
		.amdhsa_user_sgpr_dispatch_ptr 0
		.amdhsa_user_sgpr_queue_ptr 0
		.amdhsa_user_sgpr_kernarg_segment_ptr 1
		.amdhsa_user_sgpr_dispatch_id 0
		.amdhsa_user_sgpr_flat_scratch_init 0
		.amdhsa_user_sgpr_private_segment_size 0
		.amdhsa_wavefront_size32 1
		.amdhsa_uses_dynamic_stack 0
		.amdhsa_system_sgpr_private_segment_wavefront_offset 0
		.amdhsa_system_sgpr_workgroup_id_x 1
		.amdhsa_system_sgpr_workgroup_id_y 0
		.amdhsa_system_sgpr_workgroup_id_z 0
		.amdhsa_system_sgpr_workgroup_info 0
		.amdhsa_system_vgpr_workitem_id 0
		.amdhsa_next_free_vgpr 93
		.amdhsa_next_free_sgpr 20
		.amdhsa_reserve_vcc 1
		.amdhsa_reserve_flat_scratch 0
		.amdhsa_float_round_mode_32 0
		.amdhsa_float_round_mode_16_64 0
		.amdhsa_float_denorm_mode_32 3
		.amdhsa_float_denorm_mode_16_64 3
		.amdhsa_dx10_clamp 1
		.amdhsa_ieee_mode 1
		.amdhsa_fp16_overflow 0
		.amdhsa_workgroup_processor_mode 1
		.amdhsa_memory_ordered 1
		.amdhsa_forward_progress 1
		.amdhsa_shared_vgpr_count 0
		.amdhsa_exception_fp_ieee_invalid_op 0
		.amdhsa_exception_fp_denorm_src 0
		.amdhsa_exception_fp_ieee_div_zero 0
		.amdhsa_exception_fp_ieee_overflow 0
		.amdhsa_exception_fp_ieee_underflow 0
		.amdhsa_exception_fp_ieee_inexact 0
		.amdhsa_exception_int_div_zero 0
	.end_amdhsa_kernel
	.section	.text._ZN9rocsparseL18bsrxmvn_4x4_kernelILj128ELj8EfllaafEEvT3_20rocsparse_direction_NS_24const_host_device_scalarIT1_EES1_PKS1_PKT2_SA_S7_PKT4_PKT5_S5_PT6_21rocsparse_index_base_b,"axG",@progbits,_ZN9rocsparseL18bsrxmvn_4x4_kernelILj128ELj8EfllaafEEvT3_20rocsparse_direction_NS_24const_host_device_scalarIT1_EES1_PKS1_PKT2_SA_S7_PKT4_PKT5_S5_PT6_21rocsparse_index_base_b,comdat
.Lfunc_end86:
	.size	_ZN9rocsparseL18bsrxmvn_4x4_kernelILj128ELj8EfllaafEEvT3_20rocsparse_direction_NS_24const_host_device_scalarIT1_EES1_PKS1_PKT2_SA_S7_PKT4_PKT5_S5_PT6_21rocsparse_index_base_b, .Lfunc_end86-_ZN9rocsparseL18bsrxmvn_4x4_kernelILj128ELj8EfllaafEEvT3_20rocsparse_direction_NS_24const_host_device_scalarIT1_EES1_PKS1_PKT2_SA_S7_PKT4_PKT5_S5_PT6_21rocsparse_index_base_b
                                        ; -- End function
	.set _ZN9rocsparseL18bsrxmvn_4x4_kernelILj128ELj8EfllaafEEvT3_20rocsparse_direction_NS_24const_host_device_scalarIT1_EES1_PKS1_PKT2_SA_S7_PKT4_PKT5_S5_PT6_21rocsparse_index_base_b.num_vgpr, 93
	.set _ZN9rocsparseL18bsrxmvn_4x4_kernelILj128ELj8EfllaafEEvT3_20rocsparse_direction_NS_24const_host_device_scalarIT1_EES1_PKS1_PKT2_SA_S7_PKT4_PKT5_S5_PT6_21rocsparse_index_base_b.num_agpr, 0
	.set _ZN9rocsparseL18bsrxmvn_4x4_kernelILj128ELj8EfllaafEEvT3_20rocsparse_direction_NS_24const_host_device_scalarIT1_EES1_PKS1_PKT2_SA_S7_PKT4_PKT5_S5_PT6_21rocsparse_index_base_b.numbered_sgpr, 20
	.set _ZN9rocsparseL18bsrxmvn_4x4_kernelILj128ELj8EfllaafEEvT3_20rocsparse_direction_NS_24const_host_device_scalarIT1_EES1_PKS1_PKT2_SA_S7_PKT4_PKT5_S5_PT6_21rocsparse_index_base_b.num_named_barrier, 0
	.set _ZN9rocsparseL18bsrxmvn_4x4_kernelILj128ELj8EfllaafEEvT3_20rocsparse_direction_NS_24const_host_device_scalarIT1_EES1_PKS1_PKT2_SA_S7_PKT4_PKT5_S5_PT6_21rocsparse_index_base_b.private_seg_size, 0
	.set _ZN9rocsparseL18bsrxmvn_4x4_kernelILj128ELj8EfllaafEEvT3_20rocsparse_direction_NS_24const_host_device_scalarIT1_EES1_PKS1_PKT2_SA_S7_PKT4_PKT5_S5_PT6_21rocsparse_index_base_b.uses_vcc, 1
	.set _ZN9rocsparseL18bsrxmvn_4x4_kernelILj128ELj8EfllaafEEvT3_20rocsparse_direction_NS_24const_host_device_scalarIT1_EES1_PKS1_PKT2_SA_S7_PKT4_PKT5_S5_PT6_21rocsparse_index_base_b.uses_flat_scratch, 0
	.set _ZN9rocsparseL18bsrxmvn_4x4_kernelILj128ELj8EfllaafEEvT3_20rocsparse_direction_NS_24const_host_device_scalarIT1_EES1_PKS1_PKT2_SA_S7_PKT4_PKT5_S5_PT6_21rocsparse_index_base_b.has_dyn_sized_stack, 0
	.set _ZN9rocsparseL18bsrxmvn_4x4_kernelILj128ELj8EfllaafEEvT3_20rocsparse_direction_NS_24const_host_device_scalarIT1_EES1_PKS1_PKT2_SA_S7_PKT4_PKT5_S5_PT6_21rocsparse_index_base_b.has_recursion, 0
	.set _ZN9rocsparseL18bsrxmvn_4x4_kernelILj128ELj8EfllaafEEvT3_20rocsparse_direction_NS_24const_host_device_scalarIT1_EES1_PKS1_PKT2_SA_S7_PKT4_PKT5_S5_PT6_21rocsparse_index_base_b.has_indirect_call, 0
	.section	.AMDGPU.csdata,"",@progbits
; Kernel info:
; codeLenInByte = 4912
; TotalNumSgprs: 22
; NumVgprs: 93
; ScratchSize: 0
; MemoryBound: 0
; FloatMode: 240
; IeeeMode: 1
; LDSByteSize: 0 bytes/workgroup (compile time only)
; SGPRBlocks: 0
; VGPRBlocks: 11
; NumSGPRsForWavesPerEU: 22
; NumVGPRsForWavesPerEU: 93
; Occupancy: 10
; WaveLimiterHint : 1
; COMPUTE_PGM_RSRC2:SCRATCH_EN: 0
; COMPUTE_PGM_RSRC2:USER_SGPR: 6
; COMPUTE_PGM_RSRC2:TRAP_HANDLER: 0
; COMPUTE_PGM_RSRC2:TGID_X_EN: 1
; COMPUTE_PGM_RSRC2:TGID_Y_EN: 0
; COMPUTE_PGM_RSRC2:TGID_Z_EN: 0
; COMPUTE_PGM_RSRC2:TIDIG_COMP_CNT: 0
	.section	.text._ZN9rocsparseL18bsrxmvn_4x4_kernelILj128ELj16EfllaafEEvT3_20rocsparse_direction_NS_24const_host_device_scalarIT1_EES1_PKS1_PKT2_SA_S7_PKT4_PKT5_S5_PT6_21rocsparse_index_base_b,"axG",@progbits,_ZN9rocsparseL18bsrxmvn_4x4_kernelILj128ELj16EfllaafEEvT3_20rocsparse_direction_NS_24const_host_device_scalarIT1_EES1_PKS1_PKT2_SA_S7_PKT4_PKT5_S5_PT6_21rocsparse_index_base_b,comdat
	.globl	_ZN9rocsparseL18bsrxmvn_4x4_kernelILj128ELj16EfllaafEEvT3_20rocsparse_direction_NS_24const_host_device_scalarIT1_EES1_PKS1_PKT2_SA_S7_PKT4_PKT5_S5_PT6_21rocsparse_index_base_b ; -- Begin function _ZN9rocsparseL18bsrxmvn_4x4_kernelILj128ELj16EfllaafEEvT3_20rocsparse_direction_NS_24const_host_device_scalarIT1_EES1_PKS1_PKT2_SA_S7_PKT4_PKT5_S5_PT6_21rocsparse_index_base_b
	.p2align	8
	.type	_ZN9rocsparseL18bsrxmvn_4x4_kernelILj128ELj16EfllaafEEvT3_20rocsparse_direction_NS_24const_host_device_scalarIT1_EES1_PKS1_PKT2_SA_S7_PKT4_PKT5_S5_PT6_21rocsparse_index_base_b,@function
_ZN9rocsparseL18bsrxmvn_4x4_kernelILj128ELj16EfllaafEEvT3_20rocsparse_direction_NS_24const_host_device_scalarIT1_EES1_PKS1_PKT2_SA_S7_PKT4_PKT5_S5_PT6_21rocsparse_index_base_b: ; @_ZN9rocsparseL18bsrxmvn_4x4_kernelILj128ELj16EfllaafEEvT3_20rocsparse_direction_NS_24const_host_device_scalarIT1_EES1_PKS1_PKT2_SA_S7_PKT4_PKT5_S5_PT6_21rocsparse_index_base_b
; %bb.0:
	s_clause 0x2
	s_load_dwordx2 s[0:1], s[4:5], 0x60
	s_load_dwordx4 s[16:19], s[4:5], 0x10
	s_load_dwordx2 s[2:3], s[4:5], 0x50
	s_waitcnt lgkmcnt(0)
	s_bitcmp1_b32 s1, 0
	s_cselect_b32 s1, -1, 0
	s_and_b32 vcc_lo, exec_lo, s1
	s_xor_b32 s1, s1, -1
	s_cbranch_vccnz .LBB87_2
; %bb.1:
	s_load_dword s16, s[16:17], 0x0
.LBB87_2:
	s_andn2_b32 vcc_lo, exec_lo, s1
	s_cbranch_vccnz .LBB87_4
; %bb.3:
	s_load_dword s2, s[2:3], 0x0
.LBB87_4:
	s_waitcnt lgkmcnt(0)
	v_cmp_neq_f32_e64 s1, s16, 0
	v_cmp_neq_f32_e64 s3, s2, 1.0
	s_or_b32 s1, s1, s3
	s_mov_b32 s3, 0
	s_andn2_b32 vcc_lo, exec_lo, s1
	s_cbranch_vccnz .LBB87_10
; %bb.5:
	s_load_dwordx2 s[8:9], s[4:5], 0x20
	v_lshrrev_b32_e32 v1, 4, v0
	v_mov_b32_e32 v6, 0
	v_lshl_or_b32 v5, s6, 3, v1
	s_waitcnt lgkmcnt(0)
	s_cmp_lg_u64 s[8:9], 0
	s_cbranch_scc0 .LBB87_11
; %bb.6:
	s_mov_b32 s6, 0
                                        ; implicit-def: $vgpr3_vgpr4
                                        ; implicit-def: $vgpr1_vgpr2
	s_mov_b32 s1, exec_lo
	v_cmpx_gt_i64_e64 s[18:19], v[5:6]
	s_xor_b32 s7, exec_lo, s1
	s_cbranch_execz .LBB87_8
; %bb.7:
	v_lshlrev_b64 v[1:2], 3, v[5:6]
	s_mov_b32 s1, 0
	s_mov_b32 s3, exec_lo
	v_add_co_u32 v1, vcc_lo, s8, v1
	v_add_co_ci_u32_e64 v2, null, s9, v2, vcc_lo
	global_load_dwordx2 v[1:2], v[1:2], off
	s_waitcnt vmcnt(0)
	v_sub_co_u32 v3, vcc_lo, v1, s0
	v_subrev_co_ci_u32_e64 v4, null, 0, v2, vcc_lo
	v_mov_b32_e32 v2, s1
	v_mov_b32_e32 v1, s0
.LBB87_8:
	s_or_b32 exec_lo, exec_lo, s7
	s_and_b32 vcc_lo, exec_lo, s6
	s_cbranch_vccnz .LBB87_12
.LBB87_9:
	s_and_saveexec_b32 s0, s3
	s_cbranch_execnz .LBB87_15
.LBB87_10:
	s_endpgm
.LBB87_11:
                                        ; implicit-def: $vgpr3_vgpr4
                                        ; implicit-def: $vgpr1_vgpr2
	s_cbranch_execz .LBB87_9
.LBB87_12:
	s_load_dwordx2 s[6:7], s[4:5], 0x0
	s_waitcnt lgkmcnt(0)
	v_cmp_gt_i64_e32 vcc_lo, s[6:7], v[5:6]
	s_and_saveexec_b32 s6, vcc_lo
; %bb.13:
	s_mov_b32 s1, 0
	s_or_b32 s3, s3, exec_lo
; %bb.14:
	s_or_b32 exec_lo, exec_lo, s6
	v_mov_b32_e32 v2, s1
	v_mov_b32_e32 v3, v5
	;; [unrolled: 1-line block ×4, first 2 shown]
	s_and_saveexec_b32 s0, s3
	s_cbranch_execz .LBB87_10
.LBB87_15:
	s_load_dwordx8 s[8:15], s[4:5], 0x28
	v_lshlrev_b64 v[5:6], 3, v[3:4]
	v_and_b32_e32 v0, 15, v0
	s_clause 0x1
	s_load_dword s1, s[4:5], 0x8
	s_load_dwordx2 s[6:7], s[4:5], 0x48
	v_mov_b32_e32 v25, 0
	s_waitcnt lgkmcnt(0)
	v_add_co_u32 v7, vcc_lo, s8, v5
	v_add_co_ci_u32_e64 v8, null, s9, v6, vcc_lo
	v_add_co_u32 v5, vcc_lo, s10, v5
	v_add_co_ci_u32_e64 v6, null, s11, v6, vcc_lo
	v_add_co_u32 v9, vcc_lo, v7, 8
	global_load_dwordx2 v[13:14], v[7:8], off
	v_add_co_ci_u32_e64 v10, null, 0, v8, vcc_lo
	s_cmp_eq_u64 s[10:11], 0
	s_cselect_b32 vcc_lo, -1, 0
	s_cmp_eq_u32 s1, 1
	v_cndmask_b32_e32 v6, v6, v10, vcc_lo
	v_cndmask_b32_e32 v5, v5, v9, vcc_lo
	global_load_dwordx2 v[7:8], v[5:6], off
	s_waitcnt vmcnt(1)
	v_sub_co_u32 v5, vcc_lo, v13, v1
	v_sub_co_ci_u32_e64 v6, null, v14, v2, vcc_lo
	v_add_co_u32 v5, vcc_lo, v5, v0
	v_add_co_ci_u32_e64 v6, null, 0, v6, vcc_lo
	v_lshlrev_b64 v[9:10], 4, v[5:6]
	s_waitcnt vmcnt(0)
	v_sub_co_u32 v7, vcc_lo, v7, v1
	v_sub_co_ci_u32_e64 v8, null, v8, v2, vcc_lo
	v_add_co_u32 v9, vcc_lo, s14, v9
	v_cmp_lt_i64_e64 s0, v[5:6], v[7:8]
	v_add_co_ci_u32_e64 v10, null, s15, v10, vcc_lo
	s_cbranch_scc1 .LBB87_27
; %bb.16:
	v_mov_b32_e32 v26, 0
	v_mov_b32_e32 v27, 0
	;; [unrolled: 1-line block ×3, first 2 shown]
	s_and_saveexec_b32 s3, s0
	s_cbranch_execz .LBB87_26
; %bb.17:
	v_or_b32_e32 v11, 16, v0
	v_not_b32_e32 v16, v13
	v_sub_co_u32 v17, s1, v1, v0
	v_not_b32_e32 v15, v14
	v_sub_co_u32 v11, vcc_lo, v11, v1
	v_sub_co_ci_u32_e64 v12, null, 0, v2, vcc_lo
	v_subrev_co_ci_u32_e64 v18, null, 0, v2, s1
	v_add_co_u32 v11, vcc_lo, v11, v13
	v_add_co_ci_u32_e64 v12, null, v12, v14, vcc_lo
	s_mov_b32 s1, exec_lo
	v_cmp_gt_i64_e32 vcc_lo, v[11:12], v[7:8]
	v_cndmask_b32_e32 v20, v8, v12, vcc_lo
	v_cndmask_b32_e32 v11, v7, v11, vcc_lo
	v_add_co_u32 v12, vcc_lo, v17, v16
	v_add_co_ci_u32_e64 v15, null, v18, v15, vcc_lo
	v_mov_b32_e32 v18, v10
	v_add_co_u32 v19, vcc_lo, v12, v11
	v_mov_b32_e32 v12, 0
	v_add_co_ci_u32_e64 v20, null, v15, v20, vcc_lo
	v_mov_b32_e32 v16, v6
	v_and_b32_e32 v11, 48, v19
	v_mov_b32_e32 v27, v12
	v_mov_b32_e32 v26, v12
	;; [unrolled: 1-line block ×5, first 2 shown]
	v_cmpx_ne_u64_e32 48, v[11:12]
	s_cbranch_execz .LBB87_21
; %bb.18:
	v_lshrrev_b32_e32 v11, 4, v19
	v_mov_b32_e32 v18, v10
	v_mov_b32_e32 v16, v6
	;; [unrolled: 1-line block ×4, first 2 shown]
	v_add_nc_u32_e32 v21, 1, v11
	v_lshlrev_b64 v[11:12], 3, v[5:6]
	v_mov_b32_e32 v15, v5
	v_mov_b32_e32 v26, 0
	;; [unrolled: 1-line block ×3, first 2 shown]
	v_and_b32_e32 v23, 3, v21
	v_add_co_u32 v21, vcc_lo, s12, v11
	v_add_co_ci_u32_e64 v22, null, s13, v12, vcc_lo
	v_sub_co_u32 v23, s8, 0, v23
	v_sub_co_ci_u32_e64 v24, null, 0, 0, s8
	v_mov_b32_e32 v12, 0
	s_mov_b32 s8, 0
.LBB87_19:                              ; =>This Inner Loop Header: Depth=1
	global_load_dwordx2 v[28:29], v[21:22], off
	s_waitcnt vmcnt(0)
	v_sub_co_u32 v28, vcc_lo, v28, v1
	v_sub_co_ci_u32_e64 v29, null, v29, v2, vcc_lo
	v_lshlrev_b64 v[28:29], 2, v[28:29]
	v_add_co_u32 v32, vcc_lo, s6, v28
	v_add_co_ci_u32_e64 v33, null, s7, v29, vcc_lo
	global_load_dwordx4 v[28:31], v[17:18], off
	global_load_dword v11, v[32:33], off
	v_add_co_u32 v17, vcc_lo, 0x100, v17
	v_add_co_ci_u32_e64 v18, null, 0, v18, vcc_lo
	v_add_co_u32 v15, vcc_lo, v15, 16
	v_add_co_ci_u32_e64 v16, null, 0, v16, vcc_lo
	;; [unrolled: 2-line block ×4, first 2 shown]
	v_cmp_eq_u64_e32 vcc_lo, 0, v[23:24]
	s_or_b32 s8, vcc_lo, s8
	s_waitcnt vmcnt(1)
	v_cvt_f32_i32_sdwa v32, sext(v28) dst_sel:DWORD dst_unused:UNUSED_PAD src0_sel:BYTE_0
	v_cvt_f32_i32_sdwa v35, sext(v29) dst_sel:DWORD dst_unused:UNUSED_PAD src0_sel:BYTE_0
	;; [unrolled: 1-line block ×4, first 2 shown]
	s_waitcnt vmcnt(0)
	v_cvt_f32_i32_sdwa v44, sext(v11) dst_sel:DWORD dst_unused:UNUSED_PAD src0_sel:BYTE_0
	v_cvt_f32_i32_sdwa v33, sext(v28) dst_sel:DWORD dst_unused:UNUSED_PAD src0_sel:BYTE_1
	v_cvt_f32_i32_sdwa v36, sext(v29) dst_sel:DWORD dst_unused:UNUSED_PAD src0_sel:BYTE_1
	v_cvt_f32_i32_sdwa v39, sext(v30) dst_sel:DWORD dst_unused:UNUSED_PAD src0_sel:BYTE_1
	v_cvt_f32_i32_sdwa v42, sext(v31) dst_sel:DWORD dst_unused:UNUSED_PAD src0_sel:BYTE_1
	v_cvt_f32_i32_sdwa v45, sext(v11) dst_sel:DWORD dst_unused:UNUSED_PAD src0_sel:BYTE_1
	v_fmac_f32_e32 v12, v32, v44
	v_fmac_f32_e32 v27, v35, v44
	v_fmac_f32_e32 v26, v38, v44
	v_fmac_f32_e32 v25, v41, v44
	v_cvt_f32_i32_sdwa v34, sext(v28) dst_sel:DWORD dst_unused:UNUSED_PAD src0_sel:BYTE_2
	v_cvt_f32_i32_sdwa v37, sext(v29) dst_sel:DWORD dst_unused:UNUSED_PAD src0_sel:BYTE_2
	;; [unrolled: 1-line block ×5, first 2 shown]
	v_fmac_f32_e32 v12, v33, v45
	v_fmac_f32_e32 v27, v36, v45
	;; [unrolled: 1-line block ×4, first 2 shown]
	v_cvt_f32_i32_sdwa v28, sext(v28) dst_sel:DWORD dst_unused:UNUSED_PAD src0_sel:BYTE_3
	v_cvt_f32_i32_sdwa v29, sext(v29) dst_sel:DWORD dst_unused:UNUSED_PAD src0_sel:BYTE_3
	;; [unrolled: 1-line block ×5, first 2 shown]
	v_fmac_f32_e32 v12, v34, v32
	v_fmac_f32_e32 v27, v37, v32
	v_fmac_f32_e32 v26, v40, v32
	v_fmac_f32_e32 v25, v43, v32
	v_fmac_f32_e32 v12, v28, v11
	v_fmac_f32_e32 v27, v29, v11
	v_fmac_f32_e32 v26, v30, v11
	v_fmac_f32_e32 v25, v31, v11
	s_andn2_b32 exec_lo, exec_lo, s8
	s_cbranch_execnz .LBB87_19
; %bb.20:
	s_or_b32 exec_lo, exec_lo, s8
.LBB87_21:
	s_or_b32 exec_lo, exec_lo, s1
	s_mov_b32 s8, exec_lo
	v_cmpx_lt_u64_e32 47, v[19:20]
	s_cbranch_execz .LBB87_25
; %bb.22:
	v_lshlrev_b64 v[19:20], 3, v[15:16]
	s_mov_b32 s9, 0
	v_add_co_u32 v11, vcc_lo, s12, v19
	v_add_co_ci_u32_e64 v20, null, s13, v20, vcc_lo
	v_add_co_u32 v19, vcc_lo, 0x100, v11
	v_add_co_ci_u32_e64 v20, null, 0, v20, vcc_lo
.LBB87_23:                              ; =>This Inner Loop Header: Depth=1
	s_clause 0x3
	global_load_dwordx2 v[40:41], v[19:20], off offset:-256
	global_load_dwordx2 v[42:43], v[19:20], off offset:-128
	global_load_dwordx2 v[44:45], v[19:20], off
	global_load_dwordx2 v[46:47], v[19:20], off offset:128
	s_clause 0x3
	global_load_dwordx4 v[21:24], v[17:18], off
	global_load_dwordx4 v[28:31], v[17:18], off offset:256
	global_load_dwordx4 v[32:35], v[17:18], off offset:512
	;; [unrolled: 1-line block ×3, first 2 shown]
	s_waitcnt vmcnt(7)
	v_sub_co_u32 v40, vcc_lo, v40, v1
	v_sub_co_ci_u32_e64 v41, null, v41, v2, vcc_lo
	s_waitcnt vmcnt(6)
	v_sub_co_u32 v42, vcc_lo, v42, v1
	v_sub_co_ci_u32_e64 v43, null, v43, v2, vcc_lo
	v_lshlrev_b64 v[40:41], 2, v[40:41]
	s_waitcnt vmcnt(3)
	v_cvt_f32_i32_sdwa v49, sext(v23) dst_sel:DWORD dst_unused:UNUSED_PAD src0_sel:BYTE_0
	v_cvt_f32_i32_sdwa v52, sext(v24) dst_sel:DWORD dst_unused:UNUSED_PAD src0_sel:BYTE_0
	v_cvt_f32_i32_sdwa v50, sext(v23) dst_sel:DWORD dst_unused:UNUSED_PAD src0_sel:BYTE_1
	v_cvt_f32_i32_sdwa v53, sext(v24) dst_sel:DWORD dst_unused:UNUSED_PAD src0_sel:BYTE_1
	v_cvt_f32_i32_sdwa v48, sext(v22) dst_sel:DWORD dst_unused:UNUSED_PAD src0_sel:BYTE_2
	v_add_co_u32 v40, vcc_lo, s6, v40
	v_add_co_ci_u32_e64 v41, null, s7, v41, vcc_lo
	v_sub_co_u32 v44, vcc_lo, v44, v1
	v_sub_co_ci_u32_e64 v45, null, v45, v2, vcc_lo
	global_load_dword v11, v[40:41], off
	v_lshlrev_b64 v[40:41], 2, v[42:43]
	v_cvt_f32_i32_sdwa v51, sext(v23) dst_sel:DWORD dst_unused:UNUSED_PAD src0_sel:BYTE_2
	v_cvt_f32_i32_sdwa v54, sext(v24) dst_sel:DWORD dst_unused:UNUSED_PAD src0_sel:BYTE_2
	v_cvt_f32_i32_sdwa v23, sext(v23) dst_sel:DWORD dst_unused:UNUSED_PAD src0_sel:BYTE_3
	v_cvt_f32_i32_sdwa v24, sext(v24) dst_sel:DWORD dst_unused:UNUSED_PAD src0_sel:BYTE_3
	s_waitcnt vmcnt(3)
	v_cvt_f32_i32_sdwa v55, sext(v28) dst_sel:DWORD dst_unused:UNUSED_PAD src0_sel:BYTE_0
	v_add_co_u32 v40, vcc_lo, s6, v40
	v_add_co_ci_u32_e64 v41, null, s7, v41, vcc_lo
	v_cvt_f32_i32_sdwa v58, sext(v29) dst_sel:DWORD dst_unused:UNUSED_PAD src0_sel:BYTE_0
	v_cvt_f32_i32_sdwa v61, sext(v30) dst_sel:DWORD dst_unused:UNUSED_PAD src0_sel:BYTE_0
	;; [unrolled: 1-line block ×3, first 2 shown]
	global_load_dword v43, v[40:41], off
	v_lshlrev_b64 v[41:42], 2, v[44:45]
	v_sub_co_u32 v40, vcc_lo, v46, v1
	v_cvt_f32_i32_sdwa v46, sext(v22) dst_sel:DWORD dst_unused:UNUSED_PAD src0_sel:BYTE_0
	v_cvt_f32_i32_sdwa v44, sext(v21) dst_sel:DWORD dst_unused:UNUSED_PAD src0_sel:BYTE_1
	v_cvt_f32_i32_sdwa v45, sext(v21) dst_sel:DWORD dst_unused:UNUSED_PAD src0_sel:BYTE_2
	v_add_co_u32 v41, s1, s6, v41
	v_add_co_ci_u32_e64 v42, null, s7, v42, s1
	v_cvt_f32_i32_sdwa v56, sext(v28) dst_sel:DWORD dst_unused:UNUSED_PAD src0_sel:BYTE_1
	v_cvt_f32_i32_sdwa v59, sext(v29) dst_sel:DWORD dst_unused:UNUSED_PAD src0_sel:BYTE_1
	;; [unrolled: 1-line block ×3, first 2 shown]
	global_load_dword v42, v[41:42], off
	v_sub_co_ci_u32_e64 v41, null, v47, v2, vcc_lo
	v_cvt_f32_i32_sdwa v47, sext(v22) dst_sel:DWORD dst_unused:UNUSED_PAD src0_sel:BYTE_1
	v_cvt_f32_i32_sdwa v22, sext(v22) dst_sel:DWORD dst_unused:UNUSED_PAD src0_sel:BYTE_3
	v_cvt_f32_i32_sdwa v65, sext(v31) dst_sel:DWORD dst_unused:UNUSED_PAD src0_sel:BYTE_1
	v_lshlrev_b64 v[40:41], 2, v[40:41]
	v_cvt_f32_i32_sdwa v57, sext(v28) dst_sel:DWORD dst_unused:UNUSED_PAD src0_sel:BYTE_2
	v_cvt_f32_i32_sdwa v60, sext(v29) dst_sel:DWORD dst_unused:UNUSED_PAD src0_sel:BYTE_2
	;; [unrolled: 1-line block ×4, first 2 shown]
	v_cvt_f32_i32_sdwa v28, sext(v28) dst_sel:DWORD dst_unused:UNUSED_PAD src0_sel:BYTE_3
	v_add_co_u32 v40, vcc_lo, s6, v40
	v_add_co_ci_u32_e64 v41, null, s7, v41, vcc_lo
	v_cvt_f32_i32_sdwa v29, sext(v29) dst_sel:DWORD dst_unused:UNUSED_PAD src0_sel:BYTE_3
	v_cvt_f32_i32_sdwa v30, sext(v30) dst_sel:DWORD dst_unused:UNUSED_PAD src0_sel:BYTE_3
	;; [unrolled: 1-line block ×3, first 2 shown]
	global_load_dword v40, v[40:41], off
	v_cvt_f32_i32_sdwa v41, sext(v21) dst_sel:DWORD dst_unused:UNUSED_PAD src0_sel:BYTE_0
	v_cvt_f32_i32_sdwa v21, sext(v21) dst_sel:DWORD dst_unused:UNUSED_PAD src0_sel:BYTE_3
	s_waitcnt vmcnt(5)
	v_cvt_f32_i32_sdwa v67, sext(v32) dst_sel:DWORD dst_unused:UNUSED_PAD src0_sel:BYTE_0
	v_cvt_f32_i32_sdwa v70, sext(v33) dst_sel:DWORD dst_unused:UNUSED_PAD src0_sel:BYTE_0
	;; [unrolled: 1-line block ×4, first 2 shown]
	v_cvt_f32_i32_sdwa v68, sext(v32) dst_sel:DWORD dst_unused:UNUSED_PAD src0_sel:BYTE_1
	v_cvt_f32_i32_sdwa v71, sext(v33) dst_sel:DWORD dst_unused:UNUSED_PAD src0_sel:BYTE_1
	;; [unrolled: 1-line block ×4, first 2 shown]
	v_cvt_f32_i32_sdwa v69, sext(v32) dst_sel:DWORD dst_unused:UNUSED_PAD src0_sel:BYTE_2
	v_cvt_f32_i32_sdwa v72, sext(v33) dst_sel:DWORD dst_unused:UNUSED_PAD src0_sel:BYTE_2
	;; [unrolled: 1-line block ×4, first 2 shown]
	v_cvt_f32_i32_sdwa v32, sext(v32) dst_sel:DWORD dst_unused:UNUSED_PAD src0_sel:BYTE_3
	v_cvt_f32_i32_sdwa v33, sext(v33) dst_sel:DWORD dst_unused:UNUSED_PAD src0_sel:BYTE_3
	;; [unrolled: 1-line block ×4, first 2 shown]
	s_waitcnt vmcnt(4)
	v_cvt_f32_i32_sdwa v79, sext(v36) dst_sel:DWORD dst_unused:UNUSED_PAD src0_sel:BYTE_0
	v_cvt_f32_i32_sdwa v82, sext(v37) dst_sel:DWORD dst_unused:UNUSED_PAD src0_sel:BYTE_0
	;; [unrolled: 1-line block ×4, first 2 shown]
	v_cvt_f32_i32_sdwa v80, sext(v36) dst_sel:DWORD dst_unused:UNUSED_PAD src0_sel:BYTE_1
	v_cvt_f32_i32_sdwa v83, sext(v37) dst_sel:DWORD dst_unused:UNUSED_PAD src0_sel:BYTE_1
	;; [unrolled: 1-line block ×4, first 2 shown]
	v_add_co_u32 v17, vcc_lo, 0x400, v17
	v_add_co_ci_u32_e64 v18, null, 0, v18, vcc_lo
	v_add_co_u32 v15, vcc_lo, v15, 64
	v_cvt_f32_i32_sdwa v81, sext(v36) dst_sel:DWORD dst_unused:UNUSED_PAD src0_sel:BYTE_2
	v_cvt_f32_i32_sdwa v84, sext(v37) dst_sel:DWORD dst_unused:UNUSED_PAD src0_sel:BYTE_2
	;; [unrolled: 1-line block ×4, first 2 shown]
	v_add_co_ci_u32_e64 v16, null, 0, v16, vcc_lo
	v_add_co_u32 v19, vcc_lo, 0x200, v19
	v_cvt_f32_i32_sdwa v36, sext(v36) dst_sel:DWORD dst_unused:UNUSED_PAD src0_sel:BYTE_3
	v_cvt_f32_i32_sdwa v37, sext(v37) dst_sel:DWORD dst_unused:UNUSED_PAD src0_sel:BYTE_3
	;; [unrolled: 1-line block ×4, first 2 shown]
	v_add_co_ci_u32_e64 v20, null, 0, v20, vcc_lo
	v_cmp_ge_i64_e32 vcc_lo, v[15:16], v[7:8]
	s_or_b32 s9, vcc_lo, s9
	s_waitcnt vmcnt(3)
	v_cvt_f32_i32_sdwa v91, sext(v11) dst_sel:DWORD dst_unused:UNUSED_PAD src0_sel:BYTE_0
	v_cvt_f32_i32_sdwa v92, sext(v11) dst_sel:DWORD dst_unused:UNUSED_PAD src0_sel:BYTE_1
	v_fmac_f32_e32 v12, v41, v91
	v_fmac_f32_e32 v27, v46, v91
	v_fmac_f32_e32 v26, v49, v91
	v_fmac_f32_e32 v25, v52, v91
	v_cvt_f32_i32_sdwa v41, sext(v11) dst_sel:DWORD dst_unused:UNUSED_PAD src0_sel:BYTE_2
	v_fmac_f32_e32 v12, v44, v92
	v_fmac_f32_e32 v27, v47, v92
	v_fmac_f32_e32 v26, v50, v92
	v_fmac_f32_e32 v25, v53, v92
	v_cvt_f32_i32_sdwa v11, sext(v11) dst_sel:DWORD dst_unused:UNUSED_PAD src0_sel:BYTE_3
	v_fmac_f32_e32 v12, v45, v41
	v_fmac_f32_e32 v27, v48, v41
	v_fmac_f32_e32 v26, v51, v41
	v_fmac_f32_e32 v25, v54, v41
	s_waitcnt vmcnt(2)
	v_cvt_f32_i32_sdwa v41, sext(v43) dst_sel:DWORD dst_unused:UNUSED_PAD src0_sel:BYTE_0
	v_fmac_f32_e32 v12, v21, v11
	v_fmac_f32_e32 v27, v22, v11
	v_fmac_f32_e32 v26, v23, v11
	v_fmac_f32_e32 v25, v24, v11
	v_cvt_f32_i32_sdwa v11, sext(v43) dst_sel:DWORD dst_unused:UNUSED_PAD src0_sel:BYTE_1
	v_fmac_f32_e32 v12, v55, v41
	v_fmac_f32_e32 v27, v58, v41
	v_fmac_f32_e32 v26, v61, v41
	v_fmac_f32_e32 v25, v64, v41
	v_cvt_f32_i32_sdwa v21, sext(v43) dst_sel:DWORD dst_unused:UNUSED_PAD src0_sel:BYTE_2
	v_fmac_f32_e32 v12, v56, v11
	v_fmac_f32_e32 v27, v59, v11
	v_fmac_f32_e32 v26, v62, v11
	v_fmac_f32_e32 v25, v65, v11
	v_cvt_f32_i32_sdwa v11, sext(v43) dst_sel:DWORD dst_unused:UNUSED_PAD src0_sel:BYTE_3
	v_fmac_f32_e32 v12, v57, v21
	v_fmac_f32_e32 v27, v60, v21
	v_fmac_f32_e32 v26, v63, v21
	v_fmac_f32_e32 v25, v66, v21
	s_waitcnt vmcnt(1)
	v_cvt_f32_i32_sdwa v21, sext(v42) dst_sel:DWORD dst_unused:UNUSED_PAD src0_sel:BYTE_0
	v_fmac_f32_e32 v12, v28, v11
	v_fmac_f32_e32 v27, v29, v11
	v_fmac_f32_e32 v26, v30, v11
	v_fmac_f32_e32 v25, v31, v11
	;; [unrolled: 21-line block ×3, first 2 shown]
	v_cvt_f32_i32_sdwa v11, sext(v40) dst_sel:DWORD dst_unused:UNUSED_PAD src0_sel:BYTE_1
	v_fmac_f32_e32 v12, v79, v21
	v_fmac_f32_e32 v27, v82, v21
	;; [unrolled: 1-line block ×4, first 2 shown]
	v_cvt_f32_i32_sdwa v21, sext(v40) dst_sel:DWORD dst_unused:UNUSED_PAD src0_sel:BYTE_2
	v_fmac_f32_e32 v12, v80, v11
	v_fmac_f32_e32 v27, v83, v11
	v_fmac_f32_e32 v26, v86, v11
	v_fmac_f32_e32 v25, v89, v11
	v_cvt_f32_i32_sdwa v11, sext(v40) dst_sel:DWORD dst_unused:UNUSED_PAD src0_sel:BYTE_3
	v_fmac_f32_e32 v12, v81, v21
	v_fmac_f32_e32 v27, v84, v21
	;; [unrolled: 1-line block ×8, first 2 shown]
	s_andn2_b32 exec_lo, exec_lo, s9
	s_cbranch_execnz .LBB87_23
; %bb.24:
	s_or_b32 exec_lo, exec_lo, s9
.LBB87_25:
	s_or_b32 exec_lo, exec_lo, s8
.LBB87_26:
	s_or_b32 exec_lo, exec_lo, s3
	s_cbranch_execz .LBB87_28
	s_branch .LBB87_39
.LBB87_27:
                                        ; implicit-def: $vgpr25
                                        ; implicit-def: $vgpr26
                                        ; implicit-def: $vgpr27
                                        ; implicit-def: $vgpr12
.LBB87_28:
	v_mov_b32_e32 v25, 0
	v_mov_b32_e32 v26, 0
	;; [unrolled: 1-line block ×4, first 2 shown]
	s_and_saveexec_b32 s1, s0
	s_cbranch_execz .LBB87_38
; %bb.29:
	v_or_b32_e32 v11, 16, v0
	v_sub_co_u32 v15, s0, v1, v0
	v_subrev_co_ci_u32_e64 v16, null, 0, v2, s0
	v_sub_co_u32 v11, vcc_lo, v11, v1
	v_sub_co_ci_u32_e64 v12, null, 0, v2, vcc_lo
	s_mov_b32 s0, exec_lo
	v_add_co_u32 v11, vcc_lo, v11, v13
	v_add_co_ci_u32_e64 v12, null, v12, v14, vcc_lo
	v_not_b32_e32 v13, v13
	v_not_b32_e32 v14, v14
	v_cmp_gt_i64_e32 vcc_lo, v[11:12], v[7:8]
	v_cndmask_b32_e32 v17, v8, v12, vcc_lo
	v_cndmask_b32_e32 v11, v7, v11, vcc_lo
	v_add_co_u32 v12, vcc_lo, v15, v13
	v_add_co_ci_u32_e64 v14, null, v16, v14, vcc_lo
	v_add_co_u32 v13, vcc_lo, v12, v11
	v_mov_b32_e32 v12, 0
	v_add_co_ci_u32_e64 v14, null, v14, v17, vcc_lo
	v_and_b32_e32 v11, 48, v13
	v_mov_b32_e32 v27, v12
	v_mov_b32_e32 v26, v12
	;; [unrolled: 1-line block ×3, first 2 shown]
	v_cmpx_ne_u64_e32 48, v[11:12]
	s_cbranch_execz .LBB87_33
; %bb.30:
	v_lshrrev_b32_e32 v11, 4, v13
	v_mov_b32_e32 v25, 0
	v_mov_b32_e32 v26, 0
	v_mov_b32_e32 v27, 0
	v_add_nc_u32_e32 v15, 1, v11
	v_lshlrev_b64 v[11:12], 3, v[5:6]
	v_and_b32_e32 v17, 3, v15
	v_add_co_u32 v15, vcc_lo, s12, v11
	v_add_co_ci_u32_e64 v16, null, s13, v12, vcc_lo
	v_sub_co_u32 v17, s3, 0, v17
	v_sub_co_ci_u32_e64 v18, null, 0, 0, s3
	v_mov_b32_e32 v12, 0
	s_mov_b32 s3, 0
.LBB87_31:                              ; =>This Inner Loop Header: Depth=1
	global_load_dwordx2 v[19:20], v[15:16], off
	s_waitcnt vmcnt(0)
	v_sub_co_u32 v19, vcc_lo, v19, v1
	v_sub_co_ci_u32_e64 v20, null, v20, v2, vcc_lo
	v_lshlrev_b64 v[19:20], 2, v[19:20]
	v_add_co_u32 v23, vcc_lo, s6, v19
	v_add_co_ci_u32_e64 v24, null, s7, v20, vcc_lo
	global_load_dwordx4 v[19:22], v[9:10], off
	global_load_dword v11, v[23:24], off
	v_add_co_u32 v9, vcc_lo, 0x100, v9
	v_add_co_ci_u32_e64 v10, null, 0, v10, vcc_lo
	v_add_co_u32 v5, vcc_lo, v5, 16
	v_add_co_ci_u32_e64 v6, null, 0, v6, vcc_lo
	;; [unrolled: 2-line block ×4, first 2 shown]
	v_cmp_eq_u64_e32 vcc_lo, 0, v[17:18]
	s_or_b32 s3, vcc_lo, s3
	s_waitcnt vmcnt(1)
	v_cvt_f32_i32_sdwa v23, sext(v19) dst_sel:DWORD dst_unused:UNUSED_PAD src0_sel:BYTE_0
	v_cvt_f32_i32_sdwa v24, sext(v19) dst_sel:DWORD dst_unused:UNUSED_PAD src0_sel:BYTE_1
	v_cvt_f32_i32_sdwa v28, sext(v19) dst_sel:DWORD dst_unused:UNUSED_PAD src0_sel:BYTE_2
	v_cvt_f32_i32_sdwa v19, sext(v19) dst_sel:DWORD dst_unused:UNUSED_PAD src0_sel:BYTE_3
	s_waitcnt vmcnt(0)
	v_cvt_f32_i32_sdwa v38, sext(v11) dst_sel:DWORD dst_unused:UNUSED_PAD src0_sel:BYTE_0
	v_cvt_f32_i32_sdwa v29, sext(v20) dst_sel:DWORD dst_unused:UNUSED_PAD src0_sel:BYTE_0
	v_cvt_f32_i32_sdwa v30, sext(v20) dst_sel:DWORD dst_unused:UNUSED_PAD src0_sel:BYTE_1
	v_cvt_f32_i32_sdwa v31, sext(v20) dst_sel:DWORD dst_unused:UNUSED_PAD src0_sel:BYTE_2
	v_cvt_f32_i32_sdwa v20, sext(v20) dst_sel:DWORD dst_unused:UNUSED_PAD src0_sel:BYTE_3
	v_cvt_f32_i32_sdwa v39, sext(v11) dst_sel:DWORD dst_unused:UNUSED_PAD src0_sel:BYTE_1
	v_fmac_f32_e32 v12, v23, v38
	v_fmac_f32_e32 v27, v24, v38
	;; [unrolled: 1-line block ×4, first 2 shown]
	v_cvt_f32_i32_sdwa v32, sext(v21) dst_sel:DWORD dst_unused:UNUSED_PAD src0_sel:BYTE_0
	v_cvt_f32_i32_sdwa v33, sext(v21) dst_sel:DWORD dst_unused:UNUSED_PAD src0_sel:BYTE_1
	v_cvt_f32_i32_sdwa v34, sext(v21) dst_sel:DWORD dst_unused:UNUSED_PAD src0_sel:BYTE_2
	v_cvt_f32_i32_sdwa v21, sext(v21) dst_sel:DWORD dst_unused:UNUSED_PAD src0_sel:BYTE_3
	v_cvt_f32_i32_sdwa v19, sext(v11) dst_sel:DWORD dst_unused:UNUSED_PAD src0_sel:BYTE_2
	v_fmac_f32_e32 v12, v29, v39
	v_fmac_f32_e32 v27, v30, v39
	;; [unrolled: 1-line block ×4, first 2 shown]
	v_cvt_f32_i32_sdwa v35, sext(v22) dst_sel:DWORD dst_unused:UNUSED_PAD src0_sel:BYTE_0
	v_cvt_f32_i32_sdwa v36, sext(v22) dst_sel:DWORD dst_unused:UNUSED_PAD src0_sel:BYTE_1
	v_cvt_f32_i32_sdwa v37, sext(v22) dst_sel:DWORD dst_unused:UNUSED_PAD src0_sel:BYTE_2
	v_cvt_f32_i32_sdwa v22, sext(v22) dst_sel:DWORD dst_unused:UNUSED_PAD src0_sel:BYTE_3
	v_cvt_f32_i32_sdwa v11, sext(v11) dst_sel:DWORD dst_unused:UNUSED_PAD src0_sel:BYTE_3
	v_fmac_f32_e32 v12, v32, v19
	v_fmac_f32_e32 v27, v33, v19
	;; [unrolled: 1-line block ×8, first 2 shown]
	s_andn2_b32 exec_lo, exec_lo, s3
	s_cbranch_execnz .LBB87_31
; %bb.32:
	s_or_b32 exec_lo, exec_lo, s3
.LBB87_33:
	s_or_b32 exec_lo, exec_lo, s0
	s_mov_b32 s3, exec_lo
	v_cmpx_lt_u64_e32 47, v[13:14]
	s_cbranch_execz .LBB87_37
; %bb.34:
	v_lshlrev_b64 v[13:14], 3, v[5:6]
	s_mov_b32 s8, 0
	v_add_co_u32 v11, vcc_lo, s12, v13
	v_add_co_ci_u32_e64 v14, null, s13, v14, vcc_lo
	v_add_co_u32 v13, vcc_lo, 0x100, v11
	v_add_co_ci_u32_e64 v14, null, 0, v14, vcc_lo
.LBB87_35:                              ; =>This Inner Loop Header: Depth=1
	s_clause 0x3
	global_load_dwordx2 v[23:24], v[13:14], off offset:-256
	global_load_dwordx2 v[36:37], v[13:14], off offset:-128
	global_load_dwordx2 v[38:39], v[13:14], off
	global_load_dwordx2 v[40:41], v[13:14], off offset:128
	s_clause 0x3
	global_load_dwordx4 v[15:18], v[9:10], off
	global_load_dwordx4 v[19:22], v[9:10], off offset:256
	global_load_dwordx4 v[28:31], v[9:10], off offset:512
	;; [unrolled: 1-line block ×3, first 2 shown]
	s_waitcnt vmcnt(7)
	v_sub_co_u32 v23, vcc_lo, v23, v1
	v_sub_co_ci_u32_e64 v24, null, v24, v2, vcc_lo
	s_waitcnt vmcnt(6)
	v_sub_co_u32 v36, vcc_lo, v36, v1
	v_sub_co_ci_u32_e64 v37, null, v37, v2, vcc_lo
	v_lshlrev_b64 v[23:24], 2, v[23:24]
	s_waitcnt vmcnt(3)
	v_cvt_f32_i32_sdwa v43, sext(v17) dst_sel:DWORD dst_unused:UNUSED_PAD src0_sel:BYTE_0
	v_cvt_f32_i32_sdwa v44, sext(v17) dst_sel:DWORD dst_unused:UNUSED_PAD src0_sel:BYTE_1
	v_cvt_f32_i32_sdwa v45, sext(v17) dst_sel:DWORD dst_unused:UNUSED_PAD src0_sel:BYTE_2
	v_cvt_f32_i32_sdwa v17, sext(v17) dst_sel:DWORD dst_unused:UNUSED_PAD src0_sel:BYTE_3
	v_cvt_f32_i32_sdwa v46, sext(v18) dst_sel:DWORD dst_unused:UNUSED_PAD src0_sel:BYTE_0
	v_add_co_u32 v23, vcc_lo, s6, v23
	v_add_co_ci_u32_e64 v24, null, s7, v24, vcc_lo
	v_sub_co_u32 v38, vcc_lo, v38, v1
	v_sub_co_ci_u32_e64 v39, null, v39, v2, vcc_lo
	global_load_dword v11, v[23:24], off
	v_lshlrev_b64 v[23:24], 2, v[36:37]
	v_cvt_f32_i32_sdwa v47, sext(v18) dst_sel:DWORD dst_unused:UNUSED_PAD src0_sel:BYTE_1
	v_lshlrev_b64 v[36:37], 2, v[38:39]
	v_cvt_f32_i32_sdwa v38, sext(v15) dst_sel:DWORD dst_unused:UNUSED_PAD src0_sel:BYTE_2
	v_cvt_f32_i32_sdwa v39, sext(v16) dst_sel:DWORD dst_unused:UNUSED_PAD src0_sel:BYTE_0
	v_cvt_f32_i32_sdwa v48, sext(v18) dst_sel:DWORD dst_unused:UNUSED_PAD src0_sel:BYTE_2
	v_add_co_u32 v23, vcc_lo, s6, v23
	v_add_co_ci_u32_e64 v24, null, s7, v24, vcc_lo
	v_add_co_u32 v36, s0, s6, v36
	v_add_co_ci_u32_e64 v37, null, s7, v37, s0
	global_load_dword v42, v[23:24], off
	v_cvt_f32_i32_sdwa v18, sext(v18) dst_sel:DWORD dst_unused:UNUSED_PAD src0_sel:BYTE_3
	s_waitcnt vmcnt(4)
	v_cvt_f32_i32_sdwa v49, sext(v19) dst_sel:DWORD dst_unused:UNUSED_PAD src0_sel:BYTE_0
	global_load_dword v36, v[36:37], off
	v_sub_co_u32 v23, vcc_lo, v40, v1
	v_sub_co_ci_u32_e64 v24, null, v41, v2, vcc_lo
	v_cvt_f32_i32_sdwa v37, sext(v15) dst_sel:DWORD dst_unused:UNUSED_PAD src0_sel:BYTE_1
	v_cvt_f32_i32_sdwa v40, sext(v16) dst_sel:DWORD dst_unused:UNUSED_PAD src0_sel:BYTE_1
	v_cvt_f32_i32_sdwa v41, sext(v16) dst_sel:DWORD dst_unused:UNUSED_PAD src0_sel:BYTE_2
	v_lshlrev_b64 v[23:24], 2, v[23:24]
	v_cvt_f32_i32_sdwa v16, sext(v16) dst_sel:DWORD dst_unused:UNUSED_PAD src0_sel:BYTE_3
	v_cvt_f32_i32_sdwa v50, sext(v19) dst_sel:DWORD dst_unused:UNUSED_PAD src0_sel:BYTE_1
	v_cvt_f32_i32_sdwa v51, sext(v19) dst_sel:DWORD dst_unused:UNUSED_PAD src0_sel:BYTE_2
	v_cvt_f32_i32_sdwa v19, sext(v19) dst_sel:DWORD dst_unused:UNUSED_PAD src0_sel:BYTE_3
	v_cvt_f32_i32_sdwa v52, sext(v20) dst_sel:DWORD dst_unused:UNUSED_PAD src0_sel:BYTE_0
	v_add_co_u32 v23, vcc_lo, s6, v23
	v_add_co_ci_u32_e64 v24, null, s7, v24, vcc_lo
	v_cvt_f32_i32_sdwa v53, sext(v20) dst_sel:DWORD dst_unused:UNUSED_PAD src0_sel:BYTE_1
	v_cvt_f32_i32_sdwa v54, sext(v20) dst_sel:DWORD dst_unused:UNUSED_PAD src0_sel:BYTE_2
	v_cvt_f32_i32_sdwa v20, sext(v20) dst_sel:DWORD dst_unused:UNUSED_PAD src0_sel:BYTE_3
	global_load_dword v23, v[23:24], off
	v_cvt_f32_i32_sdwa v24, sext(v15) dst_sel:DWORD dst_unused:UNUSED_PAD src0_sel:BYTE_0
	v_cvt_f32_i32_sdwa v15, sext(v15) dst_sel:DWORD dst_unused:UNUSED_PAD src0_sel:BYTE_3
	v_cvt_f32_i32_sdwa v55, sext(v21) dst_sel:DWORD dst_unused:UNUSED_PAD src0_sel:BYTE_0
	v_cvt_f32_i32_sdwa v56, sext(v21) dst_sel:DWORD dst_unused:UNUSED_PAD src0_sel:BYTE_1
	v_cvt_f32_i32_sdwa v57, sext(v21) dst_sel:DWORD dst_unused:UNUSED_PAD src0_sel:BYTE_2
	v_cvt_f32_i32_sdwa v21, sext(v21) dst_sel:DWORD dst_unused:UNUSED_PAD src0_sel:BYTE_3
	v_cvt_f32_i32_sdwa v58, sext(v22) dst_sel:DWORD dst_unused:UNUSED_PAD src0_sel:BYTE_0
	v_cvt_f32_i32_sdwa v59, sext(v22) dst_sel:DWORD dst_unused:UNUSED_PAD src0_sel:BYTE_1
	v_cvt_f32_i32_sdwa v60, sext(v22) dst_sel:DWORD dst_unused:UNUSED_PAD src0_sel:BYTE_2
	v_cvt_f32_i32_sdwa v22, sext(v22) dst_sel:DWORD dst_unused:UNUSED_PAD src0_sel:BYTE_3
	s_waitcnt vmcnt(5)
	v_cvt_f32_i32_sdwa v61, sext(v28) dst_sel:DWORD dst_unused:UNUSED_PAD src0_sel:BYTE_0
	v_cvt_f32_i32_sdwa v62, sext(v28) dst_sel:DWORD dst_unused:UNUSED_PAD src0_sel:BYTE_1
	v_cvt_f32_i32_sdwa v63, sext(v28) dst_sel:DWORD dst_unused:UNUSED_PAD src0_sel:BYTE_2
	v_cvt_f32_i32_sdwa v28, sext(v28) dst_sel:DWORD dst_unused:UNUSED_PAD src0_sel:BYTE_3
	v_cvt_f32_i32_sdwa v64, sext(v29) dst_sel:DWORD dst_unused:UNUSED_PAD src0_sel:BYTE_0
	v_cvt_f32_i32_sdwa v65, sext(v29) dst_sel:DWORD dst_unused:UNUSED_PAD src0_sel:BYTE_1
	v_cvt_f32_i32_sdwa v66, sext(v29) dst_sel:DWORD dst_unused:UNUSED_PAD src0_sel:BYTE_2
	v_cvt_f32_i32_sdwa v29, sext(v29) dst_sel:DWORD dst_unused:UNUSED_PAD src0_sel:BYTE_3
	;; [unrolled: 4-line block ×4, first 2 shown]
	s_waitcnt vmcnt(4)
	v_cvt_f32_i32_sdwa v73, sext(v32) dst_sel:DWORD dst_unused:UNUSED_PAD src0_sel:BYTE_0
	v_cvt_f32_i32_sdwa v74, sext(v32) dst_sel:DWORD dst_unused:UNUSED_PAD src0_sel:BYTE_1
	v_cvt_f32_i32_sdwa v75, sext(v32) dst_sel:DWORD dst_unused:UNUSED_PAD src0_sel:BYTE_2
	v_cvt_f32_i32_sdwa v32, sext(v32) dst_sel:DWORD dst_unused:UNUSED_PAD src0_sel:BYTE_3
	v_cvt_f32_i32_sdwa v76, sext(v33) dst_sel:DWORD dst_unused:UNUSED_PAD src0_sel:BYTE_0
	v_cvt_f32_i32_sdwa v77, sext(v33) dst_sel:DWORD dst_unused:UNUSED_PAD src0_sel:BYTE_1
	v_cvt_f32_i32_sdwa v78, sext(v33) dst_sel:DWORD dst_unused:UNUSED_PAD src0_sel:BYTE_2
	v_cvt_f32_i32_sdwa v33, sext(v33) dst_sel:DWORD dst_unused:UNUSED_PAD src0_sel:BYTE_3
	v_add_co_u32 v9, vcc_lo, 0x400, v9
	v_add_co_ci_u32_e64 v10, null, 0, v10, vcc_lo
	v_add_co_u32 v5, vcc_lo, v5, 64
	v_cvt_f32_i32_sdwa v79, sext(v34) dst_sel:DWORD dst_unused:UNUSED_PAD src0_sel:BYTE_0
	v_cvt_f32_i32_sdwa v80, sext(v34) dst_sel:DWORD dst_unused:UNUSED_PAD src0_sel:BYTE_1
	v_cvt_f32_i32_sdwa v81, sext(v34) dst_sel:DWORD dst_unused:UNUSED_PAD src0_sel:BYTE_2
	v_cvt_f32_i32_sdwa v34, sext(v34) dst_sel:DWORD dst_unused:UNUSED_PAD src0_sel:BYTE_3
	v_add_co_ci_u32_e64 v6, null, 0, v6, vcc_lo
	v_add_co_u32 v13, vcc_lo, 0x200, v13
	v_cvt_f32_i32_sdwa v82, sext(v35) dst_sel:DWORD dst_unused:UNUSED_PAD src0_sel:BYTE_0
	v_cvt_f32_i32_sdwa v83, sext(v35) dst_sel:DWORD dst_unused:UNUSED_PAD src0_sel:BYTE_1
	v_cvt_f32_i32_sdwa v84, sext(v35) dst_sel:DWORD dst_unused:UNUSED_PAD src0_sel:BYTE_2
	v_cvt_f32_i32_sdwa v35, sext(v35) dst_sel:DWORD dst_unused:UNUSED_PAD src0_sel:BYTE_3
	v_add_co_ci_u32_e64 v14, null, 0, v14, vcc_lo
	v_cmp_ge_i64_e32 vcc_lo, v[5:6], v[7:8]
	s_or_b32 s8, vcc_lo, s8
	s_waitcnt vmcnt(3)
	v_cvt_f32_i32_sdwa v85, sext(v11) dst_sel:DWORD dst_unused:UNUSED_PAD src0_sel:BYTE_0
	v_cvt_f32_i32_sdwa v86, sext(v11) dst_sel:DWORD dst_unused:UNUSED_PAD src0_sel:BYTE_1
	v_fmac_f32_e32 v12, v24, v85
	v_fmac_f32_e32 v27, v37, v85
	v_fmac_f32_e32 v26, v38, v85
	v_fmac_f32_e32 v25, v15, v85
	v_cvt_f32_i32_sdwa v15, sext(v11) dst_sel:DWORD dst_unused:UNUSED_PAD src0_sel:BYTE_2
	v_fmac_f32_e32 v12, v39, v86
	v_fmac_f32_e32 v27, v40, v86
	v_fmac_f32_e32 v26, v41, v86
	v_fmac_f32_e32 v25, v16, v86
	v_cvt_f32_i32_sdwa v11, sext(v11) dst_sel:DWORD dst_unused:UNUSED_PAD src0_sel:BYTE_3
	v_fmac_f32_e32 v12, v43, v15
	v_fmac_f32_e32 v27, v44, v15
	v_fmac_f32_e32 v26, v45, v15
	v_fmac_f32_e32 v25, v17, v15
	s_waitcnt vmcnt(2)
	v_cvt_f32_i32_sdwa v15, sext(v42) dst_sel:DWORD dst_unused:UNUSED_PAD src0_sel:BYTE_0
	v_fmac_f32_e32 v12, v46, v11
	v_fmac_f32_e32 v27, v47, v11
	v_fmac_f32_e32 v26, v48, v11
	v_fmac_f32_e32 v25, v18, v11
	v_cvt_f32_i32_sdwa v11, sext(v42) dst_sel:DWORD dst_unused:UNUSED_PAD src0_sel:BYTE_1
	v_fmac_f32_e32 v12, v49, v15
	v_fmac_f32_e32 v27, v50, v15
	v_fmac_f32_e32 v26, v51, v15
	v_fmac_f32_e32 v25, v19, v15
	v_cvt_f32_i32_sdwa v15, sext(v42) dst_sel:DWORD dst_unused:UNUSED_PAD src0_sel:BYTE_2
	v_fmac_f32_e32 v12, v52, v11
	v_fmac_f32_e32 v27, v53, v11
	v_fmac_f32_e32 v26, v54, v11
	v_fmac_f32_e32 v25, v20, v11
	v_cvt_f32_i32_sdwa v11, sext(v42) dst_sel:DWORD dst_unused:UNUSED_PAD src0_sel:BYTE_3
	v_fmac_f32_e32 v12, v55, v15
	v_fmac_f32_e32 v27, v56, v15
	v_fmac_f32_e32 v26, v57, v15
	v_fmac_f32_e32 v25, v21, v15
	s_waitcnt vmcnt(1)
	v_cvt_f32_i32_sdwa v15, sext(v36) dst_sel:DWORD dst_unused:UNUSED_PAD src0_sel:BYTE_0
	v_fmac_f32_e32 v12, v58, v11
	v_fmac_f32_e32 v27, v59, v11
	v_fmac_f32_e32 v26, v60, v11
	v_fmac_f32_e32 v25, v22, v11
	;; [unrolled: 21-line block ×3, first 2 shown]
	v_cvt_f32_i32_sdwa v11, sext(v23) dst_sel:DWORD dst_unused:UNUSED_PAD src0_sel:BYTE_1
	v_fmac_f32_e32 v12, v73, v15
	v_fmac_f32_e32 v27, v74, v15
	;; [unrolled: 1-line block ×4, first 2 shown]
	v_cvt_f32_i32_sdwa v15, sext(v23) dst_sel:DWORD dst_unused:UNUSED_PAD src0_sel:BYTE_2
	v_fmac_f32_e32 v12, v76, v11
	v_fmac_f32_e32 v27, v77, v11
	;; [unrolled: 1-line block ×4, first 2 shown]
	v_cvt_f32_i32_sdwa v11, sext(v23) dst_sel:DWORD dst_unused:UNUSED_PAD src0_sel:BYTE_3
	v_fmac_f32_e32 v12, v79, v15
	v_fmac_f32_e32 v27, v80, v15
	;; [unrolled: 1-line block ×8, first 2 shown]
	s_andn2_b32 exec_lo, exec_lo, s8
	s_cbranch_execnz .LBB87_35
; %bb.36:
	s_or_b32 exec_lo, exec_lo, s8
.LBB87_37:
	s_or_b32 exec_lo, exec_lo, s3
.LBB87_38:
	s_or_b32 exec_lo, exec_lo, s1
.LBB87_39:
	v_mbcnt_lo_u32_b32 v1, -1, 0
	s_mov_b32 s3, -1
	v_xor_b32_e32 v2, 8, v1
	v_xor_b32_e32 v8, 4, v1
	v_cmp_gt_i32_e32 vcc_lo, 32, v2
	v_cndmask_b32_e32 v2, v1, v2, vcc_lo
	v_cmp_gt_i32_e32 vcc_lo, 32, v8
	v_lshlrev_b32_e32 v2, 2, v2
	v_cndmask_b32_e32 v8, v1, v8, vcc_lo
	ds_bpermute_b32 v5, v2, v12
	ds_bpermute_b32 v6, v2, v27
	;; [unrolled: 1-line block ×4, first 2 shown]
	v_lshlrev_b32_e32 v8, 2, v8
	s_waitcnt lgkmcnt(3)
	v_add_f32_e32 v5, v12, v5
	s_waitcnt lgkmcnt(2)
	v_add_f32_e32 v6, v27, v6
	s_waitcnt lgkmcnt(1)
	v_add_f32_e32 v7, v26, v7
	s_waitcnt lgkmcnt(0)
	v_add_f32_e32 v2, v25, v2
	v_xor_b32_e32 v12, 2, v1
	ds_bpermute_b32 v9, v8, v5
	ds_bpermute_b32 v10, v8, v6
	;; [unrolled: 1-line block ×4, first 2 shown]
	v_cmp_gt_i32_e32 vcc_lo, 32, v12
	v_cndmask_b32_e32 v12, v1, v12, vcc_lo
	v_lshlrev_b32_e32 v12, 2, v12
	s_waitcnt lgkmcnt(3)
	v_add_f32_e32 v5, v5, v9
	s_waitcnt lgkmcnt(2)
	v_add_f32_e32 v6, v6, v10
	;; [unrolled: 2-line block ×4, first 2 shown]
	ds_bpermute_b32 v2, v12, v5
	ds_bpermute_b32 v9, v12, v6
	ds_bpermute_b32 v10, v12, v7
	ds_bpermute_b32 v11, v12, v8
	v_xor_b32_e32 v12, 1, v1
	v_cmp_gt_i32_e32 vcc_lo, 32, v12
	v_cndmask_b32_e32 v1, v1, v12, vcc_lo
	v_cmp_eq_u32_e32 vcc_lo, 15, v0
	v_lshlrev_b32_e32 v12, 2, v1
	s_waitcnt lgkmcnt(3)
	v_add_f32_e32 v1, v5, v2
	s_waitcnt lgkmcnt(2)
	v_add_f32_e32 v2, v6, v9
	;; [unrolled: 2-line block ×4, first 2 shown]
	ds_bpermute_b32 v7, v12, v1
	ds_bpermute_b32 v8, v12, v2
	;; [unrolled: 1-line block ×4, first 2 shown]
	s_and_b32 exec_lo, exec_lo, vcc_lo
	s_cbranch_execz .LBB87_10
; %bb.40:
	s_load_dwordx2 s[0:1], s[4:5], 0x58
	s_waitcnt lgkmcnt(0)
	v_add_f32_e32 v0, v1, v7
	v_add_f32_e32 v1, v2, v8
	;; [unrolled: 1-line block ×4, first 2 shown]
	v_cmp_eq_f32_e64 s4, s2, 0
	v_lshlrev_b64 v[4:5], 4, v[3:4]
	v_mul_f32_e32 v0, s16, v0
	v_mul_f32_e32 v1, s16, v1
	;; [unrolled: 1-line block ×4, first 2 shown]
	s_and_b32 vcc_lo, exec_lo, s4
	s_cbranch_vccz .LBB87_42
; %bb.41:
	v_add_co_u32 v6, vcc_lo, s0, v4
	v_add_co_ci_u32_e64 v7, null, s1, v5, vcc_lo
	s_mov_b32 s3, 0
	global_store_dwordx4 v[6:7], v[0:3], off
.LBB87_42:
	s_andn2_b32 vcc_lo, exec_lo, s3
	s_cbranch_vccnz .LBB87_10
; %bb.43:
	v_add_co_u32 v8, vcc_lo, s0, v4
	v_add_co_ci_u32_e64 v9, null, s1, v5, vcc_lo
	global_load_dwordx4 v[4:7], v[8:9], off
	s_waitcnt vmcnt(0)
	v_fmac_f32_e32 v0, s2, v4
	v_fmac_f32_e32 v1, s2, v5
	;; [unrolled: 1-line block ×4, first 2 shown]
	global_store_dwordx4 v[8:9], v[0:3], off
	s_endpgm
	.section	.rodata,"a",@progbits
	.p2align	6, 0x0
	.amdhsa_kernel _ZN9rocsparseL18bsrxmvn_4x4_kernelILj128ELj16EfllaafEEvT3_20rocsparse_direction_NS_24const_host_device_scalarIT1_EES1_PKS1_PKT2_SA_S7_PKT4_PKT5_S5_PT6_21rocsparse_index_base_b
		.amdhsa_group_segment_fixed_size 0
		.amdhsa_private_segment_fixed_size 0
		.amdhsa_kernarg_size 104
		.amdhsa_user_sgpr_count 6
		.amdhsa_user_sgpr_private_segment_buffer 1
		.amdhsa_user_sgpr_dispatch_ptr 0
		.amdhsa_user_sgpr_queue_ptr 0
		.amdhsa_user_sgpr_kernarg_segment_ptr 1
		.amdhsa_user_sgpr_dispatch_id 0
		.amdhsa_user_sgpr_flat_scratch_init 0
		.amdhsa_user_sgpr_private_segment_size 0
		.amdhsa_wavefront_size32 1
		.amdhsa_uses_dynamic_stack 0
		.amdhsa_system_sgpr_private_segment_wavefront_offset 0
		.amdhsa_system_sgpr_workgroup_id_x 1
		.amdhsa_system_sgpr_workgroup_id_y 0
		.amdhsa_system_sgpr_workgroup_id_z 0
		.amdhsa_system_sgpr_workgroup_info 0
		.amdhsa_system_vgpr_workitem_id 0
		.amdhsa_next_free_vgpr 93
		.amdhsa_next_free_sgpr 20
		.amdhsa_reserve_vcc 1
		.amdhsa_reserve_flat_scratch 0
		.amdhsa_float_round_mode_32 0
		.amdhsa_float_round_mode_16_64 0
		.amdhsa_float_denorm_mode_32 3
		.amdhsa_float_denorm_mode_16_64 3
		.amdhsa_dx10_clamp 1
		.amdhsa_ieee_mode 1
		.amdhsa_fp16_overflow 0
		.amdhsa_workgroup_processor_mode 1
		.amdhsa_memory_ordered 1
		.amdhsa_forward_progress 1
		.amdhsa_shared_vgpr_count 0
		.amdhsa_exception_fp_ieee_invalid_op 0
		.amdhsa_exception_fp_denorm_src 0
		.amdhsa_exception_fp_ieee_div_zero 0
		.amdhsa_exception_fp_ieee_overflow 0
		.amdhsa_exception_fp_ieee_underflow 0
		.amdhsa_exception_fp_ieee_inexact 0
		.amdhsa_exception_int_div_zero 0
	.end_amdhsa_kernel
	.section	.text._ZN9rocsparseL18bsrxmvn_4x4_kernelILj128ELj16EfllaafEEvT3_20rocsparse_direction_NS_24const_host_device_scalarIT1_EES1_PKS1_PKT2_SA_S7_PKT4_PKT5_S5_PT6_21rocsparse_index_base_b,"axG",@progbits,_ZN9rocsparseL18bsrxmvn_4x4_kernelILj128ELj16EfllaafEEvT3_20rocsparse_direction_NS_24const_host_device_scalarIT1_EES1_PKS1_PKT2_SA_S7_PKT4_PKT5_S5_PT6_21rocsparse_index_base_b,comdat
.Lfunc_end87:
	.size	_ZN9rocsparseL18bsrxmvn_4x4_kernelILj128ELj16EfllaafEEvT3_20rocsparse_direction_NS_24const_host_device_scalarIT1_EES1_PKS1_PKT2_SA_S7_PKT4_PKT5_S5_PT6_21rocsparse_index_base_b, .Lfunc_end87-_ZN9rocsparseL18bsrxmvn_4x4_kernelILj128ELj16EfllaafEEvT3_20rocsparse_direction_NS_24const_host_device_scalarIT1_EES1_PKS1_PKT2_SA_S7_PKT4_PKT5_S5_PT6_21rocsparse_index_base_b
                                        ; -- End function
	.set _ZN9rocsparseL18bsrxmvn_4x4_kernelILj128ELj16EfllaafEEvT3_20rocsparse_direction_NS_24const_host_device_scalarIT1_EES1_PKS1_PKT2_SA_S7_PKT4_PKT5_S5_PT6_21rocsparse_index_base_b.num_vgpr, 93
	.set _ZN9rocsparseL18bsrxmvn_4x4_kernelILj128ELj16EfllaafEEvT3_20rocsparse_direction_NS_24const_host_device_scalarIT1_EES1_PKS1_PKT2_SA_S7_PKT4_PKT5_S5_PT6_21rocsparse_index_base_b.num_agpr, 0
	.set _ZN9rocsparseL18bsrxmvn_4x4_kernelILj128ELj16EfllaafEEvT3_20rocsparse_direction_NS_24const_host_device_scalarIT1_EES1_PKS1_PKT2_SA_S7_PKT4_PKT5_S5_PT6_21rocsparse_index_base_b.numbered_sgpr, 20
	.set _ZN9rocsparseL18bsrxmvn_4x4_kernelILj128ELj16EfllaafEEvT3_20rocsparse_direction_NS_24const_host_device_scalarIT1_EES1_PKS1_PKT2_SA_S7_PKT4_PKT5_S5_PT6_21rocsparse_index_base_b.num_named_barrier, 0
	.set _ZN9rocsparseL18bsrxmvn_4x4_kernelILj128ELj16EfllaafEEvT3_20rocsparse_direction_NS_24const_host_device_scalarIT1_EES1_PKS1_PKT2_SA_S7_PKT4_PKT5_S5_PT6_21rocsparse_index_base_b.private_seg_size, 0
	.set _ZN9rocsparseL18bsrxmvn_4x4_kernelILj128ELj16EfllaafEEvT3_20rocsparse_direction_NS_24const_host_device_scalarIT1_EES1_PKS1_PKT2_SA_S7_PKT4_PKT5_S5_PT6_21rocsparse_index_base_b.uses_vcc, 1
	.set _ZN9rocsparseL18bsrxmvn_4x4_kernelILj128ELj16EfllaafEEvT3_20rocsparse_direction_NS_24const_host_device_scalarIT1_EES1_PKS1_PKT2_SA_S7_PKT4_PKT5_S5_PT6_21rocsparse_index_base_b.uses_flat_scratch, 0
	.set _ZN9rocsparseL18bsrxmvn_4x4_kernelILj128ELj16EfllaafEEvT3_20rocsparse_direction_NS_24const_host_device_scalarIT1_EES1_PKS1_PKT2_SA_S7_PKT4_PKT5_S5_PT6_21rocsparse_index_base_b.has_dyn_sized_stack, 0
	.set _ZN9rocsparseL18bsrxmvn_4x4_kernelILj128ELj16EfllaafEEvT3_20rocsparse_direction_NS_24const_host_device_scalarIT1_EES1_PKS1_PKT2_SA_S7_PKT4_PKT5_S5_PT6_21rocsparse_index_base_b.has_recursion, 0
	.set _ZN9rocsparseL18bsrxmvn_4x4_kernelILj128ELj16EfllaafEEvT3_20rocsparse_direction_NS_24const_host_device_scalarIT1_EES1_PKS1_PKT2_SA_S7_PKT4_PKT5_S5_PT6_21rocsparse_index_base_b.has_indirect_call, 0
	.section	.AMDGPU.csdata,"",@progbits
; Kernel info:
; codeLenInByte = 5000
; TotalNumSgprs: 22
; NumVgprs: 93
; ScratchSize: 0
; MemoryBound: 0
; FloatMode: 240
; IeeeMode: 1
; LDSByteSize: 0 bytes/workgroup (compile time only)
; SGPRBlocks: 0
; VGPRBlocks: 11
; NumSGPRsForWavesPerEU: 22
; NumVGPRsForWavesPerEU: 93
; Occupancy: 10
; WaveLimiterHint : 1
; COMPUTE_PGM_RSRC2:SCRATCH_EN: 0
; COMPUTE_PGM_RSRC2:USER_SGPR: 6
; COMPUTE_PGM_RSRC2:TRAP_HANDLER: 0
; COMPUTE_PGM_RSRC2:TGID_X_EN: 1
; COMPUTE_PGM_RSRC2:TGID_Y_EN: 0
; COMPUTE_PGM_RSRC2:TGID_Z_EN: 0
; COMPUTE_PGM_RSRC2:TIDIG_COMP_CNT: 0
	.section	.text._ZN9rocsparseL18bsrxmvn_4x4_kernelILj128ELj32EfllaafEEvT3_20rocsparse_direction_NS_24const_host_device_scalarIT1_EES1_PKS1_PKT2_SA_S7_PKT4_PKT5_S5_PT6_21rocsparse_index_base_b,"axG",@progbits,_ZN9rocsparseL18bsrxmvn_4x4_kernelILj128ELj32EfllaafEEvT3_20rocsparse_direction_NS_24const_host_device_scalarIT1_EES1_PKS1_PKT2_SA_S7_PKT4_PKT5_S5_PT6_21rocsparse_index_base_b,comdat
	.globl	_ZN9rocsparseL18bsrxmvn_4x4_kernelILj128ELj32EfllaafEEvT3_20rocsparse_direction_NS_24const_host_device_scalarIT1_EES1_PKS1_PKT2_SA_S7_PKT4_PKT5_S5_PT6_21rocsparse_index_base_b ; -- Begin function _ZN9rocsparseL18bsrxmvn_4x4_kernelILj128ELj32EfllaafEEvT3_20rocsparse_direction_NS_24const_host_device_scalarIT1_EES1_PKS1_PKT2_SA_S7_PKT4_PKT5_S5_PT6_21rocsparse_index_base_b
	.p2align	8
	.type	_ZN9rocsparseL18bsrxmvn_4x4_kernelILj128ELj32EfllaafEEvT3_20rocsparse_direction_NS_24const_host_device_scalarIT1_EES1_PKS1_PKT2_SA_S7_PKT4_PKT5_S5_PT6_21rocsparse_index_base_b,@function
_ZN9rocsparseL18bsrxmvn_4x4_kernelILj128ELj32EfllaafEEvT3_20rocsparse_direction_NS_24const_host_device_scalarIT1_EES1_PKS1_PKT2_SA_S7_PKT4_PKT5_S5_PT6_21rocsparse_index_base_b: ; @_ZN9rocsparseL18bsrxmvn_4x4_kernelILj128ELj32EfllaafEEvT3_20rocsparse_direction_NS_24const_host_device_scalarIT1_EES1_PKS1_PKT2_SA_S7_PKT4_PKT5_S5_PT6_21rocsparse_index_base_b
; %bb.0:
	s_clause 0x2
	s_load_dwordx2 s[0:1], s[4:5], 0x60
	s_load_dwordx4 s[16:19], s[4:5], 0x10
	s_load_dwordx2 s[2:3], s[4:5], 0x50
	s_waitcnt lgkmcnt(0)
	s_bitcmp1_b32 s1, 0
	s_cselect_b32 s1, -1, 0
	s_and_b32 vcc_lo, exec_lo, s1
	s_xor_b32 s1, s1, -1
	s_cbranch_vccnz .LBB88_2
; %bb.1:
	s_load_dword s16, s[16:17], 0x0
.LBB88_2:
	s_andn2_b32 vcc_lo, exec_lo, s1
	s_cbranch_vccnz .LBB88_4
; %bb.3:
	s_load_dword s2, s[2:3], 0x0
.LBB88_4:
	s_waitcnt lgkmcnt(0)
	v_cmp_neq_f32_e64 s1, s16, 0
	v_cmp_neq_f32_e64 s3, s2, 1.0
	s_or_b32 s1, s1, s3
	s_mov_b32 s3, 0
	s_andn2_b32 vcc_lo, exec_lo, s1
	s_cbranch_vccnz .LBB88_10
; %bb.5:
	s_load_dwordx2 s[8:9], s[4:5], 0x20
	v_lshrrev_b32_e32 v1, 5, v0
	v_mov_b32_e32 v6, 0
	v_lshl_or_b32 v5, s6, 2, v1
	s_waitcnt lgkmcnt(0)
	s_cmp_lg_u64 s[8:9], 0
	s_cbranch_scc0 .LBB88_11
; %bb.6:
	s_mov_b32 s6, 0
                                        ; implicit-def: $vgpr3_vgpr4
                                        ; implicit-def: $vgpr1_vgpr2
	s_mov_b32 s1, exec_lo
	v_cmpx_gt_i64_e64 s[18:19], v[5:6]
	s_xor_b32 s7, exec_lo, s1
	s_cbranch_execz .LBB88_8
; %bb.7:
	v_lshlrev_b64 v[1:2], 3, v[5:6]
	s_mov_b32 s1, 0
	s_mov_b32 s3, exec_lo
	v_add_co_u32 v1, vcc_lo, s8, v1
	v_add_co_ci_u32_e64 v2, null, s9, v2, vcc_lo
	global_load_dwordx2 v[1:2], v[1:2], off
	s_waitcnt vmcnt(0)
	v_sub_co_u32 v3, vcc_lo, v1, s0
	v_subrev_co_ci_u32_e64 v4, null, 0, v2, vcc_lo
	v_mov_b32_e32 v2, s1
	v_mov_b32_e32 v1, s0
.LBB88_8:
	s_or_b32 exec_lo, exec_lo, s7
	s_and_b32 vcc_lo, exec_lo, s6
	s_cbranch_vccnz .LBB88_12
.LBB88_9:
	s_and_saveexec_b32 s0, s3
	s_cbranch_execnz .LBB88_15
.LBB88_10:
	s_endpgm
.LBB88_11:
                                        ; implicit-def: $vgpr3_vgpr4
                                        ; implicit-def: $vgpr1_vgpr2
	s_cbranch_execz .LBB88_9
.LBB88_12:
	s_load_dwordx2 s[6:7], s[4:5], 0x0
	s_waitcnt lgkmcnt(0)
	v_cmp_gt_i64_e32 vcc_lo, s[6:7], v[5:6]
	s_and_saveexec_b32 s6, vcc_lo
; %bb.13:
	s_mov_b32 s1, 0
	s_or_b32 s3, s3, exec_lo
; %bb.14:
	s_or_b32 exec_lo, exec_lo, s6
	v_mov_b32_e32 v2, s1
	v_mov_b32_e32 v3, v5
	;; [unrolled: 1-line block ×4, first 2 shown]
	s_and_saveexec_b32 s0, s3
	s_cbranch_execz .LBB88_10
.LBB88_15:
	s_load_dwordx8 s[8:15], s[4:5], 0x28
	v_lshlrev_b64 v[5:6], 3, v[3:4]
	v_and_b32_e32 v0, 31, v0
	s_clause 0x1
	s_load_dword s1, s[4:5], 0x8
	s_load_dwordx2 s[6:7], s[4:5], 0x48
	v_mov_b32_e32 v25, 0
	s_waitcnt lgkmcnt(0)
	v_add_co_u32 v7, vcc_lo, s8, v5
	v_add_co_ci_u32_e64 v8, null, s9, v6, vcc_lo
	v_add_co_u32 v5, vcc_lo, s10, v5
	v_add_co_ci_u32_e64 v6, null, s11, v6, vcc_lo
	v_add_co_u32 v9, vcc_lo, v7, 8
	global_load_dwordx2 v[13:14], v[7:8], off
	v_add_co_ci_u32_e64 v10, null, 0, v8, vcc_lo
	s_cmp_eq_u64 s[10:11], 0
	s_cselect_b32 vcc_lo, -1, 0
	s_cmp_eq_u32 s1, 1
	v_cndmask_b32_e32 v6, v6, v10, vcc_lo
	v_cndmask_b32_e32 v5, v5, v9, vcc_lo
	global_load_dwordx2 v[7:8], v[5:6], off
	s_waitcnt vmcnt(1)
	v_sub_co_u32 v5, vcc_lo, v13, v1
	v_sub_co_ci_u32_e64 v6, null, v14, v2, vcc_lo
	v_add_co_u32 v5, vcc_lo, v5, v0
	v_add_co_ci_u32_e64 v6, null, 0, v6, vcc_lo
	v_lshlrev_b64 v[9:10], 4, v[5:6]
	s_waitcnt vmcnt(0)
	v_sub_co_u32 v7, vcc_lo, v7, v1
	v_sub_co_ci_u32_e64 v8, null, v8, v2, vcc_lo
	v_add_co_u32 v9, vcc_lo, s14, v9
	v_cmp_lt_i64_e64 s0, v[5:6], v[7:8]
	v_add_co_ci_u32_e64 v10, null, s15, v10, vcc_lo
	s_cbranch_scc1 .LBB88_27
; %bb.16:
	v_mov_b32_e32 v26, 0
	v_mov_b32_e32 v27, 0
	;; [unrolled: 1-line block ×3, first 2 shown]
	s_and_saveexec_b32 s3, s0
	s_cbranch_execz .LBB88_26
; %bb.17:
	v_or_b32_e32 v11, 32, v0
	v_not_b32_e32 v16, v13
	v_sub_co_u32 v17, s1, v1, v0
	v_not_b32_e32 v15, v14
	v_sub_co_u32 v11, vcc_lo, v11, v1
	v_sub_co_ci_u32_e64 v12, null, 0, v2, vcc_lo
	v_subrev_co_ci_u32_e64 v18, null, 0, v2, s1
	v_add_co_u32 v11, vcc_lo, v11, v13
	v_add_co_ci_u32_e64 v12, null, v12, v14, vcc_lo
	s_mov_b32 s1, exec_lo
	v_cmp_gt_i64_e32 vcc_lo, v[11:12], v[7:8]
	v_cndmask_b32_e32 v20, v8, v12, vcc_lo
	v_cndmask_b32_e32 v11, v7, v11, vcc_lo
	v_add_co_u32 v12, vcc_lo, v17, v16
	v_add_co_ci_u32_e64 v15, null, v18, v15, vcc_lo
	v_mov_b32_e32 v18, v10
	v_add_co_u32 v19, vcc_lo, v12, v11
	v_mov_b32_e32 v12, 0
	v_add_co_ci_u32_e64 v20, null, v15, v20, vcc_lo
	v_mov_b32_e32 v16, v6
	v_and_b32_e32 v11, 0x60, v19
	v_mov_b32_e32 v27, v12
	v_mov_b32_e32 v26, v12
	v_mov_b32_e32 v25, v12
	v_mov_b32_e32 v15, v5
	v_mov_b32_e32 v17, v9
	v_cmpx_ne_u64_e32 0x60, v[11:12]
	s_cbranch_execz .LBB88_21
; %bb.18:
	v_lshrrev_b32_e32 v11, 5, v19
	v_mov_b32_e32 v18, v10
	v_mov_b32_e32 v16, v6
	;; [unrolled: 1-line block ×4, first 2 shown]
	v_add_nc_u32_e32 v21, 1, v11
	v_lshlrev_b64 v[11:12], 3, v[5:6]
	v_mov_b32_e32 v15, v5
	v_mov_b32_e32 v26, 0
	;; [unrolled: 1-line block ×3, first 2 shown]
	v_and_b32_e32 v23, 3, v21
	v_add_co_u32 v21, vcc_lo, s12, v11
	v_add_co_ci_u32_e64 v22, null, s13, v12, vcc_lo
	v_sub_co_u32 v23, s8, 0, v23
	v_sub_co_ci_u32_e64 v24, null, 0, 0, s8
	v_mov_b32_e32 v12, 0
	s_mov_b32 s8, 0
.LBB88_19:                              ; =>This Inner Loop Header: Depth=1
	global_load_dwordx2 v[28:29], v[21:22], off
	s_waitcnt vmcnt(0)
	v_sub_co_u32 v28, vcc_lo, v28, v1
	v_sub_co_ci_u32_e64 v29, null, v29, v2, vcc_lo
	v_lshlrev_b64 v[28:29], 2, v[28:29]
	v_add_co_u32 v32, vcc_lo, s6, v28
	v_add_co_ci_u32_e64 v33, null, s7, v29, vcc_lo
	global_load_dwordx4 v[28:31], v[17:18], off
	global_load_dword v11, v[32:33], off
	v_add_co_u32 v17, vcc_lo, 0x200, v17
	v_add_co_ci_u32_e64 v18, null, 0, v18, vcc_lo
	v_add_co_u32 v15, vcc_lo, v15, 32
	v_add_co_ci_u32_e64 v16, null, 0, v16, vcc_lo
	v_add_co_u32 v21, vcc_lo, 0x100, v21
	v_add_co_ci_u32_e64 v22, null, 0, v22, vcc_lo
	v_add_co_u32 v23, vcc_lo, v23, 1
	v_add_co_ci_u32_e64 v24, null, 0, v24, vcc_lo
	v_cmp_eq_u64_e32 vcc_lo, 0, v[23:24]
	s_or_b32 s8, vcc_lo, s8
	s_waitcnt vmcnt(1)
	v_cvt_f32_i32_sdwa v32, sext(v28) dst_sel:DWORD dst_unused:UNUSED_PAD src0_sel:BYTE_0
	v_cvt_f32_i32_sdwa v35, sext(v29) dst_sel:DWORD dst_unused:UNUSED_PAD src0_sel:BYTE_0
	;; [unrolled: 1-line block ×4, first 2 shown]
	s_waitcnt vmcnt(0)
	v_cvt_f32_i32_sdwa v44, sext(v11) dst_sel:DWORD dst_unused:UNUSED_PAD src0_sel:BYTE_0
	v_cvt_f32_i32_sdwa v33, sext(v28) dst_sel:DWORD dst_unused:UNUSED_PAD src0_sel:BYTE_1
	v_cvt_f32_i32_sdwa v36, sext(v29) dst_sel:DWORD dst_unused:UNUSED_PAD src0_sel:BYTE_1
	;; [unrolled: 1-line block ×5, first 2 shown]
	v_fmac_f32_e32 v12, v32, v44
	v_fmac_f32_e32 v27, v35, v44
	v_fmac_f32_e32 v26, v38, v44
	v_fmac_f32_e32 v25, v41, v44
	v_cvt_f32_i32_sdwa v34, sext(v28) dst_sel:DWORD dst_unused:UNUSED_PAD src0_sel:BYTE_2
	v_cvt_f32_i32_sdwa v37, sext(v29) dst_sel:DWORD dst_unused:UNUSED_PAD src0_sel:BYTE_2
	;; [unrolled: 1-line block ×5, first 2 shown]
	v_fmac_f32_e32 v12, v33, v45
	v_fmac_f32_e32 v27, v36, v45
	;; [unrolled: 1-line block ×4, first 2 shown]
	v_cvt_f32_i32_sdwa v28, sext(v28) dst_sel:DWORD dst_unused:UNUSED_PAD src0_sel:BYTE_3
	v_cvt_f32_i32_sdwa v29, sext(v29) dst_sel:DWORD dst_unused:UNUSED_PAD src0_sel:BYTE_3
	;; [unrolled: 1-line block ×5, first 2 shown]
	v_fmac_f32_e32 v12, v34, v32
	v_fmac_f32_e32 v27, v37, v32
	;; [unrolled: 1-line block ×8, first 2 shown]
	s_andn2_b32 exec_lo, exec_lo, s8
	s_cbranch_execnz .LBB88_19
; %bb.20:
	s_or_b32 exec_lo, exec_lo, s8
.LBB88_21:
	s_or_b32 exec_lo, exec_lo, s1
	s_mov_b32 s8, exec_lo
	v_cmpx_lt_u64_e32 0x5f, v[19:20]
	s_cbranch_execz .LBB88_25
; %bb.22:
	v_lshlrev_b64 v[19:20], 3, v[15:16]
	s_mov_b32 s9, 0
	v_add_co_u32 v11, vcc_lo, s12, v19
	v_add_co_ci_u32_e64 v20, null, s13, v20, vcc_lo
	v_add_co_u32 v19, vcc_lo, 0x200, v11
	v_add_co_ci_u32_e64 v20, null, 0, v20, vcc_lo
.LBB88_23:                              ; =>This Inner Loop Header: Depth=1
	s_clause 0x3
	global_load_dwordx2 v[40:41], v[19:20], off offset:-512
	global_load_dwordx2 v[42:43], v[19:20], off offset:-256
	global_load_dwordx2 v[44:45], v[19:20], off
	global_load_dwordx2 v[46:47], v[19:20], off offset:256
	s_clause 0x3
	global_load_dwordx4 v[21:24], v[17:18], off
	global_load_dwordx4 v[28:31], v[17:18], off offset:512
	global_load_dwordx4 v[32:35], v[17:18], off offset:1024
	;; [unrolled: 1-line block ×3, first 2 shown]
	s_waitcnt vmcnt(7)
	v_sub_co_u32 v40, vcc_lo, v40, v1
	v_sub_co_ci_u32_e64 v41, null, v41, v2, vcc_lo
	s_waitcnt vmcnt(6)
	v_sub_co_u32 v42, vcc_lo, v42, v1
	v_sub_co_ci_u32_e64 v43, null, v43, v2, vcc_lo
	v_lshlrev_b64 v[40:41], 2, v[40:41]
	s_waitcnt vmcnt(3)
	v_cvt_f32_i32_sdwa v49, sext(v23) dst_sel:DWORD dst_unused:UNUSED_PAD src0_sel:BYTE_0
	v_cvt_f32_i32_sdwa v52, sext(v24) dst_sel:DWORD dst_unused:UNUSED_PAD src0_sel:BYTE_0
	v_cvt_f32_i32_sdwa v50, sext(v23) dst_sel:DWORD dst_unused:UNUSED_PAD src0_sel:BYTE_1
	v_cvt_f32_i32_sdwa v53, sext(v24) dst_sel:DWORD dst_unused:UNUSED_PAD src0_sel:BYTE_1
	v_cvt_f32_i32_sdwa v48, sext(v22) dst_sel:DWORD dst_unused:UNUSED_PAD src0_sel:BYTE_2
	v_add_co_u32 v40, vcc_lo, s6, v40
	v_add_co_ci_u32_e64 v41, null, s7, v41, vcc_lo
	v_sub_co_u32 v44, vcc_lo, v44, v1
	v_sub_co_ci_u32_e64 v45, null, v45, v2, vcc_lo
	global_load_dword v11, v[40:41], off
	v_lshlrev_b64 v[40:41], 2, v[42:43]
	v_cvt_f32_i32_sdwa v51, sext(v23) dst_sel:DWORD dst_unused:UNUSED_PAD src0_sel:BYTE_2
	v_cvt_f32_i32_sdwa v54, sext(v24) dst_sel:DWORD dst_unused:UNUSED_PAD src0_sel:BYTE_2
	v_cvt_f32_i32_sdwa v23, sext(v23) dst_sel:DWORD dst_unused:UNUSED_PAD src0_sel:BYTE_3
	v_cvt_f32_i32_sdwa v24, sext(v24) dst_sel:DWORD dst_unused:UNUSED_PAD src0_sel:BYTE_3
	s_waitcnt vmcnt(3)
	v_cvt_f32_i32_sdwa v55, sext(v28) dst_sel:DWORD dst_unused:UNUSED_PAD src0_sel:BYTE_0
	v_add_co_u32 v40, vcc_lo, s6, v40
	v_add_co_ci_u32_e64 v41, null, s7, v41, vcc_lo
	v_cvt_f32_i32_sdwa v58, sext(v29) dst_sel:DWORD dst_unused:UNUSED_PAD src0_sel:BYTE_0
	v_cvt_f32_i32_sdwa v61, sext(v30) dst_sel:DWORD dst_unused:UNUSED_PAD src0_sel:BYTE_0
	;; [unrolled: 1-line block ×3, first 2 shown]
	global_load_dword v43, v[40:41], off
	v_lshlrev_b64 v[41:42], 2, v[44:45]
	v_sub_co_u32 v40, vcc_lo, v46, v1
	v_cvt_f32_i32_sdwa v46, sext(v22) dst_sel:DWORD dst_unused:UNUSED_PAD src0_sel:BYTE_0
	v_cvt_f32_i32_sdwa v44, sext(v21) dst_sel:DWORD dst_unused:UNUSED_PAD src0_sel:BYTE_1
	v_cvt_f32_i32_sdwa v45, sext(v21) dst_sel:DWORD dst_unused:UNUSED_PAD src0_sel:BYTE_2
	v_add_co_u32 v41, s1, s6, v41
	v_add_co_ci_u32_e64 v42, null, s7, v42, s1
	v_cvt_f32_i32_sdwa v56, sext(v28) dst_sel:DWORD dst_unused:UNUSED_PAD src0_sel:BYTE_1
	v_cvt_f32_i32_sdwa v59, sext(v29) dst_sel:DWORD dst_unused:UNUSED_PAD src0_sel:BYTE_1
	;; [unrolled: 1-line block ×3, first 2 shown]
	global_load_dword v42, v[41:42], off
	v_sub_co_ci_u32_e64 v41, null, v47, v2, vcc_lo
	v_cvt_f32_i32_sdwa v47, sext(v22) dst_sel:DWORD dst_unused:UNUSED_PAD src0_sel:BYTE_1
	v_cvt_f32_i32_sdwa v22, sext(v22) dst_sel:DWORD dst_unused:UNUSED_PAD src0_sel:BYTE_3
	v_cvt_f32_i32_sdwa v65, sext(v31) dst_sel:DWORD dst_unused:UNUSED_PAD src0_sel:BYTE_1
	v_lshlrev_b64 v[40:41], 2, v[40:41]
	v_cvt_f32_i32_sdwa v57, sext(v28) dst_sel:DWORD dst_unused:UNUSED_PAD src0_sel:BYTE_2
	v_cvt_f32_i32_sdwa v60, sext(v29) dst_sel:DWORD dst_unused:UNUSED_PAD src0_sel:BYTE_2
	;; [unrolled: 1-line block ×4, first 2 shown]
	v_cvt_f32_i32_sdwa v28, sext(v28) dst_sel:DWORD dst_unused:UNUSED_PAD src0_sel:BYTE_3
	v_add_co_u32 v40, vcc_lo, s6, v40
	v_add_co_ci_u32_e64 v41, null, s7, v41, vcc_lo
	v_cvt_f32_i32_sdwa v29, sext(v29) dst_sel:DWORD dst_unused:UNUSED_PAD src0_sel:BYTE_3
	v_cvt_f32_i32_sdwa v30, sext(v30) dst_sel:DWORD dst_unused:UNUSED_PAD src0_sel:BYTE_3
	;; [unrolled: 1-line block ×3, first 2 shown]
	global_load_dword v40, v[40:41], off
	v_cvt_f32_i32_sdwa v41, sext(v21) dst_sel:DWORD dst_unused:UNUSED_PAD src0_sel:BYTE_0
	v_cvt_f32_i32_sdwa v21, sext(v21) dst_sel:DWORD dst_unused:UNUSED_PAD src0_sel:BYTE_3
	s_waitcnt vmcnt(5)
	v_cvt_f32_i32_sdwa v67, sext(v32) dst_sel:DWORD dst_unused:UNUSED_PAD src0_sel:BYTE_0
	v_cvt_f32_i32_sdwa v70, sext(v33) dst_sel:DWORD dst_unused:UNUSED_PAD src0_sel:BYTE_0
	;; [unrolled: 1-line block ×4, first 2 shown]
	v_cvt_f32_i32_sdwa v68, sext(v32) dst_sel:DWORD dst_unused:UNUSED_PAD src0_sel:BYTE_1
	v_cvt_f32_i32_sdwa v71, sext(v33) dst_sel:DWORD dst_unused:UNUSED_PAD src0_sel:BYTE_1
	;; [unrolled: 1-line block ×4, first 2 shown]
	v_cvt_f32_i32_sdwa v69, sext(v32) dst_sel:DWORD dst_unused:UNUSED_PAD src0_sel:BYTE_2
	v_cvt_f32_i32_sdwa v72, sext(v33) dst_sel:DWORD dst_unused:UNUSED_PAD src0_sel:BYTE_2
	;; [unrolled: 1-line block ×4, first 2 shown]
	v_cvt_f32_i32_sdwa v32, sext(v32) dst_sel:DWORD dst_unused:UNUSED_PAD src0_sel:BYTE_3
	v_cvt_f32_i32_sdwa v33, sext(v33) dst_sel:DWORD dst_unused:UNUSED_PAD src0_sel:BYTE_3
	;; [unrolled: 1-line block ×4, first 2 shown]
	s_waitcnt vmcnt(4)
	v_cvt_f32_i32_sdwa v79, sext(v36) dst_sel:DWORD dst_unused:UNUSED_PAD src0_sel:BYTE_0
	v_cvt_f32_i32_sdwa v82, sext(v37) dst_sel:DWORD dst_unused:UNUSED_PAD src0_sel:BYTE_0
	;; [unrolled: 1-line block ×4, first 2 shown]
	v_cvt_f32_i32_sdwa v80, sext(v36) dst_sel:DWORD dst_unused:UNUSED_PAD src0_sel:BYTE_1
	v_cvt_f32_i32_sdwa v83, sext(v37) dst_sel:DWORD dst_unused:UNUSED_PAD src0_sel:BYTE_1
	;; [unrolled: 1-line block ×4, first 2 shown]
	v_add_co_u32 v17, vcc_lo, 0x800, v17
	v_add_co_ci_u32_e64 v18, null, 0, v18, vcc_lo
	v_add_co_u32 v15, vcc_lo, 0x80, v15
	v_cvt_f32_i32_sdwa v81, sext(v36) dst_sel:DWORD dst_unused:UNUSED_PAD src0_sel:BYTE_2
	v_cvt_f32_i32_sdwa v84, sext(v37) dst_sel:DWORD dst_unused:UNUSED_PAD src0_sel:BYTE_2
	;; [unrolled: 1-line block ×4, first 2 shown]
	v_add_co_ci_u32_e64 v16, null, 0, v16, vcc_lo
	v_add_co_u32 v19, vcc_lo, 0x400, v19
	v_cvt_f32_i32_sdwa v36, sext(v36) dst_sel:DWORD dst_unused:UNUSED_PAD src0_sel:BYTE_3
	v_cvt_f32_i32_sdwa v37, sext(v37) dst_sel:DWORD dst_unused:UNUSED_PAD src0_sel:BYTE_3
	;; [unrolled: 1-line block ×4, first 2 shown]
	v_add_co_ci_u32_e64 v20, null, 0, v20, vcc_lo
	v_cmp_ge_i64_e32 vcc_lo, v[15:16], v[7:8]
	s_or_b32 s9, vcc_lo, s9
	s_waitcnt vmcnt(3)
	v_cvt_f32_i32_sdwa v91, sext(v11) dst_sel:DWORD dst_unused:UNUSED_PAD src0_sel:BYTE_0
	v_cvt_f32_i32_sdwa v92, sext(v11) dst_sel:DWORD dst_unused:UNUSED_PAD src0_sel:BYTE_1
	v_fmac_f32_e32 v12, v41, v91
	v_fmac_f32_e32 v27, v46, v91
	v_fmac_f32_e32 v26, v49, v91
	v_fmac_f32_e32 v25, v52, v91
	v_cvt_f32_i32_sdwa v41, sext(v11) dst_sel:DWORD dst_unused:UNUSED_PAD src0_sel:BYTE_2
	v_fmac_f32_e32 v12, v44, v92
	v_fmac_f32_e32 v27, v47, v92
	v_fmac_f32_e32 v26, v50, v92
	v_fmac_f32_e32 v25, v53, v92
	v_cvt_f32_i32_sdwa v11, sext(v11) dst_sel:DWORD dst_unused:UNUSED_PAD src0_sel:BYTE_3
	v_fmac_f32_e32 v12, v45, v41
	v_fmac_f32_e32 v27, v48, v41
	v_fmac_f32_e32 v26, v51, v41
	v_fmac_f32_e32 v25, v54, v41
	s_waitcnt vmcnt(2)
	v_cvt_f32_i32_sdwa v41, sext(v43) dst_sel:DWORD dst_unused:UNUSED_PAD src0_sel:BYTE_0
	v_fmac_f32_e32 v12, v21, v11
	v_fmac_f32_e32 v27, v22, v11
	v_fmac_f32_e32 v26, v23, v11
	v_fmac_f32_e32 v25, v24, v11
	v_cvt_f32_i32_sdwa v11, sext(v43) dst_sel:DWORD dst_unused:UNUSED_PAD src0_sel:BYTE_1
	v_fmac_f32_e32 v12, v55, v41
	v_fmac_f32_e32 v27, v58, v41
	v_fmac_f32_e32 v26, v61, v41
	v_fmac_f32_e32 v25, v64, v41
	v_cvt_f32_i32_sdwa v21, sext(v43) dst_sel:DWORD dst_unused:UNUSED_PAD src0_sel:BYTE_2
	v_fmac_f32_e32 v12, v56, v11
	v_fmac_f32_e32 v27, v59, v11
	v_fmac_f32_e32 v26, v62, v11
	v_fmac_f32_e32 v25, v65, v11
	v_cvt_f32_i32_sdwa v11, sext(v43) dst_sel:DWORD dst_unused:UNUSED_PAD src0_sel:BYTE_3
	v_fmac_f32_e32 v12, v57, v21
	v_fmac_f32_e32 v27, v60, v21
	v_fmac_f32_e32 v26, v63, v21
	v_fmac_f32_e32 v25, v66, v21
	s_waitcnt vmcnt(1)
	v_cvt_f32_i32_sdwa v21, sext(v42) dst_sel:DWORD dst_unused:UNUSED_PAD src0_sel:BYTE_0
	v_fmac_f32_e32 v12, v28, v11
	v_fmac_f32_e32 v27, v29, v11
	v_fmac_f32_e32 v26, v30, v11
	v_fmac_f32_e32 v25, v31, v11
	;; [unrolled: 21-line block ×3, first 2 shown]
	v_cvt_f32_i32_sdwa v11, sext(v40) dst_sel:DWORD dst_unused:UNUSED_PAD src0_sel:BYTE_1
	v_fmac_f32_e32 v12, v79, v21
	v_fmac_f32_e32 v27, v82, v21
	;; [unrolled: 1-line block ×4, first 2 shown]
	v_cvt_f32_i32_sdwa v21, sext(v40) dst_sel:DWORD dst_unused:UNUSED_PAD src0_sel:BYTE_2
	v_fmac_f32_e32 v12, v80, v11
	v_fmac_f32_e32 v27, v83, v11
	;; [unrolled: 1-line block ×4, first 2 shown]
	v_cvt_f32_i32_sdwa v11, sext(v40) dst_sel:DWORD dst_unused:UNUSED_PAD src0_sel:BYTE_3
	v_fmac_f32_e32 v12, v81, v21
	v_fmac_f32_e32 v27, v84, v21
	;; [unrolled: 1-line block ×8, first 2 shown]
	s_andn2_b32 exec_lo, exec_lo, s9
	s_cbranch_execnz .LBB88_23
; %bb.24:
	s_or_b32 exec_lo, exec_lo, s9
.LBB88_25:
	s_or_b32 exec_lo, exec_lo, s8
.LBB88_26:
	s_or_b32 exec_lo, exec_lo, s3
	s_cbranch_execz .LBB88_28
	s_branch .LBB88_39
.LBB88_27:
                                        ; implicit-def: $vgpr25
                                        ; implicit-def: $vgpr26
                                        ; implicit-def: $vgpr27
                                        ; implicit-def: $vgpr12
.LBB88_28:
	v_mov_b32_e32 v25, 0
	v_mov_b32_e32 v26, 0
	;; [unrolled: 1-line block ×4, first 2 shown]
	s_and_saveexec_b32 s1, s0
	s_cbranch_execz .LBB88_38
; %bb.29:
	v_or_b32_e32 v11, 32, v0
	v_sub_co_u32 v15, s0, v1, v0
	v_subrev_co_ci_u32_e64 v16, null, 0, v2, s0
	v_sub_co_u32 v11, vcc_lo, v11, v1
	v_sub_co_ci_u32_e64 v12, null, 0, v2, vcc_lo
	s_mov_b32 s0, exec_lo
	v_add_co_u32 v11, vcc_lo, v11, v13
	v_add_co_ci_u32_e64 v12, null, v12, v14, vcc_lo
	v_not_b32_e32 v13, v13
	v_not_b32_e32 v14, v14
	v_cmp_gt_i64_e32 vcc_lo, v[11:12], v[7:8]
	v_cndmask_b32_e32 v17, v8, v12, vcc_lo
	v_cndmask_b32_e32 v11, v7, v11, vcc_lo
	v_add_co_u32 v12, vcc_lo, v15, v13
	v_add_co_ci_u32_e64 v14, null, v16, v14, vcc_lo
	v_add_co_u32 v13, vcc_lo, v12, v11
	v_mov_b32_e32 v12, 0
	v_add_co_ci_u32_e64 v14, null, v14, v17, vcc_lo
	v_and_b32_e32 v11, 0x60, v13
	v_mov_b32_e32 v27, v12
	v_mov_b32_e32 v26, v12
	;; [unrolled: 1-line block ×3, first 2 shown]
	v_cmpx_ne_u64_e32 0x60, v[11:12]
	s_cbranch_execz .LBB88_33
; %bb.30:
	v_lshrrev_b32_e32 v11, 5, v13
	v_mov_b32_e32 v25, 0
	v_mov_b32_e32 v26, 0
	;; [unrolled: 1-line block ×3, first 2 shown]
	v_add_nc_u32_e32 v15, 1, v11
	v_lshlrev_b64 v[11:12], 3, v[5:6]
	v_and_b32_e32 v17, 3, v15
	v_add_co_u32 v15, vcc_lo, s12, v11
	v_add_co_ci_u32_e64 v16, null, s13, v12, vcc_lo
	v_sub_co_u32 v17, s3, 0, v17
	v_sub_co_ci_u32_e64 v18, null, 0, 0, s3
	v_mov_b32_e32 v12, 0
	s_mov_b32 s3, 0
.LBB88_31:                              ; =>This Inner Loop Header: Depth=1
	global_load_dwordx2 v[19:20], v[15:16], off
	s_waitcnt vmcnt(0)
	v_sub_co_u32 v19, vcc_lo, v19, v1
	v_sub_co_ci_u32_e64 v20, null, v20, v2, vcc_lo
	v_lshlrev_b64 v[19:20], 2, v[19:20]
	v_add_co_u32 v23, vcc_lo, s6, v19
	v_add_co_ci_u32_e64 v24, null, s7, v20, vcc_lo
	global_load_dwordx4 v[19:22], v[9:10], off
	global_load_dword v11, v[23:24], off
	v_add_co_u32 v9, vcc_lo, 0x200, v9
	v_add_co_ci_u32_e64 v10, null, 0, v10, vcc_lo
	v_add_co_u32 v5, vcc_lo, v5, 32
	v_add_co_ci_u32_e64 v6, null, 0, v6, vcc_lo
	;; [unrolled: 2-line block ×4, first 2 shown]
	v_cmp_eq_u64_e32 vcc_lo, 0, v[17:18]
	s_or_b32 s3, vcc_lo, s3
	s_waitcnt vmcnt(1)
	v_cvt_f32_i32_sdwa v23, sext(v19) dst_sel:DWORD dst_unused:UNUSED_PAD src0_sel:BYTE_0
	v_cvt_f32_i32_sdwa v24, sext(v19) dst_sel:DWORD dst_unused:UNUSED_PAD src0_sel:BYTE_1
	v_cvt_f32_i32_sdwa v28, sext(v19) dst_sel:DWORD dst_unused:UNUSED_PAD src0_sel:BYTE_2
	v_cvt_f32_i32_sdwa v19, sext(v19) dst_sel:DWORD dst_unused:UNUSED_PAD src0_sel:BYTE_3
	s_waitcnt vmcnt(0)
	v_cvt_f32_i32_sdwa v38, sext(v11) dst_sel:DWORD dst_unused:UNUSED_PAD src0_sel:BYTE_0
	v_cvt_f32_i32_sdwa v29, sext(v20) dst_sel:DWORD dst_unused:UNUSED_PAD src0_sel:BYTE_0
	v_cvt_f32_i32_sdwa v30, sext(v20) dst_sel:DWORD dst_unused:UNUSED_PAD src0_sel:BYTE_1
	v_cvt_f32_i32_sdwa v31, sext(v20) dst_sel:DWORD dst_unused:UNUSED_PAD src0_sel:BYTE_2
	v_cvt_f32_i32_sdwa v20, sext(v20) dst_sel:DWORD dst_unused:UNUSED_PAD src0_sel:BYTE_3
	v_cvt_f32_i32_sdwa v39, sext(v11) dst_sel:DWORD dst_unused:UNUSED_PAD src0_sel:BYTE_1
	v_fmac_f32_e32 v12, v23, v38
	v_fmac_f32_e32 v27, v24, v38
	;; [unrolled: 1-line block ×4, first 2 shown]
	v_cvt_f32_i32_sdwa v32, sext(v21) dst_sel:DWORD dst_unused:UNUSED_PAD src0_sel:BYTE_0
	v_cvt_f32_i32_sdwa v33, sext(v21) dst_sel:DWORD dst_unused:UNUSED_PAD src0_sel:BYTE_1
	v_cvt_f32_i32_sdwa v34, sext(v21) dst_sel:DWORD dst_unused:UNUSED_PAD src0_sel:BYTE_2
	v_cvt_f32_i32_sdwa v21, sext(v21) dst_sel:DWORD dst_unused:UNUSED_PAD src0_sel:BYTE_3
	v_cvt_f32_i32_sdwa v19, sext(v11) dst_sel:DWORD dst_unused:UNUSED_PAD src0_sel:BYTE_2
	v_fmac_f32_e32 v12, v29, v39
	v_fmac_f32_e32 v27, v30, v39
	;; [unrolled: 1-line block ×4, first 2 shown]
	v_cvt_f32_i32_sdwa v35, sext(v22) dst_sel:DWORD dst_unused:UNUSED_PAD src0_sel:BYTE_0
	v_cvt_f32_i32_sdwa v36, sext(v22) dst_sel:DWORD dst_unused:UNUSED_PAD src0_sel:BYTE_1
	v_cvt_f32_i32_sdwa v37, sext(v22) dst_sel:DWORD dst_unused:UNUSED_PAD src0_sel:BYTE_2
	v_cvt_f32_i32_sdwa v22, sext(v22) dst_sel:DWORD dst_unused:UNUSED_PAD src0_sel:BYTE_3
	v_cvt_f32_i32_sdwa v11, sext(v11) dst_sel:DWORD dst_unused:UNUSED_PAD src0_sel:BYTE_3
	v_fmac_f32_e32 v12, v32, v19
	v_fmac_f32_e32 v27, v33, v19
	;; [unrolled: 1-line block ×8, first 2 shown]
	s_andn2_b32 exec_lo, exec_lo, s3
	s_cbranch_execnz .LBB88_31
; %bb.32:
	s_or_b32 exec_lo, exec_lo, s3
.LBB88_33:
	s_or_b32 exec_lo, exec_lo, s0
	s_mov_b32 s3, exec_lo
	v_cmpx_lt_u64_e32 0x5f, v[13:14]
	s_cbranch_execz .LBB88_37
; %bb.34:
	v_lshlrev_b64 v[13:14], 3, v[5:6]
	s_mov_b32 s8, 0
	v_add_co_u32 v11, vcc_lo, s12, v13
	v_add_co_ci_u32_e64 v14, null, s13, v14, vcc_lo
	v_add_co_u32 v13, vcc_lo, 0x200, v11
	v_add_co_ci_u32_e64 v14, null, 0, v14, vcc_lo
.LBB88_35:                              ; =>This Inner Loop Header: Depth=1
	s_clause 0x3
	global_load_dwordx2 v[23:24], v[13:14], off offset:-512
	global_load_dwordx2 v[36:37], v[13:14], off offset:-256
	global_load_dwordx2 v[38:39], v[13:14], off
	global_load_dwordx2 v[40:41], v[13:14], off offset:256
	s_clause 0x3
	global_load_dwordx4 v[15:18], v[9:10], off
	global_load_dwordx4 v[19:22], v[9:10], off offset:512
	global_load_dwordx4 v[28:31], v[9:10], off offset:1024
	;; [unrolled: 1-line block ×3, first 2 shown]
	s_waitcnt vmcnt(7)
	v_sub_co_u32 v23, vcc_lo, v23, v1
	v_sub_co_ci_u32_e64 v24, null, v24, v2, vcc_lo
	s_waitcnt vmcnt(6)
	v_sub_co_u32 v36, vcc_lo, v36, v1
	v_sub_co_ci_u32_e64 v37, null, v37, v2, vcc_lo
	v_lshlrev_b64 v[23:24], 2, v[23:24]
	s_waitcnt vmcnt(3)
	v_cvt_f32_i32_sdwa v43, sext(v17) dst_sel:DWORD dst_unused:UNUSED_PAD src0_sel:BYTE_0
	v_cvt_f32_i32_sdwa v44, sext(v17) dst_sel:DWORD dst_unused:UNUSED_PAD src0_sel:BYTE_1
	v_cvt_f32_i32_sdwa v45, sext(v17) dst_sel:DWORD dst_unused:UNUSED_PAD src0_sel:BYTE_2
	v_cvt_f32_i32_sdwa v17, sext(v17) dst_sel:DWORD dst_unused:UNUSED_PAD src0_sel:BYTE_3
	v_cvt_f32_i32_sdwa v46, sext(v18) dst_sel:DWORD dst_unused:UNUSED_PAD src0_sel:BYTE_0
	v_add_co_u32 v23, vcc_lo, s6, v23
	v_add_co_ci_u32_e64 v24, null, s7, v24, vcc_lo
	v_sub_co_u32 v38, vcc_lo, v38, v1
	v_sub_co_ci_u32_e64 v39, null, v39, v2, vcc_lo
	global_load_dword v11, v[23:24], off
	v_lshlrev_b64 v[23:24], 2, v[36:37]
	v_cvt_f32_i32_sdwa v47, sext(v18) dst_sel:DWORD dst_unused:UNUSED_PAD src0_sel:BYTE_1
	v_lshlrev_b64 v[36:37], 2, v[38:39]
	v_cvt_f32_i32_sdwa v38, sext(v15) dst_sel:DWORD dst_unused:UNUSED_PAD src0_sel:BYTE_2
	v_cvt_f32_i32_sdwa v39, sext(v16) dst_sel:DWORD dst_unused:UNUSED_PAD src0_sel:BYTE_0
	v_cvt_f32_i32_sdwa v48, sext(v18) dst_sel:DWORD dst_unused:UNUSED_PAD src0_sel:BYTE_2
	v_add_co_u32 v23, vcc_lo, s6, v23
	v_add_co_ci_u32_e64 v24, null, s7, v24, vcc_lo
	v_add_co_u32 v36, s0, s6, v36
	v_add_co_ci_u32_e64 v37, null, s7, v37, s0
	global_load_dword v42, v[23:24], off
	v_cvt_f32_i32_sdwa v18, sext(v18) dst_sel:DWORD dst_unused:UNUSED_PAD src0_sel:BYTE_3
	s_waitcnt vmcnt(4)
	v_cvt_f32_i32_sdwa v49, sext(v19) dst_sel:DWORD dst_unused:UNUSED_PAD src0_sel:BYTE_0
	global_load_dword v36, v[36:37], off
	v_sub_co_u32 v23, vcc_lo, v40, v1
	v_sub_co_ci_u32_e64 v24, null, v41, v2, vcc_lo
	v_cvt_f32_i32_sdwa v37, sext(v15) dst_sel:DWORD dst_unused:UNUSED_PAD src0_sel:BYTE_1
	v_cvt_f32_i32_sdwa v40, sext(v16) dst_sel:DWORD dst_unused:UNUSED_PAD src0_sel:BYTE_1
	v_cvt_f32_i32_sdwa v41, sext(v16) dst_sel:DWORD dst_unused:UNUSED_PAD src0_sel:BYTE_2
	v_lshlrev_b64 v[23:24], 2, v[23:24]
	v_cvt_f32_i32_sdwa v16, sext(v16) dst_sel:DWORD dst_unused:UNUSED_PAD src0_sel:BYTE_3
	v_cvt_f32_i32_sdwa v50, sext(v19) dst_sel:DWORD dst_unused:UNUSED_PAD src0_sel:BYTE_1
	v_cvt_f32_i32_sdwa v51, sext(v19) dst_sel:DWORD dst_unused:UNUSED_PAD src0_sel:BYTE_2
	v_cvt_f32_i32_sdwa v19, sext(v19) dst_sel:DWORD dst_unused:UNUSED_PAD src0_sel:BYTE_3
	v_cvt_f32_i32_sdwa v52, sext(v20) dst_sel:DWORD dst_unused:UNUSED_PAD src0_sel:BYTE_0
	v_add_co_u32 v23, vcc_lo, s6, v23
	v_add_co_ci_u32_e64 v24, null, s7, v24, vcc_lo
	v_cvt_f32_i32_sdwa v53, sext(v20) dst_sel:DWORD dst_unused:UNUSED_PAD src0_sel:BYTE_1
	v_cvt_f32_i32_sdwa v54, sext(v20) dst_sel:DWORD dst_unused:UNUSED_PAD src0_sel:BYTE_2
	v_cvt_f32_i32_sdwa v20, sext(v20) dst_sel:DWORD dst_unused:UNUSED_PAD src0_sel:BYTE_3
	global_load_dword v23, v[23:24], off
	v_cvt_f32_i32_sdwa v24, sext(v15) dst_sel:DWORD dst_unused:UNUSED_PAD src0_sel:BYTE_0
	v_cvt_f32_i32_sdwa v15, sext(v15) dst_sel:DWORD dst_unused:UNUSED_PAD src0_sel:BYTE_3
	v_cvt_f32_i32_sdwa v55, sext(v21) dst_sel:DWORD dst_unused:UNUSED_PAD src0_sel:BYTE_0
	v_cvt_f32_i32_sdwa v56, sext(v21) dst_sel:DWORD dst_unused:UNUSED_PAD src0_sel:BYTE_1
	v_cvt_f32_i32_sdwa v57, sext(v21) dst_sel:DWORD dst_unused:UNUSED_PAD src0_sel:BYTE_2
	v_cvt_f32_i32_sdwa v21, sext(v21) dst_sel:DWORD dst_unused:UNUSED_PAD src0_sel:BYTE_3
	v_cvt_f32_i32_sdwa v58, sext(v22) dst_sel:DWORD dst_unused:UNUSED_PAD src0_sel:BYTE_0
	v_cvt_f32_i32_sdwa v59, sext(v22) dst_sel:DWORD dst_unused:UNUSED_PAD src0_sel:BYTE_1
	v_cvt_f32_i32_sdwa v60, sext(v22) dst_sel:DWORD dst_unused:UNUSED_PAD src0_sel:BYTE_2
	v_cvt_f32_i32_sdwa v22, sext(v22) dst_sel:DWORD dst_unused:UNUSED_PAD src0_sel:BYTE_3
	s_waitcnt vmcnt(5)
	v_cvt_f32_i32_sdwa v61, sext(v28) dst_sel:DWORD dst_unused:UNUSED_PAD src0_sel:BYTE_0
	v_cvt_f32_i32_sdwa v62, sext(v28) dst_sel:DWORD dst_unused:UNUSED_PAD src0_sel:BYTE_1
	v_cvt_f32_i32_sdwa v63, sext(v28) dst_sel:DWORD dst_unused:UNUSED_PAD src0_sel:BYTE_2
	v_cvt_f32_i32_sdwa v28, sext(v28) dst_sel:DWORD dst_unused:UNUSED_PAD src0_sel:BYTE_3
	v_cvt_f32_i32_sdwa v64, sext(v29) dst_sel:DWORD dst_unused:UNUSED_PAD src0_sel:BYTE_0
	v_cvt_f32_i32_sdwa v65, sext(v29) dst_sel:DWORD dst_unused:UNUSED_PAD src0_sel:BYTE_1
	v_cvt_f32_i32_sdwa v66, sext(v29) dst_sel:DWORD dst_unused:UNUSED_PAD src0_sel:BYTE_2
	v_cvt_f32_i32_sdwa v29, sext(v29) dst_sel:DWORD dst_unused:UNUSED_PAD src0_sel:BYTE_3
	;; [unrolled: 4-line block ×4, first 2 shown]
	s_waitcnt vmcnt(4)
	v_cvt_f32_i32_sdwa v73, sext(v32) dst_sel:DWORD dst_unused:UNUSED_PAD src0_sel:BYTE_0
	v_cvt_f32_i32_sdwa v74, sext(v32) dst_sel:DWORD dst_unused:UNUSED_PAD src0_sel:BYTE_1
	v_cvt_f32_i32_sdwa v75, sext(v32) dst_sel:DWORD dst_unused:UNUSED_PAD src0_sel:BYTE_2
	v_cvt_f32_i32_sdwa v32, sext(v32) dst_sel:DWORD dst_unused:UNUSED_PAD src0_sel:BYTE_3
	v_cvt_f32_i32_sdwa v76, sext(v33) dst_sel:DWORD dst_unused:UNUSED_PAD src0_sel:BYTE_0
	v_cvt_f32_i32_sdwa v77, sext(v33) dst_sel:DWORD dst_unused:UNUSED_PAD src0_sel:BYTE_1
	v_cvt_f32_i32_sdwa v78, sext(v33) dst_sel:DWORD dst_unused:UNUSED_PAD src0_sel:BYTE_2
	v_cvt_f32_i32_sdwa v33, sext(v33) dst_sel:DWORD dst_unused:UNUSED_PAD src0_sel:BYTE_3
	v_add_co_u32 v9, vcc_lo, 0x800, v9
	v_add_co_ci_u32_e64 v10, null, 0, v10, vcc_lo
	v_add_co_u32 v5, vcc_lo, 0x80, v5
	v_cvt_f32_i32_sdwa v79, sext(v34) dst_sel:DWORD dst_unused:UNUSED_PAD src0_sel:BYTE_0
	v_cvt_f32_i32_sdwa v80, sext(v34) dst_sel:DWORD dst_unused:UNUSED_PAD src0_sel:BYTE_1
	v_cvt_f32_i32_sdwa v81, sext(v34) dst_sel:DWORD dst_unused:UNUSED_PAD src0_sel:BYTE_2
	v_cvt_f32_i32_sdwa v34, sext(v34) dst_sel:DWORD dst_unused:UNUSED_PAD src0_sel:BYTE_3
	v_add_co_ci_u32_e64 v6, null, 0, v6, vcc_lo
	v_add_co_u32 v13, vcc_lo, 0x400, v13
	v_cvt_f32_i32_sdwa v82, sext(v35) dst_sel:DWORD dst_unused:UNUSED_PAD src0_sel:BYTE_0
	v_cvt_f32_i32_sdwa v83, sext(v35) dst_sel:DWORD dst_unused:UNUSED_PAD src0_sel:BYTE_1
	v_cvt_f32_i32_sdwa v84, sext(v35) dst_sel:DWORD dst_unused:UNUSED_PAD src0_sel:BYTE_2
	v_cvt_f32_i32_sdwa v35, sext(v35) dst_sel:DWORD dst_unused:UNUSED_PAD src0_sel:BYTE_3
	v_add_co_ci_u32_e64 v14, null, 0, v14, vcc_lo
	v_cmp_ge_i64_e32 vcc_lo, v[5:6], v[7:8]
	s_or_b32 s8, vcc_lo, s8
	s_waitcnt vmcnt(3)
	v_cvt_f32_i32_sdwa v85, sext(v11) dst_sel:DWORD dst_unused:UNUSED_PAD src0_sel:BYTE_0
	v_cvt_f32_i32_sdwa v86, sext(v11) dst_sel:DWORD dst_unused:UNUSED_PAD src0_sel:BYTE_1
	v_fmac_f32_e32 v12, v24, v85
	v_fmac_f32_e32 v27, v37, v85
	v_fmac_f32_e32 v26, v38, v85
	v_fmac_f32_e32 v25, v15, v85
	v_cvt_f32_i32_sdwa v15, sext(v11) dst_sel:DWORD dst_unused:UNUSED_PAD src0_sel:BYTE_2
	v_fmac_f32_e32 v12, v39, v86
	v_fmac_f32_e32 v27, v40, v86
	v_fmac_f32_e32 v26, v41, v86
	v_fmac_f32_e32 v25, v16, v86
	v_cvt_f32_i32_sdwa v11, sext(v11) dst_sel:DWORD dst_unused:UNUSED_PAD src0_sel:BYTE_3
	v_fmac_f32_e32 v12, v43, v15
	v_fmac_f32_e32 v27, v44, v15
	v_fmac_f32_e32 v26, v45, v15
	v_fmac_f32_e32 v25, v17, v15
	s_waitcnt vmcnt(2)
	v_cvt_f32_i32_sdwa v15, sext(v42) dst_sel:DWORD dst_unused:UNUSED_PAD src0_sel:BYTE_0
	v_fmac_f32_e32 v12, v46, v11
	v_fmac_f32_e32 v27, v47, v11
	v_fmac_f32_e32 v26, v48, v11
	v_fmac_f32_e32 v25, v18, v11
	v_cvt_f32_i32_sdwa v11, sext(v42) dst_sel:DWORD dst_unused:UNUSED_PAD src0_sel:BYTE_1
	v_fmac_f32_e32 v12, v49, v15
	v_fmac_f32_e32 v27, v50, v15
	v_fmac_f32_e32 v26, v51, v15
	v_fmac_f32_e32 v25, v19, v15
	v_cvt_f32_i32_sdwa v15, sext(v42) dst_sel:DWORD dst_unused:UNUSED_PAD src0_sel:BYTE_2
	v_fmac_f32_e32 v12, v52, v11
	v_fmac_f32_e32 v27, v53, v11
	v_fmac_f32_e32 v26, v54, v11
	v_fmac_f32_e32 v25, v20, v11
	v_cvt_f32_i32_sdwa v11, sext(v42) dst_sel:DWORD dst_unused:UNUSED_PAD src0_sel:BYTE_3
	v_fmac_f32_e32 v12, v55, v15
	v_fmac_f32_e32 v27, v56, v15
	v_fmac_f32_e32 v26, v57, v15
	v_fmac_f32_e32 v25, v21, v15
	s_waitcnt vmcnt(1)
	v_cvt_f32_i32_sdwa v15, sext(v36) dst_sel:DWORD dst_unused:UNUSED_PAD src0_sel:BYTE_0
	v_fmac_f32_e32 v12, v58, v11
	v_fmac_f32_e32 v27, v59, v11
	v_fmac_f32_e32 v26, v60, v11
	v_fmac_f32_e32 v25, v22, v11
	;; [unrolled: 21-line block ×3, first 2 shown]
	v_cvt_f32_i32_sdwa v11, sext(v23) dst_sel:DWORD dst_unused:UNUSED_PAD src0_sel:BYTE_1
	v_fmac_f32_e32 v12, v73, v15
	v_fmac_f32_e32 v27, v74, v15
	;; [unrolled: 1-line block ×4, first 2 shown]
	v_cvt_f32_i32_sdwa v15, sext(v23) dst_sel:DWORD dst_unused:UNUSED_PAD src0_sel:BYTE_2
	v_fmac_f32_e32 v12, v76, v11
	v_fmac_f32_e32 v27, v77, v11
	;; [unrolled: 1-line block ×4, first 2 shown]
	v_cvt_f32_i32_sdwa v11, sext(v23) dst_sel:DWORD dst_unused:UNUSED_PAD src0_sel:BYTE_3
	v_fmac_f32_e32 v12, v79, v15
	v_fmac_f32_e32 v27, v80, v15
	;; [unrolled: 1-line block ×8, first 2 shown]
	s_andn2_b32 exec_lo, exec_lo, s8
	s_cbranch_execnz .LBB88_35
; %bb.36:
	s_or_b32 exec_lo, exec_lo, s8
.LBB88_37:
	s_or_b32 exec_lo, exec_lo, s3
.LBB88_38:
	s_or_b32 exec_lo, exec_lo, s1
.LBB88_39:
	v_mbcnt_lo_u32_b32 v1, -1, 0
	s_mov_b32 s3, -1
	v_xor_b32_e32 v2, 16, v1
	v_xor_b32_e32 v8, 8, v1
	v_cmp_gt_i32_e32 vcc_lo, 32, v2
	v_cndmask_b32_e32 v2, v1, v2, vcc_lo
	v_cmp_gt_i32_e32 vcc_lo, 32, v8
	v_lshlrev_b32_e32 v2, 2, v2
	v_cndmask_b32_e32 v8, v1, v8, vcc_lo
	ds_bpermute_b32 v5, v2, v12
	ds_bpermute_b32 v6, v2, v27
	;; [unrolled: 1-line block ×4, first 2 shown]
	v_lshlrev_b32_e32 v8, 2, v8
	s_waitcnt lgkmcnt(3)
	v_add_f32_e32 v5, v12, v5
	s_waitcnt lgkmcnt(2)
	v_add_f32_e32 v6, v27, v6
	;; [unrolled: 2-line block ×4, first 2 shown]
	v_xor_b32_e32 v12, 4, v1
	ds_bpermute_b32 v9, v8, v5
	ds_bpermute_b32 v10, v8, v6
	;; [unrolled: 1-line block ×4, first 2 shown]
	v_cmp_gt_i32_e32 vcc_lo, 32, v12
	v_cndmask_b32_e32 v12, v1, v12, vcc_lo
	v_lshlrev_b32_e32 v12, 2, v12
	s_waitcnt lgkmcnt(3)
	v_add_f32_e32 v5, v5, v9
	s_waitcnt lgkmcnt(2)
	v_add_f32_e32 v6, v6, v10
	;; [unrolled: 2-line block ×4, first 2 shown]
	ds_bpermute_b32 v8, v12, v5
	ds_bpermute_b32 v9, v12, v6
	;; [unrolled: 1-line block ×4, first 2 shown]
	v_xor_b32_e32 v12, 2, v1
	v_cmp_gt_i32_e32 vcc_lo, 32, v12
	v_cndmask_b32_e32 v12, v1, v12, vcc_lo
	v_lshlrev_b32_e32 v12, 2, v12
	s_waitcnt lgkmcnt(3)
	v_add_f32_e32 v5, v5, v8
	s_waitcnt lgkmcnt(2)
	v_add_f32_e32 v6, v6, v9
	;; [unrolled: 2-line block ×4, first 2 shown]
	ds_bpermute_b32 v2, v12, v5
	ds_bpermute_b32 v9, v12, v6
	;; [unrolled: 1-line block ×4, first 2 shown]
	v_xor_b32_e32 v12, 1, v1
	v_cmp_gt_i32_e32 vcc_lo, 32, v12
	v_cndmask_b32_e32 v1, v1, v12, vcc_lo
	v_cmp_eq_u32_e32 vcc_lo, 31, v0
	v_lshlrev_b32_e32 v12, 2, v1
	s_waitcnt lgkmcnt(3)
	v_add_f32_e32 v1, v5, v2
	s_waitcnt lgkmcnt(2)
	v_add_f32_e32 v2, v6, v9
	s_waitcnt lgkmcnt(1)
	v_add_f32_e32 v5, v7, v10
	s_waitcnt lgkmcnt(0)
	v_add_f32_e32 v6, v8, v11
	ds_bpermute_b32 v7, v12, v1
	ds_bpermute_b32 v8, v12, v2
	;; [unrolled: 1-line block ×4, first 2 shown]
	s_and_b32 exec_lo, exec_lo, vcc_lo
	s_cbranch_execz .LBB88_10
; %bb.40:
	s_load_dwordx2 s[0:1], s[4:5], 0x58
	s_waitcnt lgkmcnt(0)
	v_add_f32_e32 v0, v1, v7
	v_add_f32_e32 v1, v2, v8
	;; [unrolled: 1-line block ×4, first 2 shown]
	v_cmp_eq_f32_e64 s4, s2, 0
	v_lshlrev_b64 v[4:5], 4, v[3:4]
	v_mul_f32_e32 v0, s16, v0
	v_mul_f32_e32 v1, s16, v1
	v_mul_f32_e32 v2, s16, v2
	v_mul_f32_e32 v3, s16, v6
	s_and_b32 vcc_lo, exec_lo, s4
	s_cbranch_vccz .LBB88_42
; %bb.41:
	v_add_co_u32 v6, vcc_lo, s0, v4
	v_add_co_ci_u32_e64 v7, null, s1, v5, vcc_lo
	s_mov_b32 s3, 0
	global_store_dwordx4 v[6:7], v[0:3], off
.LBB88_42:
	s_andn2_b32 vcc_lo, exec_lo, s3
	s_cbranch_vccnz .LBB88_10
; %bb.43:
	v_add_co_u32 v8, vcc_lo, s0, v4
	v_add_co_ci_u32_e64 v9, null, s1, v5, vcc_lo
	global_load_dwordx4 v[4:7], v[8:9], off
	s_waitcnt vmcnt(0)
	v_fmac_f32_e32 v0, s2, v4
	v_fmac_f32_e32 v1, s2, v5
	;; [unrolled: 1-line block ×4, first 2 shown]
	global_store_dwordx4 v[8:9], v[0:3], off
	s_endpgm
	.section	.rodata,"a",@progbits
	.p2align	6, 0x0
	.amdhsa_kernel _ZN9rocsparseL18bsrxmvn_4x4_kernelILj128ELj32EfllaafEEvT3_20rocsparse_direction_NS_24const_host_device_scalarIT1_EES1_PKS1_PKT2_SA_S7_PKT4_PKT5_S5_PT6_21rocsparse_index_base_b
		.amdhsa_group_segment_fixed_size 0
		.amdhsa_private_segment_fixed_size 0
		.amdhsa_kernarg_size 104
		.amdhsa_user_sgpr_count 6
		.amdhsa_user_sgpr_private_segment_buffer 1
		.amdhsa_user_sgpr_dispatch_ptr 0
		.amdhsa_user_sgpr_queue_ptr 0
		.amdhsa_user_sgpr_kernarg_segment_ptr 1
		.amdhsa_user_sgpr_dispatch_id 0
		.amdhsa_user_sgpr_flat_scratch_init 0
		.amdhsa_user_sgpr_private_segment_size 0
		.amdhsa_wavefront_size32 1
		.amdhsa_uses_dynamic_stack 0
		.amdhsa_system_sgpr_private_segment_wavefront_offset 0
		.amdhsa_system_sgpr_workgroup_id_x 1
		.amdhsa_system_sgpr_workgroup_id_y 0
		.amdhsa_system_sgpr_workgroup_id_z 0
		.amdhsa_system_sgpr_workgroup_info 0
		.amdhsa_system_vgpr_workitem_id 0
		.amdhsa_next_free_vgpr 93
		.amdhsa_next_free_sgpr 20
		.amdhsa_reserve_vcc 1
		.amdhsa_reserve_flat_scratch 0
		.amdhsa_float_round_mode_32 0
		.amdhsa_float_round_mode_16_64 0
		.amdhsa_float_denorm_mode_32 3
		.amdhsa_float_denorm_mode_16_64 3
		.amdhsa_dx10_clamp 1
		.amdhsa_ieee_mode 1
		.amdhsa_fp16_overflow 0
		.amdhsa_workgroup_processor_mode 1
		.amdhsa_memory_ordered 1
		.amdhsa_forward_progress 1
		.amdhsa_shared_vgpr_count 0
		.amdhsa_exception_fp_ieee_invalid_op 0
		.amdhsa_exception_fp_denorm_src 0
		.amdhsa_exception_fp_ieee_div_zero 0
		.amdhsa_exception_fp_ieee_overflow 0
		.amdhsa_exception_fp_ieee_underflow 0
		.amdhsa_exception_fp_ieee_inexact 0
		.amdhsa_exception_int_div_zero 0
	.end_amdhsa_kernel
	.section	.text._ZN9rocsparseL18bsrxmvn_4x4_kernelILj128ELj32EfllaafEEvT3_20rocsparse_direction_NS_24const_host_device_scalarIT1_EES1_PKS1_PKT2_SA_S7_PKT4_PKT5_S5_PT6_21rocsparse_index_base_b,"axG",@progbits,_ZN9rocsparseL18bsrxmvn_4x4_kernelILj128ELj32EfllaafEEvT3_20rocsparse_direction_NS_24const_host_device_scalarIT1_EES1_PKS1_PKT2_SA_S7_PKT4_PKT5_S5_PT6_21rocsparse_index_base_b,comdat
.Lfunc_end88:
	.size	_ZN9rocsparseL18bsrxmvn_4x4_kernelILj128ELj32EfllaafEEvT3_20rocsparse_direction_NS_24const_host_device_scalarIT1_EES1_PKS1_PKT2_SA_S7_PKT4_PKT5_S5_PT6_21rocsparse_index_base_b, .Lfunc_end88-_ZN9rocsparseL18bsrxmvn_4x4_kernelILj128ELj32EfllaafEEvT3_20rocsparse_direction_NS_24const_host_device_scalarIT1_EES1_PKS1_PKT2_SA_S7_PKT4_PKT5_S5_PT6_21rocsparse_index_base_b
                                        ; -- End function
	.set _ZN9rocsparseL18bsrxmvn_4x4_kernelILj128ELj32EfllaafEEvT3_20rocsparse_direction_NS_24const_host_device_scalarIT1_EES1_PKS1_PKT2_SA_S7_PKT4_PKT5_S5_PT6_21rocsparse_index_base_b.num_vgpr, 93
	.set _ZN9rocsparseL18bsrxmvn_4x4_kernelILj128ELj32EfllaafEEvT3_20rocsparse_direction_NS_24const_host_device_scalarIT1_EES1_PKS1_PKT2_SA_S7_PKT4_PKT5_S5_PT6_21rocsparse_index_base_b.num_agpr, 0
	.set _ZN9rocsparseL18bsrxmvn_4x4_kernelILj128ELj32EfllaafEEvT3_20rocsparse_direction_NS_24const_host_device_scalarIT1_EES1_PKS1_PKT2_SA_S7_PKT4_PKT5_S5_PT6_21rocsparse_index_base_b.numbered_sgpr, 20
	.set _ZN9rocsparseL18bsrxmvn_4x4_kernelILj128ELj32EfllaafEEvT3_20rocsparse_direction_NS_24const_host_device_scalarIT1_EES1_PKS1_PKT2_SA_S7_PKT4_PKT5_S5_PT6_21rocsparse_index_base_b.num_named_barrier, 0
	.set _ZN9rocsparseL18bsrxmvn_4x4_kernelILj128ELj32EfllaafEEvT3_20rocsparse_direction_NS_24const_host_device_scalarIT1_EES1_PKS1_PKT2_SA_S7_PKT4_PKT5_S5_PT6_21rocsparse_index_base_b.private_seg_size, 0
	.set _ZN9rocsparseL18bsrxmvn_4x4_kernelILj128ELj32EfllaafEEvT3_20rocsparse_direction_NS_24const_host_device_scalarIT1_EES1_PKS1_PKT2_SA_S7_PKT4_PKT5_S5_PT6_21rocsparse_index_base_b.uses_vcc, 1
	.set _ZN9rocsparseL18bsrxmvn_4x4_kernelILj128ELj32EfllaafEEvT3_20rocsparse_direction_NS_24const_host_device_scalarIT1_EES1_PKS1_PKT2_SA_S7_PKT4_PKT5_S5_PT6_21rocsparse_index_base_b.uses_flat_scratch, 0
	.set _ZN9rocsparseL18bsrxmvn_4x4_kernelILj128ELj32EfllaafEEvT3_20rocsparse_direction_NS_24const_host_device_scalarIT1_EES1_PKS1_PKT2_SA_S7_PKT4_PKT5_S5_PT6_21rocsparse_index_base_b.has_dyn_sized_stack, 0
	.set _ZN9rocsparseL18bsrxmvn_4x4_kernelILj128ELj32EfllaafEEvT3_20rocsparse_direction_NS_24const_host_device_scalarIT1_EES1_PKS1_PKT2_SA_S7_PKT4_PKT5_S5_PT6_21rocsparse_index_base_b.has_recursion, 0
	.set _ZN9rocsparseL18bsrxmvn_4x4_kernelILj128ELj32EfllaafEEvT3_20rocsparse_direction_NS_24const_host_device_scalarIT1_EES1_PKS1_PKT2_SA_S7_PKT4_PKT5_S5_PT6_21rocsparse_index_base_b.has_indirect_call, 0
	.section	.AMDGPU.csdata,"",@progbits
; Kernel info:
; codeLenInByte = 5112
; TotalNumSgprs: 22
; NumVgprs: 93
; ScratchSize: 0
; MemoryBound: 0
; FloatMode: 240
; IeeeMode: 1
; LDSByteSize: 0 bytes/workgroup (compile time only)
; SGPRBlocks: 0
; VGPRBlocks: 11
; NumSGPRsForWavesPerEU: 22
; NumVGPRsForWavesPerEU: 93
; Occupancy: 10
; WaveLimiterHint : 1
; COMPUTE_PGM_RSRC2:SCRATCH_EN: 0
; COMPUTE_PGM_RSRC2:USER_SGPR: 6
; COMPUTE_PGM_RSRC2:TRAP_HANDLER: 0
; COMPUTE_PGM_RSRC2:TGID_X_EN: 1
; COMPUTE_PGM_RSRC2:TGID_Y_EN: 0
; COMPUTE_PGM_RSRC2:TGID_Z_EN: 0
; COMPUTE_PGM_RSRC2:TIDIG_COMP_CNT: 0
	.section	.text._ZN9rocsparseL18bsrxmvn_4x4_kernelILj128ELj64EfllaafEEvT3_20rocsparse_direction_NS_24const_host_device_scalarIT1_EES1_PKS1_PKT2_SA_S7_PKT4_PKT5_S5_PT6_21rocsparse_index_base_b,"axG",@progbits,_ZN9rocsparseL18bsrxmvn_4x4_kernelILj128ELj64EfllaafEEvT3_20rocsparse_direction_NS_24const_host_device_scalarIT1_EES1_PKS1_PKT2_SA_S7_PKT4_PKT5_S5_PT6_21rocsparse_index_base_b,comdat
	.globl	_ZN9rocsparseL18bsrxmvn_4x4_kernelILj128ELj64EfllaafEEvT3_20rocsparse_direction_NS_24const_host_device_scalarIT1_EES1_PKS1_PKT2_SA_S7_PKT4_PKT5_S5_PT6_21rocsparse_index_base_b ; -- Begin function _ZN9rocsparseL18bsrxmvn_4x4_kernelILj128ELj64EfllaafEEvT3_20rocsparse_direction_NS_24const_host_device_scalarIT1_EES1_PKS1_PKT2_SA_S7_PKT4_PKT5_S5_PT6_21rocsparse_index_base_b
	.p2align	8
	.type	_ZN9rocsparseL18bsrxmvn_4x4_kernelILj128ELj64EfllaafEEvT3_20rocsparse_direction_NS_24const_host_device_scalarIT1_EES1_PKS1_PKT2_SA_S7_PKT4_PKT5_S5_PT6_21rocsparse_index_base_b,@function
_ZN9rocsparseL18bsrxmvn_4x4_kernelILj128ELj64EfllaafEEvT3_20rocsparse_direction_NS_24const_host_device_scalarIT1_EES1_PKS1_PKT2_SA_S7_PKT4_PKT5_S5_PT6_21rocsparse_index_base_b: ; @_ZN9rocsparseL18bsrxmvn_4x4_kernelILj128ELj64EfllaafEEvT3_20rocsparse_direction_NS_24const_host_device_scalarIT1_EES1_PKS1_PKT2_SA_S7_PKT4_PKT5_S5_PT6_21rocsparse_index_base_b
; %bb.0:
	s_clause 0x2
	s_load_dwordx2 s[0:1], s[4:5], 0x60
	s_load_dwordx4 s[16:19], s[4:5], 0x10
	s_load_dwordx2 s[2:3], s[4:5], 0x50
	s_waitcnt lgkmcnt(0)
	s_bitcmp1_b32 s1, 0
	s_cselect_b32 s1, -1, 0
	s_and_b32 vcc_lo, exec_lo, s1
	s_xor_b32 s1, s1, -1
	s_cbranch_vccnz .LBB89_2
; %bb.1:
	s_load_dword s16, s[16:17], 0x0
.LBB89_2:
	s_andn2_b32 vcc_lo, exec_lo, s1
	s_cbranch_vccnz .LBB89_4
; %bb.3:
	s_load_dword s2, s[2:3], 0x0
.LBB89_4:
	s_waitcnt lgkmcnt(0)
	v_cmp_neq_f32_e64 s1, s16, 0
	v_cmp_neq_f32_e64 s3, s2, 1.0
	s_or_b32 s1, s1, s3
	s_mov_b32 s3, 0
	s_andn2_b32 vcc_lo, exec_lo, s1
	s_cbranch_vccnz .LBB89_10
; %bb.5:
	s_load_dwordx2 s[8:9], s[4:5], 0x20
	v_lshrrev_b32_e32 v1, 6, v0
	v_mov_b32_e32 v6, 0
	v_lshl_or_b32 v5, s6, 1, v1
	s_waitcnt lgkmcnt(0)
	s_cmp_lg_u64 s[8:9], 0
	s_cbranch_scc0 .LBB89_11
; %bb.6:
	s_mov_b32 s6, 0
                                        ; implicit-def: $vgpr3_vgpr4
                                        ; implicit-def: $vgpr1_vgpr2
	s_mov_b32 s1, exec_lo
	v_cmpx_gt_i64_e64 s[18:19], v[5:6]
	s_xor_b32 s7, exec_lo, s1
	s_cbranch_execz .LBB89_8
; %bb.7:
	v_lshlrev_b64 v[1:2], 3, v[5:6]
	s_mov_b32 s1, 0
	s_mov_b32 s3, exec_lo
	v_add_co_u32 v1, vcc_lo, s8, v1
	v_add_co_ci_u32_e64 v2, null, s9, v2, vcc_lo
	global_load_dwordx2 v[1:2], v[1:2], off
	s_waitcnt vmcnt(0)
	v_sub_co_u32 v3, vcc_lo, v1, s0
	v_subrev_co_ci_u32_e64 v4, null, 0, v2, vcc_lo
	v_mov_b32_e32 v2, s1
	v_mov_b32_e32 v1, s0
.LBB89_8:
	s_or_b32 exec_lo, exec_lo, s7
	s_and_b32 vcc_lo, exec_lo, s6
	s_cbranch_vccnz .LBB89_12
.LBB89_9:
	s_and_saveexec_b32 s0, s3
	s_cbranch_execnz .LBB89_15
.LBB89_10:
	s_endpgm
.LBB89_11:
                                        ; implicit-def: $vgpr3_vgpr4
                                        ; implicit-def: $vgpr1_vgpr2
	s_cbranch_execz .LBB89_9
.LBB89_12:
	s_load_dwordx2 s[6:7], s[4:5], 0x0
	s_waitcnt lgkmcnt(0)
	v_cmp_gt_i64_e32 vcc_lo, s[6:7], v[5:6]
	s_and_saveexec_b32 s6, vcc_lo
; %bb.13:
	s_mov_b32 s1, 0
	s_or_b32 s3, s3, exec_lo
; %bb.14:
	s_or_b32 exec_lo, exec_lo, s6
	v_mov_b32_e32 v2, s1
	v_mov_b32_e32 v3, v5
	;; [unrolled: 1-line block ×4, first 2 shown]
	s_and_saveexec_b32 s0, s3
	s_cbranch_execz .LBB89_10
.LBB89_15:
	s_load_dwordx8 s[8:15], s[4:5], 0x28
	v_lshlrev_b64 v[5:6], 3, v[3:4]
	v_and_b32_e32 v0, 63, v0
	s_clause 0x1
	s_load_dword s1, s[4:5], 0x8
	s_load_dwordx2 s[6:7], s[4:5], 0x48
	v_mov_b32_e32 v25, 0
	s_waitcnt lgkmcnt(0)
	v_add_co_u32 v7, vcc_lo, s8, v5
	v_add_co_ci_u32_e64 v8, null, s9, v6, vcc_lo
	v_add_co_u32 v5, vcc_lo, s10, v5
	v_add_co_ci_u32_e64 v6, null, s11, v6, vcc_lo
	v_add_co_u32 v9, vcc_lo, v7, 8
	global_load_dwordx2 v[13:14], v[7:8], off
	v_add_co_ci_u32_e64 v10, null, 0, v8, vcc_lo
	s_cmp_eq_u64 s[10:11], 0
	s_cselect_b32 vcc_lo, -1, 0
	s_cmp_eq_u32 s1, 1
	v_cndmask_b32_e32 v6, v6, v10, vcc_lo
	v_cndmask_b32_e32 v5, v5, v9, vcc_lo
	global_load_dwordx2 v[7:8], v[5:6], off
	s_waitcnt vmcnt(1)
	v_sub_co_u32 v5, vcc_lo, v13, v1
	v_sub_co_ci_u32_e64 v6, null, v14, v2, vcc_lo
	v_add_co_u32 v5, vcc_lo, v5, v0
	v_add_co_ci_u32_e64 v6, null, 0, v6, vcc_lo
	v_lshlrev_b64 v[9:10], 4, v[5:6]
	s_waitcnt vmcnt(0)
	v_sub_co_u32 v7, vcc_lo, v7, v1
	v_sub_co_ci_u32_e64 v8, null, v8, v2, vcc_lo
	v_add_co_u32 v9, vcc_lo, s14, v9
	v_cmp_lt_i64_e64 s0, v[5:6], v[7:8]
	v_add_co_ci_u32_e64 v10, null, s15, v10, vcc_lo
	s_cbranch_scc1 .LBB89_27
; %bb.16:
	v_mov_b32_e32 v26, 0
	v_mov_b32_e32 v27, 0
	;; [unrolled: 1-line block ×3, first 2 shown]
	s_and_saveexec_b32 s3, s0
	s_cbranch_execz .LBB89_26
; %bb.17:
	v_or_b32_e32 v11, 64, v0
	v_not_b32_e32 v16, v13
	v_sub_co_u32 v17, s1, v1, v0
	v_not_b32_e32 v15, v14
	v_sub_co_u32 v11, vcc_lo, v11, v1
	v_sub_co_ci_u32_e64 v12, null, 0, v2, vcc_lo
	v_subrev_co_ci_u32_e64 v18, null, 0, v2, s1
	v_add_co_u32 v11, vcc_lo, v11, v13
	v_add_co_ci_u32_e64 v12, null, v12, v14, vcc_lo
	s_mov_b32 s1, exec_lo
	v_cmp_gt_i64_e32 vcc_lo, v[11:12], v[7:8]
	v_cndmask_b32_e32 v20, v8, v12, vcc_lo
	v_cndmask_b32_e32 v11, v7, v11, vcc_lo
	v_add_co_u32 v12, vcc_lo, v17, v16
	v_add_co_ci_u32_e64 v15, null, v18, v15, vcc_lo
	v_mov_b32_e32 v18, v10
	v_add_co_u32 v19, vcc_lo, v12, v11
	v_mov_b32_e32 v12, 0
	v_add_co_ci_u32_e64 v20, null, v15, v20, vcc_lo
	v_mov_b32_e32 v16, v6
	v_and_b32_e32 v11, 0xc0, v19
	v_mov_b32_e32 v27, v12
	v_mov_b32_e32 v26, v12
	;; [unrolled: 1-line block ×5, first 2 shown]
	v_cmpx_ne_u64_e32 0xc0, v[11:12]
	s_cbranch_execz .LBB89_21
; %bb.18:
	v_lshrrev_b32_e32 v11, 6, v19
	v_mov_b32_e32 v18, v10
	v_mov_b32_e32 v16, v6
	;; [unrolled: 1-line block ×4, first 2 shown]
	v_add_nc_u32_e32 v21, 1, v11
	v_lshlrev_b64 v[11:12], 3, v[5:6]
	v_mov_b32_e32 v15, v5
	v_mov_b32_e32 v26, 0
	;; [unrolled: 1-line block ×3, first 2 shown]
	v_and_b32_e32 v23, 3, v21
	v_add_co_u32 v21, vcc_lo, s12, v11
	v_add_co_ci_u32_e64 v22, null, s13, v12, vcc_lo
	v_sub_co_u32 v23, s8, 0, v23
	v_sub_co_ci_u32_e64 v24, null, 0, 0, s8
	v_mov_b32_e32 v12, 0
	s_mov_b32 s8, 0
.LBB89_19:                              ; =>This Inner Loop Header: Depth=1
	global_load_dwordx2 v[28:29], v[21:22], off
	s_waitcnt vmcnt(0)
	v_sub_co_u32 v28, vcc_lo, v28, v1
	v_sub_co_ci_u32_e64 v29, null, v29, v2, vcc_lo
	v_lshlrev_b64 v[28:29], 2, v[28:29]
	v_add_co_u32 v32, vcc_lo, s6, v28
	v_add_co_ci_u32_e64 v33, null, s7, v29, vcc_lo
	global_load_dwordx4 v[28:31], v[17:18], off
	global_load_dword v11, v[32:33], off
	v_add_co_u32 v17, vcc_lo, 0x400, v17
	v_add_co_ci_u32_e64 v18, null, 0, v18, vcc_lo
	v_add_co_u32 v15, vcc_lo, v15, 64
	v_add_co_ci_u32_e64 v16, null, 0, v16, vcc_lo
	;; [unrolled: 2-line block ×4, first 2 shown]
	v_cmp_eq_u64_e32 vcc_lo, 0, v[23:24]
	s_or_b32 s8, vcc_lo, s8
	s_waitcnt vmcnt(1)
	v_cvt_f32_i32_sdwa v32, sext(v28) dst_sel:DWORD dst_unused:UNUSED_PAD src0_sel:BYTE_0
	v_cvt_f32_i32_sdwa v35, sext(v29) dst_sel:DWORD dst_unused:UNUSED_PAD src0_sel:BYTE_0
	v_cvt_f32_i32_sdwa v38, sext(v30) dst_sel:DWORD dst_unused:UNUSED_PAD src0_sel:BYTE_0
	v_cvt_f32_i32_sdwa v41, sext(v31) dst_sel:DWORD dst_unused:UNUSED_PAD src0_sel:BYTE_0
	s_waitcnt vmcnt(0)
	v_cvt_f32_i32_sdwa v44, sext(v11) dst_sel:DWORD dst_unused:UNUSED_PAD src0_sel:BYTE_0
	v_cvt_f32_i32_sdwa v33, sext(v28) dst_sel:DWORD dst_unused:UNUSED_PAD src0_sel:BYTE_1
	v_cvt_f32_i32_sdwa v36, sext(v29) dst_sel:DWORD dst_unused:UNUSED_PAD src0_sel:BYTE_1
	;; [unrolled: 1-line block ×5, first 2 shown]
	v_fmac_f32_e32 v12, v32, v44
	v_fmac_f32_e32 v27, v35, v44
	;; [unrolled: 1-line block ×4, first 2 shown]
	v_cvt_f32_i32_sdwa v34, sext(v28) dst_sel:DWORD dst_unused:UNUSED_PAD src0_sel:BYTE_2
	v_cvt_f32_i32_sdwa v37, sext(v29) dst_sel:DWORD dst_unused:UNUSED_PAD src0_sel:BYTE_2
	v_cvt_f32_i32_sdwa v40, sext(v30) dst_sel:DWORD dst_unused:UNUSED_PAD src0_sel:BYTE_2
	v_cvt_f32_i32_sdwa v43, sext(v31) dst_sel:DWORD dst_unused:UNUSED_PAD src0_sel:BYTE_2
	v_cvt_f32_i32_sdwa v32, sext(v11) dst_sel:DWORD dst_unused:UNUSED_PAD src0_sel:BYTE_2
	v_fmac_f32_e32 v12, v33, v45
	v_fmac_f32_e32 v27, v36, v45
	;; [unrolled: 1-line block ×4, first 2 shown]
	v_cvt_f32_i32_sdwa v28, sext(v28) dst_sel:DWORD dst_unused:UNUSED_PAD src0_sel:BYTE_3
	v_cvt_f32_i32_sdwa v29, sext(v29) dst_sel:DWORD dst_unused:UNUSED_PAD src0_sel:BYTE_3
	;; [unrolled: 1-line block ×5, first 2 shown]
	v_fmac_f32_e32 v12, v34, v32
	v_fmac_f32_e32 v27, v37, v32
	;; [unrolled: 1-line block ×8, first 2 shown]
	s_andn2_b32 exec_lo, exec_lo, s8
	s_cbranch_execnz .LBB89_19
; %bb.20:
	s_or_b32 exec_lo, exec_lo, s8
.LBB89_21:
	s_or_b32 exec_lo, exec_lo, s1
	s_mov_b32 s8, exec_lo
	v_cmpx_lt_u64_e32 0xbf, v[19:20]
	s_cbranch_execz .LBB89_25
; %bb.22:
	v_lshlrev_b64 v[19:20], 3, v[15:16]
	s_mov_b32 s9, 0
	v_add_co_u32 v11, vcc_lo, s12, v19
	v_add_co_ci_u32_e64 v20, null, s13, v20, vcc_lo
	v_add_co_u32 v19, vcc_lo, 0x400, v11
	v_add_co_ci_u32_e64 v20, null, 0, v20, vcc_lo
.LBB89_23:                              ; =>This Inner Loop Header: Depth=1
	s_clause 0x3
	global_load_dwordx2 v[40:41], v[19:20], off offset:-1024
	global_load_dwordx2 v[42:43], v[19:20], off offset:-512
	global_load_dwordx2 v[44:45], v[19:20], off
	global_load_dwordx2 v[46:47], v[19:20], off offset:512
	s_clause 0x1
	global_load_dwordx4 v[21:24], v[17:18], off
	global_load_dwordx4 v[28:31], v[17:18], off offset:1024
	v_add_co_u32 v36, vcc_lo, 0x800, v17
	v_add_co_ci_u32_e64 v37, null, 0, v18, vcc_lo
	s_clause 0x1
	global_load_dwordx4 v[32:35], v[36:37], off
	global_load_dwordx4 v[36:39], v[36:37], off offset:1024
	s_waitcnt vmcnt(7)
	v_sub_co_u32 v40, vcc_lo, v40, v1
	v_sub_co_ci_u32_e64 v41, null, v41, v2, vcc_lo
	s_waitcnt vmcnt(6)
	v_sub_co_u32 v42, vcc_lo, v42, v1
	v_sub_co_ci_u32_e64 v43, null, v43, v2, vcc_lo
	v_lshlrev_b64 v[40:41], 2, v[40:41]
	s_waitcnt vmcnt(3)
	v_cvt_f32_i32_sdwa v49, sext(v23) dst_sel:DWORD dst_unused:UNUSED_PAD src0_sel:BYTE_0
	v_cvt_f32_i32_sdwa v52, sext(v24) dst_sel:DWORD dst_unused:UNUSED_PAD src0_sel:BYTE_0
	v_cvt_f32_i32_sdwa v50, sext(v23) dst_sel:DWORD dst_unused:UNUSED_PAD src0_sel:BYTE_1
	v_cvt_f32_i32_sdwa v53, sext(v24) dst_sel:DWORD dst_unused:UNUSED_PAD src0_sel:BYTE_1
	v_cvt_f32_i32_sdwa v48, sext(v22) dst_sel:DWORD dst_unused:UNUSED_PAD src0_sel:BYTE_2
	v_add_co_u32 v40, vcc_lo, s6, v40
	v_add_co_ci_u32_e64 v41, null, s7, v41, vcc_lo
	v_sub_co_u32 v44, vcc_lo, v44, v1
	v_sub_co_ci_u32_e64 v45, null, v45, v2, vcc_lo
	global_load_dword v11, v[40:41], off
	v_lshlrev_b64 v[40:41], 2, v[42:43]
	v_cvt_f32_i32_sdwa v51, sext(v23) dst_sel:DWORD dst_unused:UNUSED_PAD src0_sel:BYTE_2
	v_cvt_f32_i32_sdwa v54, sext(v24) dst_sel:DWORD dst_unused:UNUSED_PAD src0_sel:BYTE_2
	v_cvt_f32_i32_sdwa v23, sext(v23) dst_sel:DWORD dst_unused:UNUSED_PAD src0_sel:BYTE_3
	v_cvt_f32_i32_sdwa v24, sext(v24) dst_sel:DWORD dst_unused:UNUSED_PAD src0_sel:BYTE_3
	s_waitcnt vmcnt(3)
	v_cvt_f32_i32_sdwa v55, sext(v28) dst_sel:DWORD dst_unused:UNUSED_PAD src0_sel:BYTE_0
	v_add_co_u32 v40, vcc_lo, s6, v40
	v_add_co_ci_u32_e64 v41, null, s7, v41, vcc_lo
	v_cvt_f32_i32_sdwa v58, sext(v29) dst_sel:DWORD dst_unused:UNUSED_PAD src0_sel:BYTE_0
	v_cvt_f32_i32_sdwa v61, sext(v30) dst_sel:DWORD dst_unused:UNUSED_PAD src0_sel:BYTE_0
	;; [unrolled: 1-line block ×3, first 2 shown]
	global_load_dword v43, v[40:41], off
	v_lshlrev_b64 v[41:42], 2, v[44:45]
	v_sub_co_u32 v40, vcc_lo, v46, v1
	v_cvt_f32_i32_sdwa v46, sext(v22) dst_sel:DWORD dst_unused:UNUSED_PAD src0_sel:BYTE_0
	v_cvt_f32_i32_sdwa v44, sext(v21) dst_sel:DWORD dst_unused:UNUSED_PAD src0_sel:BYTE_1
	v_cvt_f32_i32_sdwa v45, sext(v21) dst_sel:DWORD dst_unused:UNUSED_PAD src0_sel:BYTE_2
	v_add_co_u32 v41, s1, s6, v41
	v_add_co_ci_u32_e64 v42, null, s7, v42, s1
	v_cvt_f32_i32_sdwa v56, sext(v28) dst_sel:DWORD dst_unused:UNUSED_PAD src0_sel:BYTE_1
	v_cvt_f32_i32_sdwa v59, sext(v29) dst_sel:DWORD dst_unused:UNUSED_PAD src0_sel:BYTE_1
	;; [unrolled: 1-line block ×3, first 2 shown]
	global_load_dword v42, v[41:42], off
	v_sub_co_ci_u32_e64 v41, null, v47, v2, vcc_lo
	v_cvt_f32_i32_sdwa v47, sext(v22) dst_sel:DWORD dst_unused:UNUSED_PAD src0_sel:BYTE_1
	v_cvt_f32_i32_sdwa v22, sext(v22) dst_sel:DWORD dst_unused:UNUSED_PAD src0_sel:BYTE_3
	v_cvt_f32_i32_sdwa v65, sext(v31) dst_sel:DWORD dst_unused:UNUSED_PAD src0_sel:BYTE_1
	v_lshlrev_b64 v[40:41], 2, v[40:41]
	v_cvt_f32_i32_sdwa v57, sext(v28) dst_sel:DWORD dst_unused:UNUSED_PAD src0_sel:BYTE_2
	v_cvt_f32_i32_sdwa v60, sext(v29) dst_sel:DWORD dst_unused:UNUSED_PAD src0_sel:BYTE_2
	;; [unrolled: 1-line block ×4, first 2 shown]
	v_cvt_f32_i32_sdwa v28, sext(v28) dst_sel:DWORD dst_unused:UNUSED_PAD src0_sel:BYTE_3
	v_add_co_u32 v40, vcc_lo, s6, v40
	v_add_co_ci_u32_e64 v41, null, s7, v41, vcc_lo
	v_cvt_f32_i32_sdwa v29, sext(v29) dst_sel:DWORD dst_unused:UNUSED_PAD src0_sel:BYTE_3
	v_cvt_f32_i32_sdwa v30, sext(v30) dst_sel:DWORD dst_unused:UNUSED_PAD src0_sel:BYTE_3
	;; [unrolled: 1-line block ×3, first 2 shown]
	global_load_dword v40, v[40:41], off
	v_cvt_f32_i32_sdwa v41, sext(v21) dst_sel:DWORD dst_unused:UNUSED_PAD src0_sel:BYTE_0
	v_cvt_f32_i32_sdwa v21, sext(v21) dst_sel:DWORD dst_unused:UNUSED_PAD src0_sel:BYTE_3
	s_waitcnt vmcnt(5)
	v_cvt_f32_i32_sdwa v67, sext(v32) dst_sel:DWORD dst_unused:UNUSED_PAD src0_sel:BYTE_0
	v_cvt_f32_i32_sdwa v70, sext(v33) dst_sel:DWORD dst_unused:UNUSED_PAD src0_sel:BYTE_0
	;; [unrolled: 1-line block ×4, first 2 shown]
	v_cvt_f32_i32_sdwa v68, sext(v32) dst_sel:DWORD dst_unused:UNUSED_PAD src0_sel:BYTE_1
	v_cvt_f32_i32_sdwa v71, sext(v33) dst_sel:DWORD dst_unused:UNUSED_PAD src0_sel:BYTE_1
	;; [unrolled: 1-line block ×4, first 2 shown]
	v_cvt_f32_i32_sdwa v69, sext(v32) dst_sel:DWORD dst_unused:UNUSED_PAD src0_sel:BYTE_2
	v_cvt_f32_i32_sdwa v72, sext(v33) dst_sel:DWORD dst_unused:UNUSED_PAD src0_sel:BYTE_2
	;; [unrolled: 1-line block ×4, first 2 shown]
	v_cvt_f32_i32_sdwa v32, sext(v32) dst_sel:DWORD dst_unused:UNUSED_PAD src0_sel:BYTE_3
	v_cvt_f32_i32_sdwa v33, sext(v33) dst_sel:DWORD dst_unused:UNUSED_PAD src0_sel:BYTE_3
	;; [unrolled: 1-line block ×4, first 2 shown]
	s_waitcnt vmcnt(4)
	v_cvt_f32_i32_sdwa v79, sext(v36) dst_sel:DWORD dst_unused:UNUSED_PAD src0_sel:BYTE_0
	v_cvt_f32_i32_sdwa v82, sext(v37) dst_sel:DWORD dst_unused:UNUSED_PAD src0_sel:BYTE_0
	;; [unrolled: 1-line block ×4, first 2 shown]
	v_cvt_f32_i32_sdwa v80, sext(v36) dst_sel:DWORD dst_unused:UNUSED_PAD src0_sel:BYTE_1
	v_cvt_f32_i32_sdwa v83, sext(v37) dst_sel:DWORD dst_unused:UNUSED_PAD src0_sel:BYTE_1
	;; [unrolled: 1-line block ×4, first 2 shown]
	v_add_co_u32 v15, vcc_lo, 0x100, v15
	v_cvt_f32_i32_sdwa v81, sext(v36) dst_sel:DWORD dst_unused:UNUSED_PAD src0_sel:BYTE_2
	v_cvt_f32_i32_sdwa v84, sext(v37) dst_sel:DWORD dst_unused:UNUSED_PAD src0_sel:BYTE_2
	v_cvt_f32_i32_sdwa v87, sext(v38) dst_sel:DWORD dst_unused:UNUSED_PAD src0_sel:BYTE_2
	v_cvt_f32_i32_sdwa v90, sext(v39) dst_sel:DWORD dst_unused:UNUSED_PAD src0_sel:BYTE_2
	v_add_co_ci_u32_e64 v16, null, 0, v16, vcc_lo
	v_add_co_u32 v19, vcc_lo, 0x800, v19
	v_add_co_ci_u32_e64 v20, null, 0, v20, vcc_lo
	v_add_co_u32 v17, vcc_lo, 0x1000, v17
	v_cvt_f32_i32_sdwa v36, sext(v36) dst_sel:DWORD dst_unused:UNUSED_PAD src0_sel:BYTE_3
	v_cvt_f32_i32_sdwa v37, sext(v37) dst_sel:DWORD dst_unused:UNUSED_PAD src0_sel:BYTE_3
	;; [unrolled: 1-line block ×4, first 2 shown]
	v_add_co_ci_u32_e64 v18, null, 0, v18, vcc_lo
	v_cmp_ge_i64_e32 vcc_lo, v[15:16], v[7:8]
	s_or_b32 s9, vcc_lo, s9
	s_waitcnt vmcnt(3)
	v_cvt_f32_i32_sdwa v91, sext(v11) dst_sel:DWORD dst_unused:UNUSED_PAD src0_sel:BYTE_0
	v_cvt_f32_i32_sdwa v92, sext(v11) dst_sel:DWORD dst_unused:UNUSED_PAD src0_sel:BYTE_1
	v_fmac_f32_e32 v12, v41, v91
	v_fmac_f32_e32 v27, v46, v91
	v_fmac_f32_e32 v26, v49, v91
	v_fmac_f32_e32 v25, v52, v91
	v_cvt_f32_i32_sdwa v41, sext(v11) dst_sel:DWORD dst_unused:UNUSED_PAD src0_sel:BYTE_2
	v_fmac_f32_e32 v12, v44, v92
	v_fmac_f32_e32 v27, v47, v92
	v_fmac_f32_e32 v26, v50, v92
	v_fmac_f32_e32 v25, v53, v92
	v_cvt_f32_i32_sdwa v11, sext(v11) dst_sel:DWORD dst_unused:UNUSED_PAD src0_sel:BYTE_3
	v_fmac_f32_e32 v12, v45, v41
	v_fmac_f32_e32 v27, v48, v41
	v_fmac_f32_e32 v26, v51, v41
	v_fmac_f32_e32 v25, v54, v41
	s_waitcnt vmcnt(2)
	v_cvt_f32_i32_sdwa v41, sext(v43) dst_sel:DWORD dst_unused:UNUSED_PAD src0_sel:BYTE_0
	v_fmac_f32_e32 v12, v21, v11
	v_fmac_f32_e32 v27, v22, v11
	v_fmac_f32_e32 v26, v23, v11
	v_fmac_f32_e32 v25, v24, v11
	v_cvt_f32_i32_sdwa v11, sext(v43) dst_sel:DWORD dst_unused:UNUSED_PAD src0_sel:BYTE_1
	v_fmac_f32_e32 v12, v55, v41
	v_fmac_f32_e32 v27, v58, v41
	v_fmac_f32_e32 v26, v61, v41
	v_fmac_f32_e32 v25, v64, v41
	v_cvt_f32_i32_sdwa v21, sext(v43) dst_sel:DWORD dst_unused:UNUSED_PAD src0_sel:BYTE_2
	v_fmac_f32_e32 v12, v56, v11
	v_fmac_f32_e32 v27, v59, v11
	v_fmac_f32_e32 v26, v62, v11
	v_fmac_f32_e32 v25, v65, v11
	v_cvt_f32_i32_sdwa v11, sext(v43) dst_sel:DWORD dst_unused:UNUSED_PAD src0_sel:BYTE_3
	v_fmac_f32_e32 v12, v57, v21
	v_fmac_f32_e32 v27, v60, v21
	v_fmac_f32_e32 v26, v63, v21
	v_fmac_f32_e32 v25, v66, v21
	s_waitcnt vmcnt(1)
	v_cvt_f32_i32_sdwa v21, sext(v42) dst_sel:DWORD dst_unused:UNUSED_PAD src0_sel:BYTE_0
	v_fmac_f32_e32 v12, v28, v11
	v_fmac_f32_e32 v27, v29, v11
	v_fmac_f32_e32 v26, v30, v11
	v_fmac_f32_e32 v25, v31, v11
	;; [unrolled: 21-line block ×3, first 2 shown]
	v_cvt_f32_i32_sdwa v11, sext(v40) dst_sel:DWORD dst_unused:UNUSED_PAD src0_sel:BYTE_1
	v_fmac_f32_e32 v12, v79, v21
	v_fmac_f32_e32 v27, v82, v21
	v_fmac_f32_e32 v26, v85, v21
	v_fmac_f32_e32 v25, v88, v21
	v_cvt_f32_i32_sdwa v21, sext(v40) dst_sel:DWORD dst_unused:UNUSED_PAD src0_sel:BYTE_2
	v_fmac_f32_e32 v12, v80, v11
	v_fmac_f32_e32 v27, v83, v11
	;; [unrolled: 1-line block ×4, first 2 shown]
	v_cvt_f32_i32_sdwa v11, sext(v40) dst_sel:DWORD dst_unused:UNUSED_PAD src0_sel:BYTE_3
	v_fmac_f32_e32 v12, v81, v21
	v_fmac_f32_e32 v27, v84, v21
	;; [unrolled: 1-line block ×8, first 2 shown]
	s_andn2_b32 exec_lo, exec_lo, s9
	s_cbranch_execnz .LBB89_23
; %bb.24:
	s_or_b32 exec_lo, exec_lo, s9
.LBB89_25:
	s_or_b32 exec_lo, exec_lo, s8
.LBB89_26:
	s_or_b32 exec_lo, exec_lo, s3
	s_cbranch_execz .LBB89_28
	s_branch .LBB89_39
.LBB89_27:
                                        ; implicit-def: $vgpr25
                                        ; implicit-def: $vgpr26
                                        ; implicit-def: $vgpr27
                                        ; implicit-def: $vgpr12
.LBB89_28:
	v_mov_b32_e32 v25, 0
	v_mov_b32_e32 v26, 0
	;; [unrolled: 1-line block ×4, first 2 shown]
	s_and_saveexec_b32 s1, s0
	s_cbranch_execz .LBB89_38
; %bb.29:
	v_or_b32_e32 v11, 64, v0
	v_sub_co_u32 v15, s0, v1, v0
	v_subrev_co_ci_u32_e64 v16, null, 0, v2, s0
	v_sub_co_u32 v11, vcc_lo, v11, v1
	v_sub_co_ci_u32_e64 v12, null, 0, v2, vcc_lo
	s_mov_b32 s0, exec_lo
	v_add_co_u32 v11, vcc_lo, v11, v13
	v_add_co_ci_u32_e64 v12, null, v12, v14, vcc_lo
	v_not_b32_e32 v13, v13
	v_not_b32_e32 v14, v14
	v_cmp_gt_i64_e32 vcc_lo, v[11:12], v[7:8]
	v_cndmask_b32_e32 v17, v8, v12, vcc_lo
	v_cndmask_b32_e32 v11, v7, v11, vcc_lo
	v_add_co_u32 v12, vcc_lo, v15, v13
	v_add_co_ci_u32_e64 v14, null, v16, v14, vcc_lo
	v_add_co_u32 v13, vcc_lo, v12, v11
	v_mov_b32_e32 v12, 0
	v_add_co_ci_u32_e64 v14, null, v14, v17, vcc_lo
	v_and_b32_e32 v11, 0xc0, v13
	v_mov_b32_e32 v27, v12
	v_mov_b32_e32 v26, v12
	;; [unrolled: 1-line block ×3, first 2 shown]
	v_cmpx_ne_u64_e32 0xc0, v[11:12]
	s_cbranch_execz .LBB89_33
; %bb.30:
	v_lshrrev_b32_e32 v11, 6, v13
	v_mov_b32_e32 v25, 0
	v_mov_b32_e32 v26, 0
	;; [unrolled: 1-line block ×3, first 2 shown]
	v_add_nc_u32_e32 v15, 1, v11
	v_lshlrev_b64 v[11:12], 3, v[5:6]
	v_and_b32_e32 v17, 3, v15
	v_add_co_u32 v15, vcc_lo, s12, v11
	v_add_co_ci_u32_e64 v16, null, s13, v12, vcc_lo
	v_sub_co_u32 v17, s3, 0, v17
	v_sub_co_ci_u32_e64 v18, null, 0, 0, s3
	v_mov_b32_e32 v12, 0
	s_mov_b32 s3, 0
.LBB89_31:                              ; =>This Inner Loop Header: Depth=1
	global_load_dwordx2 v[19:20], v[15:16], off
	s_waitcnt vmcnt(0)
	v_sub_co_u32 v19, vcc_lo, v19, v1
	v_sub_co_ci_u32_e64 v20, null, v20, v2, vcc_lo
	v_lshlrev_b64 v[19:20], 2, v[19:20]
	v_add_co_u32 v23, vcc_lo, s6, v19
	v_add_co_ci_u32_e64 v24, null, s7, v20, vcc_lo
	global_load_dwordx4 v[19:22], v[9:10], off
	global_load_dword v11, v[23:24], off
	v_add_co_u32 v9, vcc_lo, 0x400, v9
	v_add_co_ci_u32_e64 v10, null, 0, v10, vcc_lo
	v_add_co_u32 v5, vcc_lo, v5, 64
	v_add_co_ci_u32_e64 v6, null, 0, v6, vcc_lo
	;; [unrolled: 2-line block ×4, first 2 shown]
	v_cmp_eq_u64_e32 vcc_lo, 0, v[17:18]
	s_or_b32 s3, vcc_lo, s3
	s_waitcnt vmcnt(1)
	v_cvt_f32_i32_sdwa v23, sext(v19) dst_sel:DWORD dst_unused:UNUSED_PAD src0_sel:BYTE_0
	v_cvt_f32_i32_sdwa v24, sext(v19) dst_sel:DWORD dst_unused:UNUSED_PAD src0_sel:BYTE_1
	v_cvt_f32_i32_sdwa v28, sext(v19) dst_sel:DWORD dst_unused:UNUSED_PAD src0_sel:BYTE_2
	v_cvt_f32_i32_sdwa v19, sext(v19) dst_sel:DWORD dst_unused:UNUSED_PAD src0_sel:BYTE_3
	s_waitcnt vmcnt(0)
	v_cvt_f32_i32_sdwa v38, sext(v11) dst_sel:DWORD dst_unused:UNUSED_PAD src0_sel:BYTE_0
	v_cvt_f32_i32_sdwa v29, sext(v20) dst_sel:DWORD dst_unused:UNUSED_PAD src0_sel:BYTE_0
	v_cvt_f32_i32_sdwa v30, sext(v20) dst_sel:DWORD dst_unused:UNUSED_PAD src0_sel:BYTE_1
	v_cvt_f32_i32_sdwa v31, sext(v20) dst_sel:DWORD dst_unused:UNUSED_PAD src0_sel:BYTE_2
	v_cvt_f32_i32_sdwa v20, sext(v20) dst_sel:DWORD dst_unused:UNUSED_PAD src0_sel:BYTE_3
	v_cvt_f32_i32_sdwa v39, sext(v11) dst_sel:DWORD dst_unused:UNUSED_PAD src0_sel:BYTE_1
	v_fmac_f32_e32 v12, v23, v38
	v_fmac_f32_e32 v27, v24, v38
	;; [unrolled: 1-line block ×4, first 2 shown]
	v_cvt_f32_i32_sdwa v32, sext(v21) dst_sel:DWORD dst_unused:UNUSED_PAD src0_sel:BYTE_0
	v_cvt_f32_i32_sdwa v33, sext(v21) dst_sel:DWORD dst_unused:UNUSED_PAD src0_sel:BYTE_1
	v_cvt_f32_i32_sdwa v34, sext(v21) dst_sel:DWORD dst_unused:UNUSED_PAD src0_sel:BYTE_2
	v_cvt_f32_i32_sdwa v21, sext(v21) dst_sel:DWORD dst_unused:UNUSED_PAD src0_sel:BYTE_3
	v_cvt_f32_i32_sdwa v19, sext(v11) dst_sel:DWORD dst_unused:UNUSED_PAD src0_sel:BYTE_2
	v_fmac_f32_e32 v12, v29, v39
	v_fmac_f32_e32 v27, v30, v39
	v_fmac_f32_e32 v26, v31, v39
	v_fmac_f32_e32 v25, v20, v39
	v_cvt_f32_i32_sdwa v35, sext(v22) dst_sel:DWORD dst_unused:UNUSED_PAD src0_sel:BYTE_0
	v_cvt_f32_i32_sdwa v36, sext(v22) dst_sel:DWORD dst_unused:UNUSED_PAD src0_sel:BYTE_1
	v_cvt_f32_i32_sdwa v37, sext(v22) dst_sel:DWORD dst_unused:UNUSED_PAD src0_sel:BYTE_2
	v_cvt_f32_i32_sdwa v22, sext(v22) dst_sel:DWORD dst_unused:UNUSED_PAD src0_sel:BYTE_3
	v_cvt_f32_i32_sdwa v11, sext(v11) dst_sel:DWORD dst_unused:UNUSED_PAD src0_sel:BYTE_3
	v_fmac_f32_e32 v12, v32, v19
	v_fmac_f32_e32 v27, v33, v19
	v_fmac_f32_e32 v26, v34, v19
	v_fmac_f32_e32 v25, v21, v19
	v_fmac_f32_e32 v12, v35, v11
	v_fmac_f32_e32 v27, v36, v11
	v_fmac_f32_e32 v26, v37, v11
	v_fmac_f32_e32 v25, v22, v11
	s_andn2_b32 exec_lo, exec_lo, s3
	s_cbranch_execnz .LBB89_31
; %bb.32:
	s_or_b32 exec_lo, exec_lo, s3
.LBB89_33:
	s_or_b32 exec_lo, exec_lo, s0
	s_mov_b32 s3, exec_lo
	v_cmpx_lt_u64_e32 0xbf, v[13:14]
	s_cbranch_execz .LBB89_37
; %bb.34:
	v_lshlrev_b64 v[13:14], 3, v[5:6]
	s_mov_b32 s8, 0
	v_add_co_u32 v11, vcc_lo, s12, v13
	v_add_co_ci_u32_e64 v14, null, s13, v14, vcc_lo
	v_add_co_u32 v13, vcc_lo, 0x400, v11
	v_add_co_ci_u32_e64 v14, null, 0, v14, vcc_lo
.LBB89_35:                              ; =>This Inner Loop Header: Depth=1
	s_clause 0x3
	global_load_dwordx2 v[23:24], v[13:14], off offset:-1024
	global_load_dwordx2 v[36:37], v[13:14], off offset:-512
	global_load_dwordx2 v[38:39], v[13:14], off
	global_load_dwordx2 v[40:41], v[13:14], off offset:512
	s_clause 0x1
	global_load_dwordx4 v[15:18], v[9:10], off
	global_load_dwordx4 v[19:22], v[9:10], off offset:1024
	v_add_co_u32 v32, vcc_lo, 0x800, v9
	v_add_co_ci_u32_e64 v33, null, 0, v10, vcc_lo
	s_clause 0x1
	global_load_dwordx4 v[28:31], v[32:33], off
	global_load_dwordx4 v[32:35], v[32:33], off offset:1024
	s_waitcnt vmcnt(7)
	v_sub_co_u32 v23, vcc_lo, v23, v1
	v_sub_co_ci_u32_e64 v24, null, v24, v2, vcc_lo
	s_waitcnt vmcnt(6)
	v_sub_co_u32 v36, vcc_lo, v36, v1
	v_sub_co_ci_u32_e64 v37, null, v37, v2, vcc_lo
	v_lshlrev_b64 v[23:24], 2, v[23:24]
	s_waitcnt vmcnt(3)
	v_cvt_f32_i32_sdwa v43, sext(v17) dst_sel:DWORD dst_unused:UNUSED_PAD src0_sel:BYTE_0
	v_cvt_f32_i32_sdwa v44, sext(v17) dst_sel:DWORD dst_unused:UNUSED_PAD src0_sel:BYTE_1
	v_cvt_f32_i32_sdwa v45, sext(v17) dst_sel:DWORD dst_unused:UNUSED_PAD src0_sel:BYTE_2
	v_cvt_f32_i32_sdwa v17, sext(v17) dst_sel:DWORD dst_unused:UNUSED_PAD src0_sel:BYTE_3
	v_cvt_f32_i32_sdwa v46, sext(v18) dst_sel:DWORD dst_unused:UNUSED_PAD src0_sel:BYTE_0
	v_add_co_u32 v23, vcc_lo, s6, v23
	v_add_co_ci_u32_e64 v24, null, s7, v24, vcc_lo
	v_sub_co_u32 v38, vcc_lo, v38, v1
	v_sub_co_ci_u32_e64 v39, null, v39, v2, vcc_lo
	global_load_dword v11, v[23:24], off
	v_lshlrev_b64 v[23:24], 2, v[36:37]
	v_cvt_f32_i32_sdwa v47, sext(v18) dst_sel:DWORD dst_unused:UNUSED_PAD src0_sel:BYTE_1
	v_lshlrev_b64 v[36:37], 2, v[38:39]
	v_cvt_f32_i32_sdwa v38, sext(v15) dst_sel:DWORD dst_unused:UNUSED_PAD src0_sel:BYTE_2
	v_cvt_f32_i32_sdwa v39, sext(v16) dst_sel:DWORD dst_unused:UNUSED_PAD src0_sel:BYTE_0
	v_cvt_f32_i32_sdwa v48, sext(v18) dst_sel:DWORD dst_unused:UNUSED_PAD src0_sel:BYTE_2
	v_add_co_u32 v23, vcc_lo, s6, v23
	v_add_co_ci_u32_e64 v24, null, s7, v24, vcc_lo
	v_add_co_u32 v36, s0, s6, v36
	v_add_co_ci_u32_e64 v37, null, s7, v37, s0
	global_load_dword v42, v[23:24], off
	v_cvt_f32_i32_sdwa v18, sext(v18) dst_sel:DWORD dst_unused:UNUSED_PAD src0_sel:BYTE_3
	s_waitcnt vmcnt(4)
	v_cvt_f32_i32_sdwa v49, sext(v19) dst_sel:DWORD dst_unused:UNUSED_PAD src0_sel:BYTE_0
	global_load_dword v36, v[36:37], off
	v_sub_co_u32 v23, vcc_lo, v40, v1
	v_sub_co_ci_u32_e64 v24, null, v41, v2, vcc_lo
	v_cvt_f32_i32_sdwa v37, sext(v15) dst_sel:DWORD dst_unused:UNUSED_PAD src0_sel:BYTE_1
	v_cvt_f32_i32_sdwa v40, sext(v16) dst_sel:DWORD dst_unused:UNUSED_PAD src0_sel:BYTE_1
	v_cvt_f32_i32_sdwa v41, sext(v16) dst_sel:DWORD dst_unused:UNUSED_PAD src0_sel:BYTE_2
	v_lshlrev_b64 v[23:24], 2, v[23:24]
	v_cvt_f32_i32_sdwa v16, sext(v16) dst_sel:DWORD dst_unused:UNUSED_PAD src0_sel:BYTE_3
	v_cvt_f32_i32_sdwa v50, sext(v19) dst_sel:DWORD dst_unused:UNUSED_PAD src0_sel:BYTE_1
	v_cvt_f32_i32_sdwa v51, sext(v19) dst_sel:DWORD dst_unused:UNUSED_PAD src0_sel:BYTE_2
	v_cvt_f32_i32_sdwa v19, sext(v19) dst_sel:DWORD dst_unused:UNUSED_PAD src0_sel:BYTE_3
	v_cvt_f32_i32_sdwa v52, sext(v20) dst_sel:DWORD dst_unused:UNUSED_PAD src0_sel:BYTE_0
	v_add_co_u32 v23, vcc_lo, s6, v23
	v_add_co_ci_u32_e64 v24, null, s7, v24, vcc_lo
	v_cvt_f32_i32_sdwa v53, sext(v20) dst_sel:DWORD dst_unused:UNUSED_PAD src0_sel:BYTE_1
	v_cvt_f32_i32_sdwa v54, sext(v20) dst_sel:DWORD dst_unused:UNUSED_PAD src0_sel:BYTE_2
	v_cvt_f32_i32_sdwa v20, sext(v20) dst_sel:DWORD dst_unused:UNUSED_PAD src0_sel:BYTE_3
	global_load_dword v23, v[23:24], off
	v_cvt_f32_i32_sdwa v24, sext(v15) dst_sel:DWORD dst_unused:UNUSED_PAD src0_sel:BYTE_0
	v_cvt_f32_i32_sdwa v15, sext(v15) dst_sel:DWORD dst_unused:UNUSED_PAD src0_sel:BYTE_3
	v_cvt_f32_i32_sdwa v55, sext(v21) dst_sel:DWORD dst_unused:UNUSED_PAD src0_sel:BYTE_0
	v_cvt_f32_i32_sdwa v56, sext(v21) dst_sel:DWORD dst_unused:UNUSED_PAD src0_sel:BYTE_1
	v_cvt_f32_i32_sdwa v57, sext(v21) dst_sel:DWORD dst_unused:UNUSED_PAD src0_sel:BYTE_2
	v_cvt_f32_i32_sdwa v21, sext(v21) dst_sel:DWORD dst_unused:UNUSED_PAD src0_sel:BYTE_3
	v_cvt_f32_i32_sdwa v58, sext(v22) dst_sel:DWORD dst_unused:UNUSED_PAD src0_sel:BYTE_0
	v_cvt_f32_i32_sdwa v59, sext(v22) dst_sel:DWORD dst_unused:UNUSED_PAD src0_sel:BYTE_1
	v_cvt_f32_i32_sdwa v60, sext(v22) dst_sel:DWORD dst_unused:UNUSED_PAD src0_sel:BYTE_2
	v_cvt_f32_i32_sdwa v22, sext(v22) dst_sel:DWORD dst_unused:UNUSED_PAD src0_sel:BYTE_3
	s_waitcnt vmcnt(5)
	v_cvt_f32_i32_sdwa v61, sext(v28) dst_sel:DWORD dst_unused:UNUSED_PAD src0_sel:BYTE_0
	v_cvt_f32_i32_sdwa v62, sext(v28) dst_sel:DWORD dst_unused:UNUSED_PAD src0_sel:BYTE_1
	v_cvt_f32_i32_sdwa v63, sext(v28) dst_sel:DWORD dst_unused:UNUSED_PAD src0_sel:BYTE_2
	v_cvt_f32_i32_sdwa v28, sext(v28) dst_sel:DWORD dst_unused:UNUSED_PAD src0_sel:BYTE_3
	v_cvt_f32_i32_sdwa v64, sext(v29) dst_sel:DWORD dst_unused:UNUSED_PAD src0_sel:BYTE_0
	v_cvt_f32_i32_sdwa v65, sext(v29) dst_sel:DWORD dst_unused:UNUSED_PAD src0_sel:BYTE_1
	v_cvt_f32_i32_sdwa v66, sext(v29) dst_sel:DWORD dst_unused:UNUSED_PAD src0_sel:BYTE_2
	v_cvt_f32_i32_sdwa v29, sext(v29) dst_sel:DWORD dst_unused:UNUSED_PAD src0_sel:BYTE_3
	;; [unrolled: 4-line block ×4, first 2 shown]
	s_waitcnt vmcnt(4)
	v_cvt_f32_i32_sdwa v73, sext(v32) dst_sel:DWORD dst_unused:UNUSED_PAD src0_sel:BYTE_0
	v_cvt_f32_i32_sdwa v74, sext(v32) dst_sel:DWORD dst_unused:UNUSED_PAD src0_sel:BYTE_1
	v_cvt_f32_i32_sdwa v75, sext(v32) dst_sel:DWORD dst_unused:UNUSED_PAD src0_sel:BYTE_2
	v_cvt_f32_i32_sdwa v32, sext(v32) dst_sel:DWORD dst_unused:UNUSED_PAD src0_sel:BYTE_3
	v_cvt_f32_i32_sdwa v76, sext(v33) dst_sel:DWORD dst_unused:UNUSED_PAD src0_sel:BYTE_0
	v_cvt_f32_i32_sdwa v77, sext(v33) dst_sel:DWORD dst_unused:UNUSED_PAD src0_sel:BYTE_1
	v_cvt_f32_i32_sdwa v78, sext(v33) dst_sel:DWORD dst_unused:UNUSED_PAD src0_sel:BYTE_2
	v_cvt_f32_i32_sdwa v33, sext(v33) dst_sel:DWORD dst_unused:UNUSED_PAD src0_sel:BYTE_3
	v_add_co_u32 v5, vcc_lo, 0x100, v5
	v_cvt_f32_i32_sdwa v79, sext(v34) dst_sel:DWORD dst_unused:UNUSED_PAD src0_sel:BYTE_0
	v_cvt_f32_i32_sdwa v80, sext(v34) dst_sel:DWORD dst_unused:UNUSED_PAD src0_sel:BYTE_1
	v_cvt_f32_i32_sdwa v81, sext(v34) dst_sel:DWORD dst_unused:UNUSED_PAD src0_sel:BYTE_2
	v_cvt_f32_i32_sdwa v34, sext(v34) dst_sel:DWORD dst_unused:UNUSED_PAD src0_sel:BYTE_3
	v_add_co_ci_u32_e64 v6, null, 0, v6, vcc_lo
	v_add_co_u32 v13, vcc_lo, 0x800, v13
	v_add_co_ci_u32_e64 v14, null, 0, v14, vcc_lo
	v_add_co_u32 v9, vcc_lo, 0x1000, v9
	v_cvt_f32_i32_sdwa v82, sext(v35) dst_sel:DWORD dst_unused:UNUSED_PAD src0_sel:BYTE_0
	v_cvt_f32_i32_sdwa v83, sext(v35) dst_sel:DWORD dst_unused:UNUSED_PAD src0_sel:BYTE_1
	v_cvt_f32_i32_sdwa v84, sext(v35) dst_sel:DWORD dst_unused:UNUSED_PAD src0_sel:BYTE_2
	v_cvt_f32_i32_sdwa v35, sext(v35) dst_sel:DWORD dst_unused:UNUSED_PAD src0_sel:BYTE_3
	v_add_co_ci_u32_e64 v10, null, 0, v10, vcc_lo
	v_cmp_ge_i64_e32 vcc_lo, v[5:6], v[7:8]
	s_or_b32 s8, vcc_lo, s8
	s_waitcnt vmcnt(3)
	v_cvt_f32_i32_sdwa v85, sext(v11) dst_sel:DWORD dst_unused:UNUSED_PAD src0_sel:BYTE_0
	v_cvt_f32_i32_sdwa v86, sext(v11) dst_sel:DWORD dst_unused:UNUSED_PAD src0_sel:BYTE_1
	v_fmac_f32_e32 v12, v24, v85
	v_fmac_f32_e32 v27, v37, v85
	v_fmac_f32_e32 v26, v38, v85
	v_fmac_f32_e32 v25, v15, v85
	v_cvt_f32_i32_sdwa v15, sext(v11) dst_sel:DWORD dst_unused:UNUSED_PAD src0_sel:BYTE_2
	v_fmac_f32_e32 v12, v39, v86
	v_fmac_f32_e32 v27, v40, v86
	v_fmac_f32_e32 v26, v41, v86
	v_fmac_f32_e32 v25, v16, v86
	v_cvt_f32_i32_sdwa v11, sext(v11) dst_sel:DWORD dst_unused:UNUSED_PAD src0_sel:BYTE_3
	v_fmac_f32_e32 v12, v43, v15
	v_fmac_f32_e32 v27, v44, v15
	v_fmac_f32_e32 v26, v45, v15
	v_fmac_f32_e32 v25, v17, v15
	s_waitcnt vmcnt(2)
	v_cvt_f32_i32_sdwa v15, sext(v42) dst_sel:DWORD dst_unused:UNUSED_PAD src0_sel:BYTE_0
	v_fmac_f32_e32 v12, v46, v11
	v_fmac_f32_e32 v27, v47, v11
	v_fmac_f32_e32 v26, v48, v11
	v_fmac_f32_e32 v25, v18, v11
	v_cvt_f32_i32_sdwa v11, sext(v42) dst_sel:DWORD dst_unused:UNUSED_PAD src0_sel:BYTE_1
	v_fmac_f32_e32 v12, v49, v15
	v_fmac_f32_e32 v27, v50, v15
	v_fmac_f32_e32 v26, v51, v15
	v_fmac_f32_e32 v25, v19, v15
	v_cvt_f32_i32_sdwa v15, sext(v42) dst_sel:DWORD dst_unused:UNUSED_PAD src0_sel:BYTE_2
	v_fmac_f32_e32 v12, v52, v11
	v_fmac_f32_e32 v27, v53, v11
	v_fmac_f32_e32 v26, v54, v11
	v_fmac_f32_e32 v25, v20, v11
	v_cvt_f32_i32_sdwa v11, sext(v42) dst_sel:DWORD dst_unused:UNUSED_PAD src0_sel:BYTE_3
	v_fmac_f32_e32 v12, v55, v15
	v_fmac_f32_e32 v27, v56, v15
	v_fmac_f32_e32 v26, v57, v15
	v_fmac_f32_e32 v25, v21, v15
	s_waitcnt vmcnt(1)
	v_cvt_f32_i32_sdwa v15, sext(v36) dst_sel:DWORD dst_unused:UNUSED_PAD src0_sel:BYTE_0
	v_fmac_f32_e32 v12, v58, v11
	v_fmac_f32_e32 v27, v59, v11
	v_fmac_f32_e32 v26, v60, v11
	v_fmac_f32_e32 v25, v22, v11
	;; [unrolled: 21-line block ×3, first 2 shown]
	v_cvt_f32_i32_sdwa v11, sext(v23) dst_sel:DWORD dst_unused:UNUSED_PAD src0_sel:BYTE_1
	v_fmac_f32_e32 v12, v73, v15
	v_fmac_f32_e32 v27, v74, v15
	;; [unrolled: 1-line block ×4, first 2 shown]
	v_cvt_f32_i32_sdwa v15, sext(v23) dst_sel:DWORD dst_unused:UNUSED_PAD src0_sel:BYTE_2
	v_fmac_f32_e32 v12, v76, v11
	v_fmac_f32_e32 v27, v77, v11
	;; [unrolled: 1-line block ×4, first 2 shown]
	v_cvt_f32_i32_sdwa v11, sext(v23) dst_sel:DWORD dst_unused:UNUSED_PAD src0_sel:BYTE_3
	v_fmac_f32_e32 v12, v79, v15
	v_fmac_f32_e32 v27, v80, v15
	;; [unrolled: 1-line block ×8, first 2 shown]
	s_andn2_b32 exec_lo, exec_lo, s8
	s_cbranch_execnz .LBB89_35
; %bb.36:
	s_or_b32 exec_lo, exec_lo, s8
.LBB89_37:
	s_or_b32 exec_lo, exec_lo, s3
.LBB89_38:
	s_or_b32 exec_lo, exec_lo, s1
.LBB89_39:
	v_mbcnt_lo_u32_b32 v1, -1, 0
	s_mov_b32 s3, -1
	v_or_b32_e32 v2, 32, v1
	v_xor_b32_e32 v8, 16, v1
	v_cmp_gt_i32_e32 vcc_lo, 32, v2
	v_cndmask_b32_e32 v2, v1, v2, vcc_lo
	v_cmp_gt_i32_e32 vcc_lo, 32, v8
	v_lshlrev_b32_e32 v2, 2, v2
	v_cndmask_b32_e32 v8, v1, v8, vcc_lo
	ds_bpermute_b32 v5, v2, v12
	ds_bpermute_b32 v6, v2, v27
	;; [unrolled: 1-line block ×4, first 2 shown]
	v_lshlrev_b32_e32 v8, 2, v8
	s_waitcnt lgkmcnt(3)
	v_add_f32_e32 v5, v12, v5
	s_waitcnt lgkmcnt(2)
	v_add_f32_e32 v6, v27, v6
	;; [unrolled: 2-line block ×4, first 2 shown]
	v_xor_b32_e32 v12, 8, v1
	ds_bpermute_b32 v9, v8, v5
	ds_bpermute_b32 v10, v8, v6
	;; [unrolled: 1-line block ×4, first 2 shown]
	v_cmp_gt_i32_e32 vcc_lo, 32, v12
	v_cndmask_b32_e32 v12, v1, v12, vcc_lo
	v_lshlrev_b32_e32 v12, 2, v12
	s_waitcnt lgkmcnt(3)
	v_add_f32_e32 v5, v5, v9
	s_waitcnt lgkmcnt(2)
	v_add_f32_e32 v6, v6, v10
	s_waitcnt lgkmcnt(1)
	v_add_f32_e32 v7, v7, v11
	s_waitcnt lgkmcnt(0)
	v_add_f32_e32 v2, v2, v8
	ds_bpermute_b32 v8, v12, v5
	ds_bpermute_b32 v9, v12, v6
	ds_bpermute_b32 v10, v12, v7
	ds_bpermute_b32 v11, v12, v2
	v_xor_b32_e32 v12, 4, v1
	v_cmp_gt_i32_e32 vcc_lo, 32, v12
	v_cndmask_b32_e32 v12, v1, v12, vcc_lo
	v_lshlrev_b32_e32 v12, 2, v12
	s_waitcnt lgkmcnt(3)
	v_add_f32_e32 v5, v5, v8
	s_waitcnt lgkmcnt(2)
	v_add_f32_e32 v6, v6, v9
	s_waitcnt lgkmcnt(1)
	v_add_f32_e32 v7, v7, v10
	s_waitcnt lgkmcnt(0)
	v_add_f32_e32 v2, v2, v11
	ds_bpermute_b32 v8, v12, v5
	ds_bpermute_b32 v9, v12, v6
	ds_bpermute_b32 v10, v12, v7
	ds_bpermute_b32 v11, v12, v2
	v_xor_b32_e32 v12, 2, v1
	;; [unrolled: 16-line block ×3, first 2 shown]
	v_cmp_gt_i32_e32 vcc_lo, 32, v12
	v_cndmask_b32_e32 v1, v1, v12, vcc_lo
	v_cmp_eq_u32_e32 vcc_lo, 63, v0
	v_lshlrev_b32_e32 v12, 2, v1
	s_waitcnt lgkmcnt(3)
	v_add_f32_e32 v1, v5, v2
	s_waitcnt lgkmcnt(2)
	v_add_f32_e32 v2, v6, v9
	;; [unrolled: 2-line block ×4, first 2 shown]
	ds_bpermute_b32 v7, v12, v1
	ds_bpermute_b32 v8, v12, v2
	;; [unrolled: 1-line block ×4, first 2 shown]
	s_and_b32 exec_lo, exec_lo, vcc_lo
	s_cbranch_execz .LBB89_10
; %bb.40:
	s_load_dwordx2 s[0:1], s[4:5], 0x58
	s_waitcnt lgkmcnt(0)
	v_add_f32_e32 v0, v1, v7
	v_add_f32_e32 v1, v2, v8
	;; [unrolled: 1-line block ×4, first 2 shown]
	v_cmp_eq_f32_e64 s4, s2, 0
	v_lshlrev_b64 v[4:5], 4, v[3:4]
	v_mul_f32_e32 v0, s16, v0
	v_mul_f32_e32 v1, s16, v1
	v_mul_f32_e32 v2, s16, v2
	v_mul_f32_e32 v3, s16, v6
	s_and_b32 vcc_lo, exec_lo, s4
	s_cbranch_vccz .LBB89_42
; %bb.41:
	v_add_co_u32 v6, vcc_lo, s0, v4
	v_add_co_ci_u32_e64 v7, null, s1, v5, vcc_lo
	s_mov_b32 s3, 0
	global_store_dwordx4 v[6:7], v[0:3], off
.LBB89_42:
	s_andn2_b32 vcc_lo, exec_lo, s3
	s_cbranch_vccnz .LBB89_10
; %bb.43:
	v_add_co_u32 v8, vcc_lo, s0, v4
	v_add_co_ci_u32_e64 v9, null, s1, v5, vcc_lo
	global_load_dwordx4 v[4:7], v[8:9], off
	s_waitcnt vmcnt(0)
	v_fmac_f32_e32 v0, s2, v4
	v_fmac_f32_e32 v1, s2, v5
	;; [unrolled: 1-line block ×4, first 2 shown]
	global_store_dwordx4 v[8:9], v[0:3], off
	s_endpgm
	.section	.rodata,"a",@progbits
	.p2align	6, 0x0
	.amdhsa_kernel _ZN9rocsparseL18bsrxmvn_4x4_kernelILj128ELj64EfllaafEEvT3_20rocsparse_direction_NS_24const_host_device_scalarIT1_EES1_PKS1_PKT2_SA_S7_PKT4_PKT5_S5_PT6_21rocsparse_index_base_b
		.amdhsa_group_segment_fixed_size 0
		.amdhsa_private_segment_fixed_size 0
		.amdhsa_kernarg_size 104
		.amdhsa_user_sgpr_count 6
		.amdhsa_user_sgpr_private_segment_buffer 1
		.amdhsa_user_sgpr_dispatch_ptr 0
		.amdhsa_user_sgpr_queue_ptr 0
		.amdhsa_user_sgpr_kernarg_segment_ptr 1
		.amdhsa_user_sgpr_dispatch_id 0
		.amdhsa_user_sgpr_flat_scratch_init 0
		.amdhsa_user_sgpr_private_segment_size 0
		.amdhsa_wavefront_size32 1
		.amdhsa_uses_dynamic_stack 0
		.amdhsa_system_sgpr_private_segment_wavefront_offset 0
		.amdhsa_system_sgpr_workgroup_id_x 1
		.amdhsa_system_sgpr_workgroup_id_y 0
		.amdhsa_system_sgpr_workgroup_id_z 0
		.amdhsa_system_sgpr_workgroup_info 0
		.amdhsa_system_vgpr_workitem_id 0
		.amdhsa_next_free_vgpr 93
		.amdhsa_next_free_sgpr 20
		.amdhsa_reserve_vcc 1
		.amdhsa_reserve_flat_scratch 0
		.amdhsa_float_round_mode_32 0
		.amdhsa_float_round_mode_16_64 0
		.amdhsa_float_denorm_mode_32 3
		.amdhsa_float_denorm_mode_16_64 3
		.amdhsa_dx10_clamp 1
		.amdhsa_ieee_mode 1
		.amdhsa_fp16_overflow 0
		.amdhsa_workgroup_processor_mode 1
		.amdhsa_memory_ordered 1
		.amdhsa_forward_progress 1
		.amdhsa_shared_vgpr_count 0
		.amdhsa_exception_fp_ieee_invalid_op 0
		.amdhsa_exception_fp_denorm_src 0
		.amdhsa_exception_fp_ieee_div_zero 0
		.amdhsa_exception_fp_ieee_overflow 0
		.amdhsa_exception_fp_ieee_underflow 0
		.amdhsa_exception_fp_ieee_inexact 0
		.amdhsa_exception_int_div_zero 0
	.end_amdhsa_kernel
	.section	.text._ZN9rocsparseL18bsrxmvn_4x4_kernelILj128ELj64EfllaafEEvT3_20rocsparse_direction_NS_24const_host_device_scalarIT1_EES1_PKS1_PKT2_SA_S7_PKT4_PKT5_S5_PT6_21rocsparse_index_base_b,"axG",@progbits,_ZN9rocsparseL18bsrxmvn_4x4_kernelILj128ELj64EfllaafEEvT3_20rocsparse_direction_NS_24const_host_device_scalarIT1_EES1_PKS1_PKT2_SA_S7_PKT4_PKT5_S5_PT6_21rocsparse_index_base_b,comdat
.Lfunc_end89:
	.size	_ZN9rocsparseL18bsrxmvn_4x4_kernelILj128ELj64EfllaafEEvT3_20rocsparse_direction_NS_24const_host_device_scalarIT1_EES1_PKS1_PKT2_SA_S7_PKT4_PKT5_S5_PT6_21rocsparse_index_base_b, .Lfunc_end89-_ZN9rocsparseL18bsrxmvn_4x4_kernelILj128ELj64EfllaafEEvT3_20rocsparse_direction_NS_24const_host_device_scalarIT1_EES1_PKS1_PKT2_SA_S7_PKT4_PKT5_S5_PT6_21rocsparse_index_base_b
                                        ; -- End function
	.set _ZN9rocsparseL18bsrxmvn_4x4_kernelILj128ELj64EfllaafEEvT3_20rocsparse_direction_NS_24const_host_device_scalarIT1_EES1_PKS1_PKT2_SA_S7_PKT4_PKT5_S5_PT6_21rocsparse_index_base_b.num_vgpr, 93
	.set _ZN9rocsparseL18bsrxmvn_4x4_kernelILj128ELj64EfllaafEEvT3_20rocsparse_direction_NS_24const_host_device_scalarIT1_EES1_PKS1_PKT2_SA_S7_PKT4_PKT5_S5_PT6_21rocsparse_index_base_b.num_agpr, 0
	.set _ZN9rocsparseL18bsrxmvn_4x4_kernelILj128ELj64EfllaafEEvT3_20rocsparse_direction_NS_24const_host_device_scalarIT1_EES1_PKS1_PKT2_SA_S7_PKT4_PKT5_S5_PT6_21rocsparse_index_base_b.numbered_sgpr, 20
	.set _ZN9rocsparseL18bsrxmvn_4x4_kernelILj128ELj64EfllaafEEvT3_20rocsparse_direction_NS_24const_host_device_scalarIT1_EES1_PKS1_PKT2_SA_S7_PKT4_PKT5_S5_PT6_21rocsparse_index_base_b.num_named_barrier, 0
	.set _ZN9rocsparseL18bsrxmvn_4x4_kernelILj128ELj64EfllaafEEvT3_20rocsparse_direction_NS_24const_host_device_scalarIT1_EES1_PKS1_PKT2_SA_S7_PKT4_PKT5_S5_PT6_21rocsparse_index_base_b.private_seg_size, 0
	.set _ZN9rocsparseL18bsrxmvn_4x4_kernelILj128ELj64EfllaafEEvT3_20rocsparse_direction_NS_24const_host_device_scalarIT1_EES1_PKS1_PKT2_SA_S7_PKT4_PKT5_S5_PT6_21rocsparse_index_base_b.uses_vcc, 1
	.set _ZN9rocsparseL18bsrxmvn_4x4_kernelILj128ELj64EfllaafEEvT3_20rocsparse_direction_NS_24const_host_device_scalarIT1_EES1_PKS1_PKT2_SA_S7_PKT4_PKT5_S5_PT6_21rocsparse_index_base_b.uses_flat_scratch, 0
	.set _ZN9rocsparseL18bsrxmvn_4x4_kernelILj128ELj64EfllaafEEvT3_20rocsparse_direction_NS_24const_host_device_scalarIT1_EES1_PKS1_PKT2_SA_S7_PKT4_PKT5_S5_PT6_21rocsparse_index_base_b.has_dyn_sized_stack, 0
	.set _ZN9rocsparseL18bsrxmvn_4x4_kernelILj128ELj64EfllaafEEvT3_20rocsparse_direction_NS_24const_host_device_scalarIT1_EES1_PKS1_PKT2_SA_S7_PKT4_PKT5_S5_PT6_21rocsparse_index_base_b.has_recursion, 0
	.set _ZN9rocsparseL18bsrxmvn_4x4_kernelILj128ELj64EfllaafEEvT3_20rocsparse_direction_NS_24const_host_device_scalarIT1_EES1_PKS1_PKT2_SA_S7_PKT4_PKT5_S5_PT6_21rocsparse_index_base_b.has_indirect_call, 0
	.section	.AMDGPU.csdata,"",@progbits
; Kernel info:
; codeLenInByte = 5240
; TotalNumSgprs: 22
; NumVgprs: 93
; ScratchSize: 0
; MemoryBound: 0
; FloatMode: 240
; IeeeMode: 1
; LDSByteSize: 0 bytes/workgroup (compile time only)
; SGPRBlocks: 0
; VGPRBlocks: 11
; NumSGPRsForWavesPerEU: 22
; NumVGPRsForWavesPerEU: 93
; Occupancy: 10
; WaveLimiterHint : 1
; COMPUTE_PGM_RSRC2:SCRATCH_EN: 0
; COMPUTE_PGM_RSRC2:USER_SGPR: 6
; COMPUTE_PGM_RSRC2:TRAP_HANDLER: 0
; COMPUTE_PGM_RSRC2:TGID_X_EN: 1
; COMPUTE_PGM_RSRC2:TGID_Y_EN: 0
; COMPUTE_PGM_RSRC2:TGID_Z_EN: 0
; COMPUTE_PGM_RSRC2:TIDIG_COMP_CNT: 0
	.section	.text._ZN9rocsparseL18bsrxmvn_4x4_kernelILj128ELj4EfiiDF16_DF16_fEEvT3_20rocsparse_direction_NS_24const_host_device_scalarIT1_EES1_PKS1_PKT2_SA_S7_PKT4_PKT5_S5_PT6_21rocsparse_index_base_b,"axG",@progbits,_ZN9rocsparseL18bsrxmvn_4x4_kernelILj128ELj4EfiiDF16_DF16_fEEvT3_20rocsparse_direction_NS_24const_host_device_scalarIT1_EES1_PKS1_PKT2_SA_S7_PKT4_PKT5_S5_PT6_21rocsparse_index_base_b,comdat
	.globl	_ZN9rocsparseL18bsrxmvn_4x4_kernelILj128ELj4EfiiDF16_DF16_fEEvT3_20rocsparse_direction_NS_24const_host_device_scalarIT1_EES1_PKS1_PKT2_SA_S7_PKT4_PKT5_S5_PT6_21rocsparse_index_base_b ; -- Begin function _ZN9rocsparseL18bsrxmvn_4x4_kernelILj128ELj4EfiiDF16_DF16_fEEvT3_20rocsparse_direction_NS_24const_host_device_scalarIT1_EES1_PKS1_PKT2_SA_S7_PKT4_PKT5_S5_PT6_21rocsparse_index_base_b
	.p2align	8
	.type	_ZN9rocsparseL18bsrxmvn_4x4_kernelILj128ELj4EfiiDF16_DF16_fEEvT3_20rocsparse_direction_NS_24const_host_device_scalarIT1_EES1_PKS1_PKT2_SA_S7_PKT4_PKT5_S5_PT6_21rocsparse_index_base_b,@function
_ZN9rocsparseL18bsrxmvn_4x4_kernelILj128ELj4EfiiDF16_DF16_fEEvT3_20rocsparse_direction_NS_24const_host_device_scalarIT1_EES1_PKS1_PKT2_SA_S7_PKT4_PKT5_S5_PT6_21rocsparse_index_base_b: ; @_ZN9rocsparseL18bsrxmvn_4x4_kernelILj128ELj4EfiiDF16_DF16_fEEvT3_20rocsparse_direction_NS_24const_host_device_scalarIT1_EES1_PKS1_PKT2_SA_S7_PKT4_PKT5_S5_PT6_21rocsparse_index_base_b
; %bb.0:
	s_clause 0x2
	s_load_dwordx2 s[18:19], s[4:5], 0x58
	s_load_dwordx2 s[16:17], s[4:5], 0x8
	;; [unrolled: 1-line block ×3, first 2 shown]
	s_waitcnt lgkmcnt(0)
	s_bitcmp1_b32 s19, 0
	s_cselect_b32 s0, -1, 0
	s_and_b32 vcc_lo, exec_lo, s0
	s_xor_b32 s0, s0, -1
	s_cbranch_vccnz .LBB90_2
; %bb.1:
	s_load_dword s16, s[16:17], 0x0
.LBB90_2:
	s_andn2_b32 vcc_lo, exec_lo, s0
	s_cbranch_vccnz .LBB90_4
; %bb.3:
	s_load_dword s2, s[2:3], 0x0
.LBB90_4:
	s_waitcnt lgkmcnt(0)
	v_cmp_neq_f32_e64 s0, s16, 0
	v_cmp_neq_f32_e64 s1, s2, 1.0
	s_mov_b32 s3, 0
	s_or_b32 s0, s0, s1
	s_andn2_b32 vcc_lo, exec_lo, s0
	s_cbranch_vccnz .LBB90_10
; %bb.5:
	s_clause 0x1
	s_load_dwordx2 s[8:9], s[4:5], 0x18
	s_load_dwordx2 s[0:1], s[4:5], 0x0
	v_lshrrev_b32_e32 v1, 2, v0
	v_lshl_or_b32 v4, s6, 5, v1
	s_waitcnt lgkmcnt(0)
	s_cmp_lg_u64 s[8:9], 0
	s_cbranch_scc0 .LBB90_11
; %bb.6:
	s_load_dword s3, s[4:5], 0x10
	s_mov_b32 s6, 0
                                        ; implicit-def: $vgpr1
	s_waitcnt lgkmcnt(0)
	v_cmp_gt_i32_e32 vcc_lo, s3, v4
	s_mov_b32 s3, 0
	s_and_saveexec_b32 s7, vcc_lo
	s_xor_b32 s7, exec_lo, s7
	s_cbranch_execz .LBB90_8
; %bb.7:
	v_ashrrev_i32_e32 v5, 31, v4
	s_mov_b32 s3, exec_lo
	v_lshlrev_b64 v[1:2], 2, v[4:5]
	v_add_co_u32 v1, vcc_lo, s8, v1
	v_add_co_ci_u32_e64 v2, null, s9, v2, vcc_lo
	global_load_dword v1, v[1:2], off
	s_waitcnt vmcnt(0)
	v_subrev_nc_u32_e32 v1, s18, v1
.LBB90_8:
	s_or_b32 exec_lo, exec_lo, s7
	s_and_b32 vcc_lo, exec_lo, s6
	s_cbranch_vccz .LBB90_12
.LBB90_9:
	v_cmp_gt_i32_e32 vcc_lo, s0, v4
	s_andn2_b32 s0, s3, exec_lo
	s_and_b32 s3, vcc_lo, exec_lo
	s_or_b32 s3, s0, s3
	s_and_saveexec_b32 s0, s3
	s_cbranch_execnz .LBB90_13
.LBB90_10:
	s_endpgm
.LBB90_11:
                                        ; implicit-def: $vgpr1
	s_cbranch_execnz .LBB90_9
.LBB90_12:
	v_mov_b32_e32 v4, v1
	s_and_saveexec_b32 s0, s3
	s_cbranch_execz .LBB90_10
.LBB90_13:
	s_load_dwordx8 s[8:15], s[4:5], 0x20
	v_ashrrev_i32_e32 v5, 31, v4
	v_and_b32_e32 v9, 3, v0
	s_load_dwordx2 s[6:7], s[4:5], 0x40
	v_lshlrev_b64 v[1:2], 2, v[4:5]
	s_waitcnt lgkmcnt(0)
	v_add_co_u32 v5, vcc_lo, s8, v1
	v_add_co_ci_u32_e64 v6, null, s9, v2, vcc_lo
	v_add_co_u32 v1, vcc_lo, s10, v1
	v_add_co_ci_u32_e64 v2, null, s11, v2, vcc_lo
	global_load_dword v15, v[5:6], off
	v_add_co_u32 v3, vcc_lo, v5, 4
	v_add_co_ci_u32_e64 v5, null, 0, v6, vcc_lo
	s_cmp_eq_u64 s[10:11], 0
	s_cselect_b32 vcc_lo, -1, 0
	s_cmp_eq_u32 s1, 1
	v_cndmask_b32_e32 v2, v2, v5, vcc_lo
	v_cndmask_b32_e32 v1, v1, v3, vcc_lo
	global_load_dword v5, v[1:2], off
	s_waitcnt vmcnt(1)
	v_subrev_nc_u32_e32 v0, s18, v15
	v_add_nc_u32_e32 v0, v0, v9
	v_ashrrev_i32_e32 v1, 31, v0
	s_waitcnt vmcnt(0)
	v_subrev_nc_u32_e32 v10, s18, v5
	v_lshlrev_b64 v[2:3], 5, v[0:1]
	v_cmp_lt_i32_e64 s0, v0, v10
	v_add_co_u32 v2, vcc_lo, s14, v2
	v_add_co_ci_u32_e64 v3, null, s15, v3, vcc_lo
	s_cbranch_scc1 .LBB90_25
; %bb.14:
	v_mov_b32_e32 v11, 0
	v_mov_b32_e32 v13, 0
	;; [unrolled: 1-line block ×4, first 2 shown]
	s_and_saveexec_b32 s1, s0
	s_cbranch_execz .LBB90_24
; %bb.15:
	v_add_nc_u32_e32 v1, v15, v9
	v_not_b32_e32 v5, v15
	v_mov_b32_e32 v8, v3
	v_mov_b32_e32 v12, 0
	v_mov_b32_e32 v14, 0
	v_subrev_nc_u32_e32 v1, s18, v1
	v_mov_b32_e32 v13, 0
	v_mov_b32_e32 v11, 0
	;; [unrolled: 1-line block ×3, first 2 shown]
	s_mov_b32 s3, exec_lo
	v_add_nc_u32_e32 v1, 4, v1
	v_max_i32_e32 v1, v1, v10
	v_add3_u32 v1, s18, v1, v5
	v_mov_b32_e32 v5, v0
	v_sub_nc_u32_e32 v1, v1, v9
	v_and_b32_e32 v6, 12, v1
	v_cmpx_ne_u32_e32 12, v6
	s_cbranch_execz .LBB90_19
; %bb.16:
	v_lshrrev_b32_e32 v5, 2, v1
	v_mov_b32_e32 v8, v3
	v_mov_b32_e32 v11, 0
	;; [unrolled: 1-line block ×4, first 2 shown]
	v_add_nc_u32_e32 v5, 1, v5
	v_mov_b32_e32 v14, 0
	v_mov_b32_e32 v12, 0
	s_mov_b32 s8, 0
	v_and_b32_e32 v6, 3, v5
	v_mov_b32_e32 v5, v0
	v_sub_nc_u32_e32 v16, 0, v6
.LBB90_17:                              ; =>This Inner Loop Header: Depth=1
	v_ashrrev_i32_e32 v6, 31, v5
	v_add_co_u32 v16, s9, v16, 1
	s_or_b32 s8, s9, s8
	v_lshlrev_b64 v[17:18], 2, v[5:6]
	v_add_nc_u32_e32 v5, 4, v5
	v_add_co_u32 v17, vcc_lo, s12, v17
	v_add_co_ci_u32_e64 v18, null, s13, v18, vcc_lo
	global_load_dword v6, v[17:18], off
	s_clause 0x1
	global_load_dwordx4 v[17:20], v[7:8], off
	global_load_dwordx4 v[21:24], v[7:8], off offset:16
	s_waitcnt vmcnt(2)
	v_subrev_nc_u32_e32 v6, s18, v6
	v_lshlrev_b32_e32 v25, 2, v6
	v_ashrrev_i32_e32 v26, 31, v25
	v_lshlrev_b64 v[25:26], 1, v[25:26]
	v_add_co_u32 v25, vcc_lo, s6, v25
	v_add_co_ci_u32_e64 v26, null, s7, v26, vcc_lo
	v_add_co_u32 v7, vcc_lo, 0x80, v7
	v_add_co_ci_u32_e64 v8, null, 0, v8, vcc_lo
	global_load_dwordx2 v[25:26], v[25:26], off
	s_waitcnt vmcnt(0)
	v_fma_mix_f32 v6, v17, v25, v12 op_sel_hi:[1,1,0]
	v_fma_mix_f32 v12, v19, v25, v14 op_sel_hi:[1,1,0]
	v_fma_mix_f32 v13, v21, v25, v13 op_sel_hi:[1,1,0]
	v_fma_mix_f32 v11, v23, v25, v11 op_sel_hi:[1,1,0]
	v_fma_mix_f32 v6, v17, v25, v6 op_sel:[1,1,0] op_sel_hi:[1,1,0]
	v_fma_mix_f32 v12, v19, v25, v12 op_sel:[1,1,0] op_sel_hi:[1,1,0]
	;; [unrolled: 1-line block ×4, first 2 shown]
	v_fma_mix_f32 v6, v18, v26, v6 op_sel_hi:[1,1,0]
	v_fma_mix_f32 v14, v20, v26, v12 op_sel_hi:[1,1,0]
	;; [unrolled: 1-line block ×4, first 2 shown]
	v_fma_mix_f32 v12, v18, v26, v6 op_sel:[1,1,0] op_sel_hi:[1,1,0]
	v_fma_mix_f32 v14, v20, v26, v14 op_sel:[1,1,0] op_sel_hi:[1,1,0]
	;; [unrolled: 1-line block ×4, first 2 shown]
	s_andn2_b32 exec_lo, exec_lo, s8
	s_cbranch_execnz .LBB90_17
; %bb.18:
	s_or_b32 exec_lo, exec_lo, s8
.LBB90_19:
	s_or_b32 exec_lo, exec_lo, s3
	s_mov_b32 s3, exec_lo
	v_cmpx_lt_u32_e32 11, v1
	s_cbranch_execz .LBB90_23
; %bb.20:
	s_mov_b32 s8, 0
.LBB90_21:                              ; =>This Inner Loop Header: Depth=1
	v_ashrrev_i32_e32 v6, 31, v5
	v_lshlrev_b64 v[16:17], 2, v[5:6]
	v_add_nc_u32_e32 v5, 16, v5
	v_add_co_u32 v16, vcc_lo, s12, v16
	v_add_co_ci_u32_e64 v17, null, s13, v17, vcc_lo
	s_clause 0x3
	global_load_dword v1, v[16:17], off
	global_load_dword v6, v[16:17], off offset:16
	global_load_dword v48, v[16:17], off offset:32
	;; [unrolled: 1-line block ×3, first 2 shown]
	s_clause 0x7
	global_load_dwordx4 v[16:19], v[7:8], off
	global_load_dwordx4 v[20:23], v[7:8], off offset:16
	global_load_dwordx4 v[24:27], v[7:8], off offset:128
	global_load_dwordx4 v[28:31], v[7:8], off offset:144
	global_load_dwordx4 v[32:35], v[7:8], off offset:256
	global_load_dwordx4 v[36:39], v[7:8], off offset:272
	global_load_dwordx4 v[40:43], v[7:8], off offset:384
	global_load_dwordx4 v[44:47], v[7:8], off offset:400
	s_waitcnt vmcnt(11)
	v_subrev_nc_u32_e32 v1, s18, v1
	s_waitcnt vmcnt(10)
	v_subrev_nc_u32_e32 v6, s18, v6
	;; [unrolled: 2-line block ×4, first 2 shown]
	v_lshlrev_b32_e32 v48, 2, v1
	v_lshlrev_b32_e32 v50, 2, v6
	;; [unrolled: 1-line block ×4, first 2 shown]
	v_ashrrev_i32_e32 v49, 31, v48
	v_ashrrev_i32_e32 v51, 31, v50
	;; [unrolled: 1-line block ×4, first 2 shown]
	v_lshlrev_b64 v[48:49], 1, v[48:49]
	v_lshlrev_b64 v[50:51], 1, v[50:51]
	;; [unrolled: 1-line block ×4, first 2 shown]
	v_add_co_u32 v48, vcc_lo, s6, v48
	v_add_co_ci_u32_e64 v49, null, s7, v49, vcc_lo
	v_add_co_u32 v50, vcc_lo, s6, v50
	v_add_co_ci_u32_e64 v51, null, s7, v51, vcc_lo
	global_load_dwordx2 v[48:49], v[48:49], off
	v_add_co_u32 v52, vcc_lo, s6, v52
	global_load_dwordx2 v[50:51], v[50:51], off
	v_add_co_ci_u32_e64 v53, null, s7, v53, vcc_lo
	v_add_co_u32 v54, vcc_lo, s6, v54
	v_add_co_ci_u32_e64 v55, null, s7, v55, vcc_lo
	global_load_dwordx2 v[52:53], v[52:53], off
	v_add_co_u32 v7, vcc_lo, 0x200, v7
	global_load_dwordx2 v[54:55], v[54:55], off
	v_add_co_ci_u32_e64 v8, null, 0, v8, vcc_lo
	v_cmp_ge_i32_e32 vcc_lo, v5, v10
	s_or_b32 s8, vcc_lo, s8
	s_waitcnt vmcnt(3)
	v_fma_mix_f32 v1, v16, v48, v12 op_sel_hi:[1,1,0]
	v_fma_mix_f32 v6, v18, v48, v14 op_sel_hi:[1,1,0]
	v_fma_mix_f32 v12, v20, v48, v13 op_sel_hi:[1,1,0]
	v_fma_mix_f32 v11, v22, v48, v11 op_sel_hi:[1,1,0]
	v_fma_mix_f32 v1, v16, v48, v1 op_sel:[1,1,0] op_sel_hi:[1,1,0]
	v_fma_mix_f32 v6, v18, v48, v6 op_sel:[1,1,0] op_sel_hi:[1,1,0]
	v_fma_mix_f32 v12, v20, v48, v12 op_sel:[1,1,0] op_sel_hi:[1,1,0]
	v_fma_mix_f32 v11, v22, v48, v11 op_sel:[1,1,0] op_sel_hi:[1,1,0]
	v_fma_mix_f32 v1, v17, v49, v1 op_sel_hi:[1,1,0]
	v_fma_mix_f32 v6, v19, v49, v6 op_sel_hi:[1,1,0]
	v_fma_mix_f32 v12, v21, v49, v12 op_sel_hi:[1,1,0]
	v_fma_mix_f32 v11, v23, v49, v11 op_sel_hi:[1,1,0]
	v_fma_mix_f32 v1, v17, v49, v1 op_sel:[1,1,0] op_sel_hi:[1,1,0]
	v_fma_mix_f32 v6, v19, v49, v6 op_sel:[1,1,0] op_sel_hi:[1,1,0]
	v_fma_mix_f32 v12, v21, v49, v12 op_sel:[1,1,0] op_sel_hi:[1,1,0]
	v_fma_mix_f32 v11, v23, v49, v11 op_sel:[1,1,0] op_sel_hi:[1,1,0]
	s_waitcnt vmcnt(2)
	v_fma_mix_f32 v1, v24, v50, v1 op_sel_hi:[1,1,0]
	v_fma_mix_f32 v6, v26, v50, v6 op_sel_hi:[1,1,0]
	v_fma_mix_f32 v12, v28, v50, v12 op_sel_hi:[1,1,0]
	v_fma_mix_f32 v11, v30, v50, v11 op_sel_hi:[1,1,0]
	v_fma_mix_f32 v1, v24, v50, v1 op_sel:[1,1,0] op_sel_hi:[1,1,0]
	v_fma_mix_f32 v6, v26, v50, v6 op_sel:[1,1,0] op_sel_hi:[1,1,0]
	v_fma_mix_f32 v12, v28, v50, v12 op_sel:[1,1,0] op_sel_hi:[1,1,0]
	v_fma_mix_f32 v11, v30, v50, v11 op_sel:[1,1,0] op_sel_hi:[1,1,0]
	v_fma_mix_f32 v1, v25, v51, v1 op_sel_hi:[1,1,0]
	v_fma_mix_f32 v6, v27, v51, v6 op_sel_hi:[1,1,0]
	v_fma_mix_f32 v12, v29, v51, v12 op_sel_hi:[1,1,0]
	v_fma_mix_f32 v11, v31, v51, v11 op_sel_hi:[1,1,0]
	v_fma_mix_f32 v1, v25, v51, v1 op_sel:[1,1,0] op_sel_hi:[1,1,0]
	v_fma_mix_f32 v6, v27, v51, v6 op_sel:[1,1,0] op_sel_hi:[1,1,0]
	v_fma_mix_f32 v12, v29, v51, v12 op_sel:[1,1,0] op_sel_hi:[1,1,0]
	v_fma_mix_f32 v11, v31, v51, v11 op_sel:[1,1,0] op_sel_hi:[1,1,0]
	;; [unrolled: 17-line block ×4, first 2 shown]
	s_andn2_b32 exec_lo, exec_lo, s8
	s_cbranch_execnz .LBB90_21
; %bb.22:
	s_or_b32 exec_lo, exec_lo, s8
.LBB90_23:
	s_or_b32 exec_lo, exec_lo, s3
.LBB90_24:
	s_or_b32 exec_lo, exec_lo, s1
	s_cbranch_execz .LBB90_26
	s_branch .LBB90_37
.LBB90_25:
                                        ; implicit-def: $vgpr11
                                        ; implicit-def: $vgpr13
                                        ; implicit-def: $vgpr14
                                        ; implicit-def: $vgpr12
.LBB90_26:
	v_mov_b32_e32 v11, 0
	v_mov_b32_e32 v13, 0
	;; [unrolled: 1-line block ×4, first 2 shown]
	s_and_saveexec_b32 s1, s0
	s_cbranch_execz .LBB90_36
; %bb.27:
	v_add_nc_u32_e32 v1, v15, v9
	v_not_b32_e32 v5, v15
	v_mov_b32_e32 v12, 0
	v_mov_b32_e32 v14, 0
	;; [unrolled: 1-line block ×3, first 2 shown]
	v_subrev_nc_u32_e32 v1, s18, v1
	v_mov_b32_e32 v11, 0
	s_mov_b32 s0, exec_lo
	v_add_nc_u32_e32 v1, 4, v1
	v_max_i32_e32 v1, v1, v10
	v_add3_u32 v1, s18, v1, v5
	v_sub_nc_u32_e32 v5, v1, v9
	v_and_b32_e32 v1, 12, v5
	v_cmpx_ne_u32_e32 12, v1
	s_cbranch_execz .LBB90_31
; %bb.28:
	v_lshrrev_b32_e32 v1, 2, v5
	v_mov_b32_e32 v11, 0
	v_mov_b32_e32 v13, 0
	;; [unrolled: 1-line block ×4, first 2 shown]
	v_add_nc_u32_e32 v1, 1, v1
	s_mov_b32 s3, 0
	v_and_b32_e32 v1, 3, v1
	v_sub_nc_u32_e32 v6, 0, v1
.LBB90_29:                              ; =>This Inner Loop Header: Depth=1
	v_ashrrev_i32_e32 v1, 31, v0
	v_add_co_u32 v6, s8, v6, 1
	s_or_b32 s3, s8, s3
	v_lshlrev_b64 v[7:8], 2, v[0:1]
	v_add_nc_u32_e32 v0, 4, v0
	v_add_co_u32 v7, vcc_lo, s12, v7
	v_add_co_ci_u32_e64 v8, null, s13, v8, vcc_lo
	global_load_dword v1, v[7:8], off
	global_load_dwordx4 v[15:18], v[2:3], off
	s_waitcnt vmcnt(1)
	v_subrev_nc_u32_e32 v1, s18, v1
	v_lshlrev_b32_e32 v7, 2, v1
	v_ashrrev_i32_e32 v8, 31, v7
	v_lshlrev_b64 v[7:8], 1, v[7:8]
	v_add_co_u32 v7, vcc_lo, s6, v7
	v_add_co_ci_u32_e64 v8, null, s7, v8, vcc_lo
	global_load_dwordx2 v[7:8], v[7:8], off
	global_load_dwordx4 v[19:22], v[2:3], off offset:16
	v_add_co_u32 v2, vcc_lo, 0x80, v2
	v_add_co_ci_u32_e64 v3, null, 0, v3, vcc_lo
	s_waitcnt vmcnt(1)
	v_fma_mix_f32 v1, v15, v7, v12 op_sel_hi:[1,1,0]
	v_fma_mix_f32 v12, v15, v7, v14 op_sel:[1,0,0] op_sel_hi:[1,1,0]
	v_fma_mix_f32 v13, v16, v7, v13 op_sel_hi:[1,1,0]
	v_fma_mix_f32 v11, v16, v7, v11 op_sel:[1,0,0] op_sel_hi:[1,1,0]
	v_fma_mix_f32 v1, v17, v7, v1 op_sel:[0,1,0] op_sel_hi:[1,1,0]
	;; [unrolled: 1-line block ×5, first 2 shown]
	s_waitcnt vmcnt(0)
	v_fma_mix_f32 v1, v19, v8, v1 op_sel_hi:[1,1,0]
	v_fma_mix_f32 v11, v19, v8, v12 op_sel:[1,0,0] op_sel_hi:[1,1,0]
	v_fma_mix_f32 v13, v20, v8, v13 op_sel_hi:[1,1,0]
	v_fma_mix_f32 v7, v20, v8, v7 op_sel:[1,0,0] op_sel_hi:[1,1,0]
	v_fma_mix_f32 v12, v21, v8, v1 op_sel:[0,1,0] op_sel_hi:[1,1,0]
	;; [unrolled: 1-line block ×5, first 2 shown]
	s_andn2_b32 exec_lo, exec_lo, s3
	s_cbranch_execnz .LBB90_29
; %bb.30:
	s_or_b32 exec_lo, exec_lo, s3
.LBB90_31:
	s_or_b32 exec_lo, exec_lo, s0
	s_mov_b32 s0, exec_lo
	v_cmpx_lt_u32_e32 11, v5
	s_cbranch_execz .LBB90_35
; %bb.32:
	s_mov_b32 s3, 0
.LBB90_33:                              ; =>This Inner Loop Header: Depth=1
	v_ashrrev_i32_e32 v1, 31, v0
	v_lshlrev_b64 v[5:6], 2, v[0:1]
	v_add_nc_u32_e32 v0, 16, v0
	v_add_co_u32 v5, vcc_lo, s12, v5
	v_add_co_ci_u32_e64 v6, null, s13, v6, vcc_lo
	s_clause 0x3
	global_load_dword v1, v[5:6], off
	global_load_dword v39, v[5:6], off offset:16
	global_load_dword v40, v[5:6], off offset:32
	;; [unrolled: 1-line block ×3, first 2 shown]
	s_clause 0x6
	global_load_dwordx4 v[5:8], v[2:3], off
	global_load_dwordx4 v[15:18], v[2:3], off offset:16
	global_load_dwordx4 v[19:22], v[2:3], off offset:128
	;; [unrolled: 1-line block ×6, first 2 shown]
	s_waitcnt vmcnt(10)
	v_subrev_nc_u32_e32 v1, s18, v1
	s_waitcnt vmcnt(9)
	v_subrev_nc_u32_e32 v42, s18, v39
	;; [unrolled: 2-line block ×4, first 2 shown]
	v_lshlrev_b32_e32 v39, 2, v1
	v_lshlrev_b32_e32 v41, 2, v42
	;; [unrolled: 1-line block ×4, first 2 shown]
	v_ashrrev_i32_e32 v40, 31, v39
	v_ashrrev_i32_e32 v42, 31, v41
	;; [unrolled: 1-line block ×4, first 2 shown]
	v_lshlrev_b64 v[39:40], 1, v[39:40]
	v_add_co_u32 v39, vcc_lo, s6, v39
	v_add_co_ci_u32_e64 v40, null, s7, v40, vcc_lo
	global_load_dwordx2 v[47:48], v[39:40], off
	v_lshlrev_b64 v[39:40], 1, v[41:42]
	v_add_co_u32 v39, vcc_lo, s6, v39
	v_add_co_ci_u32_e64 v40, null, s7, v40, vcc_lo
	global_load_dwordx2 v[49:50], v[39:40], off
	;; [unrolled: 4-line block ×4, first 2 shown]
	global_load_dwordx4 v[39:42], v[2:3], off offset:400
	v_add_co_u32 v2, vcc_lo, 0x200, v2
	v_add_co_ci_u32_e64 v3, null, 0, v3, vcc_lo
	v_cmp_ge_i32_e32 vcc_lo, v0, v10
	s_or_b32 s3, vcc_lo, s3
	s_waitcnt vmcnt(4)
	v_fma_mix_f32 v1, v5, v47, v12 op_sel_hi:[1,1,0]
	v_fma_mix_f32 v5, v5, v47, v14 op_sel:[1,0,0] op_sel_hi:[1,1,0]
	v_fma_mix_f32 v12, v6, v47, v13 op_sel_hi:[1,1,0]
	v_fma_mix_f32 v6, v6, v47, v11 op_sel:[1,0,0] op_sel_hi:[1,1,0]
	v_fma_mix_f32 v1, v7, v47, v1 op_sel:[0,1,0] op_sel_hi:[1,1,0]
	v_fma_mix_f32 v5, v7, v47, v5 op_sel:[1,1,0] op_sel_hi:[1,1,0]
	v_fma_mix_f32 v7, v8, v47, v12 op_sel:[0,1,0] op_sel_hi:[1,1,0]
	v_fma_mix_f32 v6, v8, v47, v6 op_sel:[1,1,0] op_sel_hi:[1,1,0]
	v_fma_mix_f32 v1, v15, v48, v1 op_sel_hi:[1,1,0]
	v_fma_mix_f32 v5, v15, v48, v5 op_sel:[1,0,0] op_sel_hi:[1,1,0]
	v_fma_mix_f32 v7, v16, v48, v7 op_sel_hi:[1,1,0]
	v_fma_mix_f32 v6, v16, v48, v6 op_sel:[1,0,0] op_sel_hi:[1,1,0]
	v_fma_mix_f32 v1, v17, v48, v1 op_sel:[0,1,0] op_sel_hi:[1,1,0]
	v_fma_mix_f32 v5, v17, v48, v5 op_sel:[1,1,0] op_sel_hi:[1,1,0]
	v_fma_mix_f32 v7, v18, v48, v7 op_sel:[0,1,0] op_sel_hi:[1,1,0]
	v_fma_mix_f32 v6, v18, v48, v6 op_sel:[1,1,0] op_sel_hi:[1,1,0]
	s_waitcnt vmcnt(3)
	v_fma_mix_f32 v1, v19, v49, v1 op_sel_hi:[1,1,0]
	v_fma_mix_f32 v5, v19, v49, v5 op_sel:[1,0,0] op_sel_hi:[1,1,0]
	v_fma_mix_f32 v7, v20, v49, v7 op_sel_hi:[1,1,0]
	v_fma_mix_f32 v6, v20, v49, v6 op_sel:[1,0,0] op_sel_hi:[1,1,0]
	v_fma_mix_f32 v1, v21, v49, v1 op_sel:[0,1,0] op_sel_hi:[1,1,0]
	v_fma_mix_f32 v5, v21, v49, v5 op_sel:[1,1,0] op_sel_hi:[1,1,0]
	v_fma_mix_f32 v7, v22, v49, v7 op_sel:[0,1,0] op_sel_hi:[1,1,0]
	v_fma_mix_f32 v6, v22, v49, v6 op_sel:[1,1,0] op_sel_hi:[1,1,0]
	v_fma_mix_f32 v1, v23, v50, v1 op_sel_hi:[1,1,0]
	v_fma_mix_f32 v5, v23, v50, v5 op_sel:[1,0,0] op_sel_hi:[1,1,0]
	v_fma_mix_f32 v7, v24, v50, v7 op_sel_hi:[1,1,0]
	v_fma_mix_f32 v6, v24, v50, v6 op_sel:[1,0,0] op_sel_hi:[1,1,0]
	v_fma_mix_f32 v1, v25, v50, v1 op_sel:[0,1,0] op_sel_hi:[1,1,0]
	v_fma_mix_f32 v5, v25, v50, v5 op_sel:[1,1,0] op_sel_hi:[1,1,0]
	v_fma_mix_f32 v7, v26, v50, v7 op_sel:[0,1,0] op_sel_hi:[1,1,0]
	v_fma_mix_f32 v6, v26, v50, v6 op_sel:[1,1,0] op_sel_hi:[1,1,0]
	;; [unrolled: 17-line block ×3, first 2 shown]
	s_waitcnt vmcnt(1)
	v_fma_mix_f32 v1, v35, v45, v1 op_sel_hi:[1,1,0]
	v_fma_mix_f32 v5, v35, v45, v5 op_sel:[1,0,0] op_sel_hi:[1,1,0]
	v_fma_mix_f32 v7, v36, v45, v7 op_sel_hi:[1,1,0]
	v_fma_mix_f32 v6, v36, v45, v6 op_sel:[1,0,0] op_sel_hi:[1,1,0]
	v_fma_mix_f32 v1, v37, v45, v1 op_sel:[0,1,0] op_sel_hi:[1,1,0]
	;; [unrolled: 1-line block ×5, first 2 shown]
	s_waitcnt vmcnt(0)
	v_fma_mix_f32 v1, v39, v46, v1 op_sel_hi:[1,1,0]
	v_fma_mix_f32 v5, v39, v46, v5 op_sel:[1,0,0] op_sel_hi:[1,1,0]
	v_fma_mix_f32 v7, v40, v46, v7 op_sel_hi:[1,1,0]
	v_fma_mix_f32 v6, v40, v46, v6 op_sel:[1,0,0] op_sel_hi:[1,1,0]
	v_fma_mix_f32 v12, v41, v46, v1 op_sel:[0,1,0] op_sel_hi:[1,1,0]
	;; [unrolled: 1-line block ×5, first 2 shown]
	s_andn2_b32 exec_lo, exec_lo, s3
	s_cbranch_execnz .LBB90_33
; %bb.34:
	s_or_b32 exec_lo, exec_lo, s3
.LBB90_35:
	s_or_b32 exec_lo, exec_lo, s0
.LBB90_36:
	s_or_b32 exec_lo, exec_lo, s1
.LBB90_37:
	v_mbcnt_lo_u32_b32 v0, -1, 0
	s_mov_b32 s3, -1
	v_xor_b32_e32 v1, 2, v0
	v_cmp_gt_i32_e32 vcc_lo, 32, v1
	v_cndmask_b32_e32 v1, v0, v1, vcc_lo
	v_lshlrev_b32_e32 v1, 2, v1
	ds_bpermute_b32 v2, v1, v12
	ds_bpermute_b32 v3, v1, v14
	;; [unrolled: 1-line block ×4, first 2 shown]
	v_xor_b32_e32 v1, 1, v0
	v_cmp_gt_i32_e32 vcc_lo, 32, v1
	v_cndmask_b32_e32 v0, v0, v1, vcc_lo
	v_cmp_eq_u32_e32 vcc_lo, 3, v9
	v_lshlrev_b32_e32 v8, 2, v0
	s_waitcnt lgkmcnt(3)
	v_add_f32_e32 v0, v12, v2
	s_waitcnt lgkmcnt(2)
	v_add_f32_e32 v1, v14, v3
	;; [unrolled: 2-line block ×4, first 2 shown]
	ds_bpermute_b32 v5, v8, v0
	ds_bpermute_b32 v6, v8, v1
	;; [unrolled: 1-line block ×4, first 2 shown]
	s_and_b32 exec_lo, exec_lo, vcc_lo
	s_cbranch_execz .LBB90_10
; %bb.38:
	s_load_dwordx2 s[0:1], s[4:5], 0x50
	s_waitcnt lgkmcnt(0)
	v_add_f32_e32 v0, v0, v5
	v_add_f32_e32 v1, v1, v6
	;; [unrolled: 1-line block ×4, first 2 shown]
	v_cmp_eq_f32_e64 s4, s2, 0
	v_mul_f32_e32 v0, s16, v0
	v_mul_f32_e32 v1, s16, v1
	;; [unrolled: 1-line block ×4, first 2 shown]
	v_lshlrev_b32_e32 v4, 2, v4
	s_and_b32 vcc_lo, exec_lo, s4
	s_cbranch_vccz .LBB90_40
; %bb.39:
	v_ashrrev_i32_e32 v5, 31, v4
	s_mov_b32 s3, 0
	v_lshlrev_b64 v[5:6], 2, v[4:5]
	v_add_co_u32 v5, vcc_lo, s0, v5
	v_add_co_ci_u32_e64 v6, null, s1, v6, vcc_lo
	global_store_dwordx4 v[5:6], v[0:3], off
.LBB90_40:
	s_andn2_b32 vcc_lo, exec_lo, s3
	s_cbranch_vccnz .LBB90_10
; %bb.41:
	v_ashrrev_i32_e32 v5, 31, v4
	v_lshlrev_b64 v[4:5], 2, v[4:5]
	v_add_co_u32 v8, vcc_lo, s0, v4
	v_add_co_ci_u32_e64 v9, null, s1, v5, vcc_lo
	global_load_dwordx4 v[4:7], v[8:9], off
	s_waitcnt vmcnt(0)
	v_fmac_f32_e32 v0, s2, v4
	v_fmac_f32_e32 v1, s2, v5
	;; [unrolled: 1-line block ×4, first 2 shown]
	global_store_dwordx4 v[8:9], v[0:3], off
	s_endpgm
	.section	.rodata,"a",@progbits
	.p2align	6, 0x0
	.amdhsa_kernel _ZN9rocsparseL18bsrxmvn_4x4_kernelILj128ELj4EfiiDF16_DF16_fEEvT3_20rocsparse_direction_NS_24const_host_device_scalarIT1_EES1_PKS1_PKT2_SA_S7_PKT4_PKT5_S5_PT6_21rocsparse_index_base_b
		.amdhsa_group_segment_fixed_size 0
		.amdhsa_private_segment_fixed_size 0
		.amdhsa_kernarg_size 96
		.amdhsa_user_sgpr_count 6
		.amdhsa_user_sgpr_private_segment_buffer 1
		.amdhsa_user_sgpr_dispatch_ptr 0
		.amdhsa_user_sgpr_queue_ptr 0
		.amdhsa_user_sgpr_kernarg_segment_ptr 1
		.amdhsa_user_sgpr_dispatch_id 0
		.amdhsa_user_sgpr_flat_scratch_init 0
		.amdhsa_user_sgpr_private_segment_size 0
		.amdhsa_wavefront_size32 1
		.amdhsa_uses_dynamic_stack 0
		.amdhsa_system_sgpr_private_segment_wavefront_offset 0
		.amdhsa_system_sgpr_workgroup_id_x 1
		.amdhsa_system_sgpr_workgroup_id_y 0
		.amdhsa_system_sgpr_workgroup_id_z 0
		.amdhsa_system_sgpr_workgroup_info 0
		.amdhsa_system_vgpr_workitem_id 0
		.amdhsa_next_free_vgpr 56
		.amdhsa_next_free_sgpr 20
		.amdhsa_reserve_vcc 1
		.amdhsa_reserve_flat_scratch 0
		.amdhsa_float_round_mode_32 0
		.amdhsa_float_round_mode_16_64 0
		.amdhsa_float_denorm_mode_32 3
		.amdhsa_float_denorm_mode_16_64 3
		.amdhsa_dx10_clamp 1
		.amdhsa_ieee_mode 1
		.amdhsa_fp16_overflow 0
		.amdhsa_workgroup_processor_mode 1
		.amdhsa_memory_ordered 1
		.amdhsa_forward_progress 1
		.amdhsa_shared_vgpr_count 0
		.amdhsa_exception_fp_ieee_invalid_op 0
		.amdhsa_exception_fp_denorm_src 0
		.amdhsa_exception_fp_ieee_div_zero 0
		.amdhsa_exception_fp_ieee_overflow 0
		.amdhsa_exception_fp_ieee_underflow 0
		.amdhsa_exception_fp_ieee_inexact 0
		.amdhsa_exception_int_div_zero 0
	.end_amdhsa_kernel
	.section	.text._ZN9rocsparseL18bsrxmvn_4x4_kernelILj128ELj4EfiiDF16_DF16_fEEvT3_20rocsparse_direction_NS_24const_host_device_scalarIT1_EES1_PKS1_PKT2_SA_S7_PKT4_PKT5_S5_PT6_21rocsparse_index_base_b,"axG",@progbits,_ZN9rocsparseL18bsrxmvn_4x4_kernelILj128ELj4EfiiDF16_DF16_fEEvT3_20rocsparse_direction_NS_24const_host_device_scalarIT1_EES1_PKS1_PKT2_SA_S7_PKT4_PKT5_S5_PT6_21rocsparse_index_base_b,comdat
.Lfunc_end90:
	.size	_ZN9rocsparseL18bsrxmvn_4x4_kernelILj128ELj4EfiiDF16_DF16_fEEvT3_20rocsparse_direction_NS_24const_host_device_scalarIT1_EES1_PKS1_PKT2_SA_S7_PKT4_PKT5_S5_PT6_21rocsparse_index_base_b, .Lfunc_end90-_ZN9rocsparseL18bsrxmvn_4x4_kernelILj128ELj4EfiiDF16_DF16_fEEvT3_20rocsparse_direction_NS_24const_host_device_scalarIT1_EES1_PKS1_PKT2_SA_S7_PKT4_PKT5_S5_PT6_21rocsparse_index_base_b
                                        ; -- End function
	.set _ZN9rocsparseL18bsrxmvn_4x4_kernelILj128ELj4EfiiDF16_DF16_fEEvT3_20rocsparse_direction_NS_24const_host_device_scalarIT1_EES1_PKS1_PKT2_SA_S7_PKT4_PKT5_S5_PT6_21rocsparse_index_base_b.num_vgpr, 56
	.set _ZN9rocsparseL18bsrxmvn_4x4_kernelILj128ELj4EfiiDF16_DF16_fEEvT3_20rocsparse_direction_NS_24const_host_device_scalarIT1_EES1_PKS1_PKT2_SA_S7_PKT4_PKT5_S5_PT6_21rocsparse_index_base_b.num_agpr, 0
	.set _ZN9rocsparseL18bsrxmvn_4x4_kernelILj128ELj4EfiiDF16_DF16_fEEvT3_20rocsparse_direction_NS_24const_host_device_scalarIT1_EES1_PKS1_PKT2_SA_S7_PKT4_PKT5_S5_PT6_21rocsparse_index_base_b.numbered_sgpr, 20
	.set _ZN9rocsparseL18bsrxmvn_4x4_kernelILj128ELj4EfiiDF16_DF16_fEEvT3_20rocsparse_direction_NS_24const_host_device_scalarIT1_EES1_PKS1_PKT2_SA_S7_PKT4_PKT5_S5_PT6_21rocsparse_index_base_b.num_named_barrier, 0
	.set _ZN9rocsparseL18bsrxmvn_4x4_kernelILj128ELj4EfiiDF16_DF16_fEEvT3_20rocsparse_direction_NS_24const_host_device_scalarIT1_EES1_PKS1_PKT2_SA_S7_PKT4_PKT5_S5_PT6_21rocsparse_index_base_b.private_seg_size, 0
	.set _ZN9rocsparseL18bsrxmvn_4x4_kernelILj128ELj4EfiiDF16_DF16_fEEvT3_20rocsparse_direction_NS_24const_host_device_scalarIT1_EES1_PKS1_PKT2_SA_S7_PKT4_PKT5_S5_PT6_21rocsparse_index_base_b.uses_vcc, 1
	.set _ZN9rocsparseL18bsrxmvn_4x4_kernelILj128ELj4EfiiDF16_DF16_fEEvT3_20rocsparse_direction_NS_24const_host_device_scalarIT1_EES1_PKS1_PKT2_SA_S7_PKT4_PKT5_S5_PT6_21rocsparse_index_base_b.uses_flat_scratch, 0
	.set _ZN9rocsparseL18bsrxmvn_4x4_kernelILj128ELj4EfiiDF16_DF16_fEEvT3_20rocsparse_direction_NS_24const_host_device_scalarIT1_EES1_PKS1_PKT2_SA_S7_PKT4_PKT5_S5_PT6_21rocsparse_index_base_b.has_dyn_sized_stack, 0
	.set _ZN9rocsparseL18bsrxmvn_4x4_kernelILj128ELj4EfiiDF16_DF16_fEEvT3_20rocsparse_direction_NS_24const_host_device_scalarIT1_EES1_PKS1_PKT2_SA_S7_PKT4_PKT5_S5_PT6_21rocsparse_index_base_b.has_recursion, 0
	.set _ZN9rocsparseL18bsrxmvn_4x4_kernelILj128ELj4EfiiDF16_DF16_fEEvT3_20rocsparse_direction_NS_24const_host_device_scalarIT1_EES1_PKS1_PKT2_SA_S7_PKT4_PKT5_S5_PT6_21rocsparse_index_base_b.has_indirect_call, 0
	.section	.AMDGPU.csdata,"",@progbits
; Kernel info:
; codeLenInByte = 3508
; TotalNumSgprs: 22
; NumVgprs: 56
; ScratchSize: 0
; MemoryBound: 0
; FloatMode: 240
; IeeeMode: 1
; LDSByteSize: 0 bytes/workgroup (compile time only)
; SGPRBlocks: 0
; VGPRBlocks: 6
; NumSGPRsForWavesPerEU: 22
; NumVGPRsForWavesPerEU: 56
; Occupancy: 16
; WaveLimiterHint : 1
; COMPUTE_PGM_RSRC2:SCRATCH_EN: 0
; COMPUTE_PGM_RSRC2:USER_SGPR: 6
; COMPUTE_PGM_RSRC2:TRAP_HANDLER: 0
; COMPUTE_PGM_RSRC2:TGID_X_EN: 1
; COMPUTE_PGM_RSRC2:TGID_Y_EN: 0
; COMPUTE_PGM_RSRC2:TGID_Z_EN: 0
; COMPUTE_PGM_RSRC2:TIDIG_COMP_CNT: 0
	.section	.text._ZN9rocsparseL18bsrxmvn_4x4_kernelILj128ELj8EfiiDF16_DF16_fEEvT3_20rocsparse_direction_NS_24const_host_device_scalarIT1_EES1_PKS1_PKT2_SA_S7_PKT4_PKT5_S5_PT6_21rocsparse_index_base_b,"axG",@progbits,_ZN9rocsparseL18bsrxmvn_4x4_kernelILj128ELj8EfiiDF16_DF16_fEEvT3_20rocsparse_direction_NS_24const_host_device_scalarIT1_EES1_PKS1_PKT2_SA_S7_PKT4_PKT5_S5_PT6_21rocsparse_index_base_b,comdat
	.globl	_ZN9rocsparseL18bsrxmvn_4x4_kernelILj128ELj8EfiiDF16_DF16_fEEvT3_20rocsparse_direction_NS_24const_host_device_scalarIT1_EES1_PKS1_PKT2_SA_S7_PKT4_PKT5_S5_PT6_21rocsparse_index_base_b ; -- Begin function _ZN9rocsparseL18bsrxmvn_4x4_kernelILj128ELj8EfiiDF16_DF16_fEEvT3_20rocsparse_direction_NS_24const_host_device_scalarIT1_EES1_PKS1_PKT2_SA_S7_PKT4_PKT5_S5_PT6_21rocsparse_index_base_b
	.p2align	8
	.type	_ZN9rocsparseL18bsrxmvn_4x4_kernelILj128ELj8EfiiDF16_DF16_fEEvT3_20rocsparse_direction_NS_24const_host_device_scalarIT1_EES1_PKS1_PKT2_SA_S7_PKT4_PKT5_S5_PT6_21rocsparse_index_base_b,@function
_ZN9rocsparseL18bsrxmvn_4x4_kernelILj128ELj8EfiiDF16_DF16_fEEvT3_20rocsparse_direction_NS_24const_host_device_scalarIT1_EES1_PKS1_PKT2_SA_S7_PKT4_PKT5_S5_PT6_21rocsparse_index_base_b: ; @_ZN9rocsparseL18bsrxmvn_4x4_kernelILj128ELj8EfiiDF16_DF16_fEEvT3_20rocsparse_direction_NS_24const_host_device_scalarIT1_EES1_PKS1_PKT2_SA_S7_PKT4_PKT5_S5_PT6_21rocsparse_index_base_b
; %bb.0:
	s_clause 0x2
	s_load_dwordx2 s[18:19], s[4:5], 0x58
	s_load_dwordx2 s[16:17], s[4:5], 0x8
	;; [unrolled: 1-line block ×3, first 2 shown]
	s_waitcnt lgkmcnt(0)
	s_bitcmp1_b32 s19, 0
	s_cselect_b32 s0, -1, 0
	s_and_b32 vcc_lo, exec_lo, s0
	s_xor_b32 s0, s0, -1
	s_cbranch_vccnz .LBB91_2
; %bb.1:
	s_load_dword s16, s[16:17], 0x0
.LBB91_2:
	s_andn2_b32 vcc_lo, exec_lo, s0
	s_cbranch_vccnz .LBB91_4
; %bb.3:
	s_load_dword s2, s[2:3], 0x0
.LBB91_4:
	s_waitcnt lgkmcnt(0)
	v_cmp_neq_f32_e64 s0, s16, 0
	v_cmp_neq_f32_e64 s1, s2, 1.0
	s_mov_b32 s3, 0
	s_or_b32 s0, s0, s1
	s_andn2_b32 vcc_lo, exec_lo, s0
	s_cbranch_vccnz .LBB91_10
; %bb.5:
	s_clause 0x1
	s_load_dwordx2 s[8:9], s[4:5], 0x18
	s_load_dwordx2 s[0:1], s[4:5], 0x0
	v_lshrrev_b32_e32 v1, 3, v0
	v_lshl_or_b32 v4, s6, 4, v1
	s_waitcnt lgkmcnt(0)
	s_cmp_lg_u64 s[8:9], 0
	s_cbranch_scc0 .LBB91_11
; %bb.6:
	s_load_dword s3, s[4:5], 0x10
	s_mov_b32 s6, 0
                                        ; implicit-def: $vgpr1
	s_waitcnt lgkmcnt(0)
	v_cmp_gt_i32_e32 vcc_lo, s3, v4
	s_mov_b32 s3, 0
	s_and_saveexec_b32 s7, vcc_lo
	s_xor_b32 s7, exec_lo, s7
	s_cbranch_execz .LBB91_8
; %bb.7:
	v_ashrrev_i32_e32 v5, 31, v4
	s_mov_b32 s3, exec_lo
	v_lshlrev_b64 v[1:2], 2, v[4:5]
	v_add_co_u32 v1, vcc_lo, s8, v1
	v_add_co_ci_u32_e64 v2, null, s9, v2, vcc_lo
	global_load_dword v1, v[1:2], off
	s_waitcnt vmcnt(0)
	v_subrev_nc_u32_e32 v1, s18, v1
.LBB91_8:
	s_or_b32 exec_lo, exec_lo, s7
	s_and_b32 vcc_lo, exec_lo, s6
	s_cbranch_vccz .LBB91_12
.LBB91_9:
	v_cmp_gt_i32_e32 vcc_lo, s0, v4
	s_andn2_b32 s0, s3, exec_lo
	s_and_b32 s3, vcc_lo, exec_lo
	s_or_b32 s3, s0, s3
	s_and_saveexec_b32 s0, s3
	s_cbranch_execnz .LBB91_13
.LBB91_10:
	s_endpgm
.LBB91_11:
                                        ; implicit-def: $vgpr1
	s_cbranch_execnz .LBB91_9
.LBB91_12:
	v_mov_b32_e32 v4, v1
	s_and_saveexec_b32 s0, s3
	s_cbranch_execz .LBB91_10
.LBB91_13:
	s_load_dwordx8 s[8:15], s[4:5], 0x20
	v_ashrrev_i32_e32 v5, 31, v4
	v_and_b32_e32 v9, 7, v0
	s_load_dwordx2 s[6:7], s[4:5], 0x40
	v_lshlrev_b64 v[1:2], 2, v[4:5]
	s_waitcnt lgkmcnt(0)
	v_add_co_u32 v5, vcc_lo, s8, v1
	v_add_co_ci_u32_e64 v6, null, s9, v2, vcc_lo
	v_add_co_u32 v1, vcc_lo, s10, v1
	v_add_co_ci_u32_e64 v2, null, s11, v2, vcc_lo
	global_load_dword v15, v[5:6], off
	v_add_co_u32 v3, vcc_lo, v5, 4
	v_add_co_ci_u32_e64 v5, null, 0, v6, vcc_lo
	s_cmp_eq_u64 s[10:11], 0
	s_cselect_b32 vcc_lo, -1, 0
	s_cmp_eq_u32 s1, 1
	v_cndmask_b32_e32 v2, v2, v5, vcc_lo
	v_cndmask_b32_e32 v1, v1, v3, vcc_lo
	global_load_dword v5, v[1:2], off
	s_waitcnt vmcnt(1)
	v_subrev_nc_u32_e32 v0, s18, v15
	v_add_nc_u32_e32 v0, v0, v9
	v_ashrrev_i32_e32 v1, 31, v0
	s_waitcnt vmcnt(0)
	v_subrev_nc_u32_e32 v10, s18, v5
	v_lshlrev_b64 v[2:3], 5, v[0:1]
	v_cmp_lt_i32_e64 s0, v0, v10
	v_add_co_u32 v2, vcc_lo, s14, v2
	v_add_co_ci_u32_e64 v3, null, s15, v3, vcc_lo
	s_cbranch_scc1 .LBB91_25
; %bb.14:
	v_mov_b32_e32 v11, 0
	v_mov_b32_e32 v13, 0
	;; [unrolled: 1-line block ×4, first 2 shown]
	s_and_saveexec_b32 s1, s0
	s_cbranch_execz .LBB91_24
; %bb.15:
	v_add_nc_u32_e32 v1, v15, v9
	v_not_b32_e32 v5, v15
	v_mov_b32_e32 v8, v3
	v_mov_b32_e32 v12, 0
	v_mov_b32_e32 v14, 0
	v_subrev_nc_u32_e32 v1, s18, v1
	v_mov_b32_e32 v13, 0
	v_mov_b32_e32 v11, 0
	;; [unrolled: 1-line block ×3, first 2 shown]
	s_mov_b32 s3, exec_lo
	v_add_nc_u32_e32 v1, 8, v1
	v_max_i32_e32 v1, v1, v10
	v_add3_u32 v1, s18, v1, v5
	v_mov_b32_e32 v5, v0
	v_sub_nc_u32_e32 v1, v1, v9
	v_and_b32_e32 v6, 24, v1
	v_cmpx_ne_u32_e32 24, v6
	s_cbranch_execz .LBB91_19
; %bb.16:
	v_lshrrev_b32_e32 v5, 3, v1
	v_mov_b32_e32 v8, v3
	v_mov_b32_e32 v11, 0
	;; [unrolled: 1-line block ×4, first 2 shown]
	v_add_nc_u32_e32 v5, 1, v5
	v_mov_b32_e32 v14, 0
	v_mov_b32_e32 v12, 0
	s_mov_b32 s8, 0
	v_and_b32_e32 v6, 3, v5
	v_mov_b32_e32 v5, v0
	v_sub_nc_u32_e32 v16, 0, v6
.LBB91_17:                              ; =>This Inner Loop Header: Depth=1
	v_ashrrev_i32_e32 v6, 31, v5
	v_add_co_u32 v16, s9, v16, 1
	s_or_b32 s8, s9, s8
	v_lshlrev_b64 v[17:18], 2, v[5:6]
	v_add_nc_u32_e32 v5, 8, v5
	v_add_co_u32 v17, vcc_lo, s12, v17
	v_add_co_ci_u32_e64 v18, null, s13, v18, vcc_lo
	global_load_dword v6, v[17:18], off
	s_clause 0x1
	global_load_dwordx4 v[17:20], v[7:8], off
	global_load_dwordx4 v[21:24], v[7:8], off offset:16
	s_waitcnt vmcnt(2)
	v_subrev_nc_u32_e32 v6, s18, v6
	v_lshlrev_b32_e32 v25, 2, v6
	v_ashrrev_i32_e32 v26, 31, v25
	v_lshlrev_b64 v[25:26], 1, v[25:26]
	v_add_co_u32 v25, vcc_lo, s6, v25
	v_add_co_ci_u32_e64 v26, null, s7, v26, vcc_lo
	v_add_co_u32 v7, vcc_lo, 0x100, v7
	v_add_co_ci_u32_e64 v8, null, 0, v8, vcc_lo
	global_load_dwordx2 v[25:26], v[25:26], off
	s_waitcnt vmcnt(0)
	v_fma_mix_f32 v6, v17, v25, v12 op_sel_hi:[1,1,0]
	v_fma_mix_f32 v12, v19, v25, v14 op_sel_hi:[1,1,0]
	;; [unrolled: 1-line block ×4, first 2 shown]
	v_fma_mix_f32 v6, v17, v25, v6 op_sel:[1,1,0] op_sel_hi:[1,1,0]
	v_fma_mix_f32 v12, v19, v25, v12 op_sel:[1,1,0] op_sel_hi:[1,1,0]
	;; [unrolled: 1-line block ×4, first 2 shown]
	v_fma_mix_f32 v6, v18, v26, v6 op_sel_hi:[1,1,0]
	v_fma_mix_f32 v14, v20, v26, v12 op_sel_hi:[1,1,0]
	;; [unrolled: 1-line block ×4, first 2 shown]
	v_fma_mix_f32 v12, v18, v26, v6 op_sel:[1,1,0] op_sel_hi:[1,1,0]
	v_fma_mix_f32 v14, v20, v26, v14 op_sel:[1,1,0] op_sel_hi:[1,1,0]
	;; [unrolled: 1-line block ×4, first 2 shown]
	s_andn2_b32 exec_lo, exec_lo, s8
	s_cbranch_execnz .LBB91_17
; %bb.18:
	s_or_b32 exec_lo, exec_lo, s8
.LBB91_19:
	s_or_b32 exec_lo, exec_lo, s3
	s_mov_b32 s3, exec_lo
	v_cmpx_lt_u32_e32 23, v1
	s_cbranch_execz .LBB91_23
; %bb.20:
	s_mov_b32 s8, 0
.LBB91_21:                              ; =>This Inner Loop Header: Depth=1
	v_ashrrev_i32_e32 v6, 31, v5
	v_lshlrev_b64 v[16:17], 2, v[5:6]
	v_add_nc_u32_e32 v5, 32, v5
	v_add_co_u32 v16, vcc_lo, s12, v16
	v_add_co_ci_u32_e64 v17, null, s13, v17, vcc_lo
	s_clause 0x3
	global_load_dword v1, v[16:17], off
	global_load_dword v6, v[16:17], off offset:32
	global_load_dword v48, v[16:17], off offset:64
	;; [unrolled: 1-line block ×3, first 2 shown]
	s_clause 0x7
	global_load_dwordx4 v[16:19], v[7:8], off
	global_load_dwordx4 v[20:23], v[7:8], off offset:16
	global_load_dwordx4 v[24:27], v[7:8], off offset:256
	;; [unrolled: 1-line block ×7, first 2 shown]
	s_waitcnt vmcnt(11)
	v_subrev_nc_u32_e32 v1, s18, v1
	s_waitcnt vmcnt(10)
	v_subrev_nc_u32_e32 v6, s18, v6
	;; [unrolled: 2-line block ×4, first 2 shown]
	v_lshlrev_b32_e32 v48, 2, v1
	v_lshlrev_b32_e32 v50, 2, v6
	;; [unrolled: 1-line block ×4, first 2 shown]
	v_ashrrev_i32_e32 v49, 31, v48
	v_ashrrev_i32_e32 v51, 31, v50
	;; [unrolled: 1-line block ×4, first 2 shown]
	v_lshlrev_b64 v[48:49], 1, v[48:49]
	v_lshlrev_b64 v[50:51], 1, v[50:51]
	;; [unrolled: 1-line block ×4, first 2 shown]
	v_add_co_u32 v48, vcc_lo, s6, v48
	v_add_co_ci_u32_e64 v49, null, s7, v49, vcc_lo
	v_add_co_u32 v50, vcc_lo, s6, v50
	v_add_co_ci_u32_e64 v51, null, s7, v51, vcc_lo
	global_load_dwordx2 v[48:49], v[48:49], off
	v_add_co_u32 v52, vcc_lo, s6, v52
	global_load_dwordx2 v[50:51], v[50:51], off
	v_add_co_ci_u32_e64 v53, null, s7, v53, vcc_lo
	v_add_co_u32 v54, vcc_lo, s6, v54
	v_add_co_ci_u32_e64 v55, null, s7, v55, vcc_lo
	global_load_dwordx2 v[52:53], v[52:53], off
	v_add_co_u32 v7, vcc_lo, 0x400, v7
	global_load_dwordx2 v[54:55], v[54:55], off
	v_add_co_ci_u32_e64 v8, null, 0, v8, vcc_lo
	v_cmp_ge_i32_e32 vcc_lo, v5, v10
	s_or_b32 s8, vcc_lo, s8
	s_waitcnt vmcnt(3)
	v_fma_mix_f32 v1, v16, v48, v12 op_sel_hi:[1,1,0]
	v_fma_mix_f32 v6, v18, v48, v14 op_sel_hi:[1,1,0]
	v_fma_mix_f32 v12, v20, v48, v13 op_sel_hi:[1,1,0]
	v_fma_mix_f32 v11, v22, v48, v11 op_sel_hi:[1,1,0]
	v_fma_mix_f32 v1, v16, v48, v1 op_sel:[1,1,0] op_sel_hi:[1,1,0]
	v_fma_mix_f32 v6, v18, v48, v6 op_sel:[1,1,0] op_sel_hi:[1,1,0]
	v_fma_mix_f32 v12, v20, v48, v12 op_sel:[1,1,0] op_sel_hi:[1,1,0]
	v_fma_mix_f32 v11, v22, v48, v11 op_sel:[1,1,0] op_sel_hi:[1,1,0]
	v_fma_mix_f32 v1, v17, v49, v1 op_sel_hi:[1,1,0]
	v_fma_mix_f32 v6, v19, v49, v6 op_sel_hi:[1,1,0]
	v_fma_mix_f32 v12, v21, v49, v12 op_sel_hi:[1,1,0]
	v_fma_mix_f32 v11, v23, v49, v11 op_sel_hi:[1,1,0]
	v_fma_mix_f32 v1, v17, v49, v1 op_sel:[1,1,0] op_sel_hi:[1,1,0]
	v_fma_mix_f32 v6, v19, v49, v6 op_sel:[1,1,0] op_sel_hi:[1,1,0]
	v_fma_mix_f32 v12, v21, v49, v12 op_sel:[1,1,0] op_sel_hi:[1,1,0]
	v_fma_mix_f32 v11, v23, v49, v11 op_sel:[1,1,0] op_sel_hi:[1,1,0]
	s_waitcnt vmcnt(2)
	v_fma_mix_f32 v1, v24, v50, v1 op_sel_hi:[1,1,0]
	v_fma_mix_f32 v6, v26, v50, v6 op_sel_hi:[1,1,0]
	v_fma_mix_f32 v12, v28, v50, v12 op_sel_hi:[1,1,0]
	v_fma_mix_f32 v11, v30, v50, v11 op_sel_hi:[1,1,0]
	v_fma_mix_f32 v1, v24, v50, v1 op_sel:[1,1,0] op_sel_hi:[1,1,0]
	v_fma_mix_f32 v6, v26, v50, v6 op_sel:[1,1,0] op_sel_hi:[1,1,0]
	v_fma_mix_f32 v12, v28, v50, v12 op_sel:[1,1,0] op_sel_hi:[1,1,0]
	v_fma_mix_f32 v11, v30, v50, v11 op_sel:[1,1,0] op_sel_hi:[1,1,0]
	v_fma_mix_f32 v1, v25, v51, v1 op_sel_hi:[1,1,0]
	v_fma_mix_f32 v6, v27, v51, v6 op_sel_hi:[1,1,0]
	v_fma_mix_f32 v12, v29, v51, v12 op_sel_hi:[1,1,0]
	v_fma_mix_f32 v11, v31, v51, v11 op_sel_hi:[1,1,0]
	v_fma_mix_f32 v1, v25, v51, v1 op_sel:[1,1,0] op_sel_hi:[1,1,0]
	v_fma_mix_f32 v6, v27, v51, v6 op_sel:[1,1,0] op_sel_hi:[1,1,0]
	v_fma_mix_f32 v12, v29, v51, v12 op_sel:[1,1,0] op_sel_hi:[1,1,0]
	v_fma_mix_f32 v11, v31, v51, v11 op_sel:[1,1,0] op_sel_hi:[1,1,0]
	;; [unrolled: 17-line block ×4, first 2 shown]
	s_andn2_b32 exec_lo, exec_lo, s8
	s_cbranch_execnz .LBB91_21
; %bb.22:
	s_or_b32 exec_lo, exec_lo, s8
.LBB91_23:
	s_or_b32 exec_lo, exec_lo, s3
.LBB91_24:
	s_or_b32 exec_lo, exec_lo, s1
	s_cbranch_execz .LBB91_26
	s_branch .LBB91_37
.LBB91_25:
                                        ; implicit-def: $vgpr11
                                        ; implicit-def: $vgpr13
                                        ; implicit-def: $vgpr14
                                        ; implicit-def: $vgpr12
.LBB91_26:
	v_mov_b32_e32 v11, 0
	v_mov_b32_e32 v13, 0
	;; [unrolled: 1-line block ×4, first 2 shown]
	s_and_saveexec_b32 s1, s0
	s_cbranch_execz .LBB91_36
; %bb.27:
	v_add_nc_u32_e32 v1, v15, v9
	v_not_b32_e32 v5, v15
	v_mov_b32_e32 v12, 0
	v_mov_b32_e32 v14, 0
	;; [unrolled: 1-line block ×3, first 2 shown]
	v_subrev_nc_u32_e32 v1, s18, v1
	v_mov_b32_e32 v11, 0
	s_mov_b32 s0, exec_lo
	v_add_nc_u32_e32 v1, 8, v1
	v_max_i32_e32 v1, v1, v10
	v_add3_u32 v1, s18, v1, v5
	v_sub_nc_u32_e32 v5, v1, v9
	v_and_b32_e32 v1, 24, v5
	v_cmpx_ne_u32_e32 24, v1
	s_cbranch_execz .LBB91_31
; %bb.28:
	v_lshrrev_b32_e32 v1, 3, v5
	v_mov_b32_e32 v11, 0
	v_mov_b32_e32 v13, 0
	;; [unrolled: 1-line block ×4, first 2 shown]
	v_add_nc_u32_e32 v1, 1, v1
	s_mov_b32 s3, 0
	v_and_b32_e32 v1, 3, v1
	v_sub_nc_u32_e32 v6, 0, v1
.LBB91_29:                              ; =>This Inner Loop Header: Depth=1
	v_ashrrev_i32_e32 v1, 31, v0
	v_add_co_u32 v6, s8, v6, 1
	s_or_b32 s3, s8, s3
	v_lshlrev_b64 v[7:8], 2, v[0:1]
	v_add_nc_u32_e32 v0, 8, v0
	v_add_co_u32 v7, vcc_lo, s12, v7
	v_add_co_ci_u32_e64 v8, null, s13, v8, vcc_lo
	global_load_dword v1, v[7:8], off
	global_load_dwordx4 v[15:18], v[2:3], off
	s_waitcnt vmcnt(1)
	v_subrev_nc_u32_e32 v1, s18, v1
	v_lshlrev_b32_e32 v7, 2, v1
	v_ashrrev_i32_e32 v8, 31, v7
	v_lshlrev_b64 v[7:8], 1, v[7:8]
	v_add_co_u32 v7, vcc_lo, s6, v7
	v_add_co_ci_u32_e64 v8, null, s7, v8, vcc_lo
	global_load_dwordx2 v[7:8], v[7:8], off
	global_load_dwordx4 v[19:22], v[2:3], off offset:16
	v_add_co_u32 v2, vcc_lo, 0x100, v2
	v_add_co_ci_u32_e64 v3, null, 0, v3, vcc_lo
	s_waitcnt vmcnt(1)
	v_fma_mix_f32 v1, v15, v7, v12 op_sel_hi:[1,1,0]
	v_fma_mix_f32 v12, v15, v7, v14 op_sel:[1,0,0] op_sel_hi:[1,1,0]
	v_fma_mix_f32 v13, v16, v7, v13 op_sel_hi:[1,1,0]
	v_fma_mix_f32 v11, v16, v7, v11 op_sel:[1,0,0] op_sel_hi:[1,1,0]
	v_fma_mix_f32 v1, v17, v7, v1 op_sel:[0,1,0] op_sel_hi:[1,1,0]
	;; [unrolled: 1-line block ×5, first 2 shown]
	s_waitcnt vmcnt(0)
	v_fma_mix_f32 v1, v19, v8, v1 op_sel_hi:[1,1,0]
	v_fma_mix_f32 v11, v19, v8, v12 op_sel:[1,0,0] op_sel_hi:[1,1,0]
	v_fma_mix_f32 v13, v20, v8, v13 op_sel_hi:[1,1,0]
	v_fma_mix_f32 v7, v20, v8, v7 op_sel:[1,0,0] op_sel_hi:[1,1,0]
	v_fma_mix_f32 v12, v21, v8, v1 op_sel:[0,1,0] op_sel_hi:[1,1,0]
	;; [unrolled: 1-line block ×5, first 2 shown]
	s_andn2_b32 exec_lo, exec_lo, s3
	s_cbranch_execnz .LBB91_29
; %bb.30:
	s_or_b32 exec_lo, exec_lo, s3
.LBB91_31:
	s_or_b32 exec_lo, exec_lo, s0
	s_mov_b32 s0, exec_lo
	v_cmpx_lt_u32_e32 23, v5
	s_cbranch_execz .LBB91_35
; %bb.32:
	s_mov_b32 s3, 0
.LBB91_33:                              ; =>This Inner Loop Header: Depth=1
	v_ashrrev_i32_e32 v1, 31, v0
	v_lshlrev_b64 v[5:6], 2, v[0:1]
	v_add_nc_u32_e32 v0, 32, v0
	v_add_co_u32 v5, vcc_lo, s12, v5
	v_add_co_ci_u32_e64 v6, null, s13, v6, vcc_lo
	s_clause 0x3
	global_load_dword v1, v[5:6], off
	global_load_dword v39, v[5:6], off offset:32
	global_load_dword v40, v[5:6], off offset:64
	;; [unrolled: 1-line block ×3, first 2 shown]
	s_clause 0x6
	global_load_dwordx4 v[5:8], v[2:3], off
	global_load_dwordx4 v[15:18], v[2:3], off offset:16
	global_load_dwordx4 v[19:22], v[2:3], off offset:256
	;; [unrolled: 1-line block ×6, first 2 shown]
	s_waitcnt vmcnt(10)
	v_subrev_nc_u32_e32 v1, s18, v1
	s_waitcnt vmcnt(9)
	v_subrev_nc_u32_e32 v42, s18, v39
	;; [unrolled: 2-line block ×4, first 2 shown]
	v_lshlrev_b32_e32 v39, 2, v1
	v_lshlrev_b32_e32 v41, 2, v42
	;; [unrolled: 1-line block ×4, first 2 shown]
	v_ashrrev_i32_e32 v40, 31, v39
	v_ashrrev_i32_e32 v42, 31, v41
	;; [unrolled: 1-line block ×4, first 2 shown]
	v_lshlrev_b64 v[39:40], 1, v[39:40]
	v_add_co_u32 v39, vcc_lo, s6, v39
	v_add_co_ci_u32_e64 v40, null, s7, v40, vcc_lo
	global_load_dwordx2 v[47:48], v[39:40], off
	v_lshlrev_b64 v[39:40], 1, v[41:42]
	v_add_co_u32 v39, vcc_lo, s6, v39
	v_add_co_ci_u32_e64 v40, null, s7, v40, vcc_lo
	global_load_dwordx2 v[49:50], v[39:40], off
	;; [unrolled: 4-line block ×4, first 2 shown]
	global_load_dwordx4 v[39:42], v[2:3], off offset:784
	v_add_co_u32 v2, vcc_lo, 0x400, v2
	v_add_co_ci_u32_e64 v3, null, 0, v3, vcc_lo
	v_cmp_ge_i32_e32 vcc_lo, v0, v10
	s_or_b32 s3, vcc_lo, s3
	s_waitcnt vmcnt(4)
	v_fma_mix_f32 v1, v5, v47, v12 op_sel_hi:[1,1,0]
	v_fma_mix_f32 v5, v5, v47, v14 op_sel:[1,0,0] op_sel_hi:[1,1,0]
	v_fma_mix_f32 v12, v6, v47, v13 op_sel_hi:[1,1,0]
	v_fma_mix_f32 v6, v6, v47, v11 op_sel:[1,0,0] op_sel_hi:[1,1,0]
	v_fma_mix_f32 v1, v7, v47, v1 op_sel:[0,1,0] op_sel_hi:[1,1,0]
	v_fma_mix_f32 v5, v7, v47, v5 op_sel:[1,1,0] op_sel_hi:[1,1,0]
	v_fma_mix_f32 v7, v8, v47, v12 op_sel:[0,1,0] op_sel_hi:[1,1,0]
	v_fma_mix_f32 v6, v8, v47, v6 op_sel:[1,1,0] op_sel_hi:[1,1,0]
	v_fma_mix_f32 v1, v15, v48, v1 op_sel_hi:[1,1,0]
	v_fma_mix_f32 v5, v15, v48, v5 op_sel:[1,0,0] op_sel_hi:[1,1,0]
	v_fma_mix_f32 v7, v16, v48, v7 op_sel_hi:[1,1,0]
	v_fma_mix_f32 v6, v16, v48, v6 op_sel:[1,0,0] op_sel_hi:[1,1,0]
	v_fma_mix_f32 v1, v17, v48, v1 op_sel:[0,1,0] op_sel_hi:[1,1,0]
	v_fma_mix_f32 v5, v17, v48, v5 op_sel:[1,1,0] op_sel_hi:[1,1,0]
	v_fma_mix_f32 v7, v18, v48, v7 op_sel:[0,1,0] op_sel_hi:[1,1,0]
	v_fma_mix_f32 v6, v18, v48, v6 op_sel:[1,1,0] op_sel_hi:[1,1,0]
	s_waitcnt vmcnt(3)
	v_fma_mix_f32 v1, v19, v49, v1 op_sel_hi:[1,1,0]
	v_fma_mix_f32 v5, v19, v49, v5 op_sel:[1,0,0] op_sel_hi:[1,1,0]
	v_fma_mix_f32 v7, v20, v49, v7 op_sel_hi:[1,1,0]
	v_fma_mix_f32 v6, v20, v49, v6 op_sel:[1,0,0] op_sel_hi:[1,1,0]
	v_fma_mix_f32 v1, v21, v49, v1 op_sel:[0,1,0] op_sel_hi:[1,1,0]
	v_fma_mix_f32 v5, v21, v49, v5 op_sel:[1,1,0] op_sel_hi:[1,1,0]
	v_fma_mix_f32 v7, v22, v49, v7 op_sel:[0,1,0] op_sel_hi:[1,1,0]
	v_fma_mix_f32 v6, v22, v49, v6 op_sel:[1,1,0] op_sel_hi:[1,1,0]
	v_fma_mix_f32 v1, v23, v50, v1 op_sel_hi:[1,1,0]
	v_fma_mix_f32 v5, v23, v50, v5 op_sel:[1,0,0] op_sel_hi:[1,1,0]
	v_fma_mix_f32 v7, v24, v50, v7 op_sel_hi:[1,1,0]
	v_fma_mix_f32 v6, v24, v50, v6 op_sel:[1,0,0] op_sel_hi:[1,1,0]
	v_fma_mix_f32 v1, v25, v50, v1 op_sel:[0,1,0] op_sel_hi:[1,1,0]
	v_fma_mix_f32 v5, v25, v50, v5 op_sel:[1,1,0] op_sel_hi:[1,1,0]
	v_fma_mix_f32 v7, v26, v50, v7 op_sel:[0,1,0] op_sel_hi:[1,1,0]
	v_fma_mix_f32 v6, v26, v50, v6 op_sel:[1,1,0] op_sel_hi:[1,1,0]
	;; [unrolled: 17-line block ×3, first 2 shown]
	s_waitcnt vmcnt(1)
	v_fma_mix_f32 v1, v35, v45, v1 op_sel_hi:[1,1,0]
	v_fma_mix_f32 v5, v35, v45, v5 op_sel:[1,0,0] op_sel_hi:[1,1,0]
	v_fma_mix_f32 v7, v36, v45, v7 op_sel_hi:[1,1,0]
	v_fma_mix_f32 v6, v36, v45, v6 op_sel:[1,0,0] op_sel_hi:[1,1,0]
	v_fma_mix_f32 v1, v37, v45, v1 op_sel:[0,1,0] op_sel_hi:[1,1,0]
	;; [unrolled: 1-line block ×5, first 2 shown]
	s_waitcnt vmcnt(0)
	v_fma_mix_f32 v1, v39, v46, v1 op_sel_hi:[1,1,0]
	v_fma_mix_f32 v5, v39, v46, v5 op_sel:[1,0,0] op_sel_hi:[1,1,0]
	v_fma_mix_f32 v7, v40, v46, v7 op_sel_hi:[1,1,0]
	v_fma_mix_f32 v6, v40, v46, v6 op_sel:[1,0,0] op_sel_hi:[1,1,0]
	v_fma_mix_f32 v12, v41, v46, v1 op_sel:[0,1,0] op_sel_hi:[1,1,0]
	;; [unrolled: 1-line block ×5, first 2 shown]
	s_andn2_b32 exec_lo, exec_lo, s3
	s_cbranch_execnz .LBB91_33
; %bb.34:
	s_or_b32 exec_lo, exec_lo, s3
.LBB91_35:
	s_or_b32 exec_lo, exec_lo, s0
.LBB91_36:
	s_or_b32 exec_lo, exec_lo, s1
.LBB91_37:
	v_mbcnt_lo_u32_b32 v0, -1, 0
	s_mov_b32 s3, -1
	v_xor_b32_e32 v1, 4, v0
	v_xor_b32_e32 v6, 2, v0
	v_cmp_gt_i32_e32 vcc_lo, 32, v1
	v_cndmask_b32_e32 v1, v0, v1, vcc_lo
	v_cmp_gt_i32_e32 vcc_lo, 32, v6
	v_lshlrev_b32_e32 v1, 2, v1
	v_cndmask_b32_e32 v6, v0, v6, vcc_lo
	ds_bpermute_b32 v2, v1, v12
	ds_bpermute_b32 v3, v1, v14
	ds_bpermute_b32 v5, v1, v13
	ds_bpermute_b32 v1, v1, v11
	v_lshlrev_b32_e32 v6, 2, v6
	s_waitcnt lgkmcnt(3)
	v_add_f32_e32 v2, v12, v2
	s_waitcnt lgkmcnt(2)
	v_add_f32_e32 v3, v14, v3
	;; [unrolled: 2-line block ×4, first 2 shown]
	v_xor_b32_e32 v11, 1, v0
	ds_bpermute_b32 v1, v6, v2
	ds_bpermute_b32 v8, v6, v3
	;; [unrolled: 1-line block ×4, first 2 shown]
	v_cmp_gt_i32_e32 vcc_lo, 32, v11
	v_cndmask_b32_e32 v0, v0, v11, vcc_lo
	v_cmp_eq_u32_e32 vcc_lo, 7, v9
	v_lshlrev_b32_e32 v11, 2, v0
	s_waitcnt lgkmcnt(3)
	v_add_f32_e32 v0, v2, v1
	s_waitcnt lgkmcnt(2)
	v_add_f32_e32 v1, v3, v8
	;; [unrolled: 2-line block ×4, first 2 shown]
	ds_bpermute_b32 v5, v11, v0
	ds_bpermute_b32 v6, v11, v1
	;; [unrolled: 1-line block ×4, first 2 shown]
	s_and_b32 exec_lo, exec_lo, vcc_lo
	s_cbranch_execz .LBB91_10
; %bb.38:
	s_load_dwordx2 s[0:1], s[4:5], 0x50
	s_waitcnt lgkmcnt(0)
	v_add_f32_e32 v0, v0, v5
	v_add_f32_e32 v1, v1, v6
	;; [unrolled: 1-line block ×4, first 2 shown]
	v_cmp_eq_f32_e64 s4, s2, 0
	v_mul_f32_e32 v0, s16, v0
	v_mul_f32_e32 v1, s16, v1
	;; [unrolled: 1-line block ×4, first 2 shown]
	v_lshlrev_b32_e32 v4, 2, v4
	s_and_b32 vcc_lo, exec_lo, s4
	s_cbranch_vccz .LBB91_40
; %bb.39:
	v_ashrrev_i32_e32 v5, 31, v4
	s_mov_b32 s3, 0
	v_lshlrev_b64 v[5:6], 2, v[4:5]
	v_add_co_u32 v5, vcc_lo, s0, v5
	v_add_co_ci_u32_e64 v6, null, s1, v6, vcc_lo
	global_store_dwordx4 v[5:6], v[0:3], off
.LBB91_40:
	s_andn2_b32 vcc_lo, exec_lo, s3
	s_cbranch_vccnz .LBB91_10
; %bb.41:
	v_ashrrev_i32_e32 v5, 31, v4
	v_lshlrev_b64 v[4:5], 2, v[4:5]
	v_add_co_u32 v8, vcc_lo, s0, v4
	v_add_co_ci_u32_e64 v9, null, s1, v5, vcc_lo
	global_load_dwordx4 v[4:7], v[8:9], off
	s_waitcnt vmcnt(0)
	v_fmac_f32_e32 v0, s2, v4
	v_fmac_f32_e32 v1, s2, v5
	;; [unrolled: 1-line block ×4, first 2 shown]
	global_store_dwordx4 v[8:9], v[0:3], off
	s_endpgm
	.section	.rodata,"a",@progbits
	.p2align	6, 0x0
	.amdhsa_kernel _ZN9rocsparseL18bsrxmvn_4x4_kernelILj128ELj8EfiiDF16_DF16_fEEvT3_20rocsparse_direction_NS_24const_host_device_scalarIT1_EES1_PKS1_PKT2_SA_S7_PKT4_PKT5_S5_PT6_21rocsparse_index_base_b
		.amdhsa_group_segment_fixed_size 0
		.amdhsa_private_segment_fixed_size 0
		.amdhsa_kernarg_size 96
		.amdhsa_user_sgpr_count 6
		.amdhsa_user_sgpr_private_segment_buffer 1
		.amdhsa_user_sgpr_dispatch_ptr 0
		.amdhsa_user_sgpr_queue_ptr 0
		.amdhsa_user_sgpr_kernarg_segment_ptr 1
		.amdhsa_user_sgpr_dispatch_id 0
		.amdhsa_user_sgpr_flat_scratch_init 0
		.amdhsa_user_sgpr_private_segment_size 0
		.amdhsa_wavefront_size32 1
		.amdhsa_uses_dynamic_stack 0
		.amdhsa_system_sgpr_private_segment_wavefront_offset 0
		.amdhsa_system_sgpr_workgroup_id_x 1
		.amdhsa_system_sgpr_workgroup_id_y 0
		.amdhsa_system_sgpr_workgroup_id_z 0
		.amdhsa_system_sgpr_workgroup_info 0
		.amdhsa_system_vgpr_workitem_id 0
		.amdhsa_next_free_vgpr 56
		.amdhsa_next_free_sgpr 20
		.amdhsa_reserve_vcc 1
		.amdhsa_reserve_flat_scratch 0
		.amdhsa_float_round_mode_32 0
		.amdhsa_float_round_mode_16_64 0
		.amdhsa_float_denorm_mode_32 3
		.amdhsa_float_denorm_mode_16_64 3
		.amdhsa_dx10_clamp 1
		.amdhsa_ieee_mode 1
		.amdhsa_fp16_overflow 0
		.amdhsa_workgroup_processor_mode 1
		.amdhsa_memory_ordered 1
		.amdhsa_forward_progress 1
		.amdhsa_shared_vgpr_count 0
		.amdhsa_exception_fp_ieee_invalid_op 0
		.amdhsa_exception_fp_denorm_src 0
		.amdhsa_exception_fp_ieee_div_zero 0
		.amdhsa_exception_fp_ieee_overflow 0
		.amdhsa_exception_fp_ieee_underflow 0
		.amdhsa_exception_fp_ieee_inexact 0
		.amdhsa_exception_int_div_zero 0
	.end_amdhsa_kernel
	.section	.text._ZN9rocsparseL18bsrxmvn_4x4_kernelILj128ELj8EfiiDF16_DF16_fEEvT3_20rocsparse_direction_NS_24const_host_device_scalarIT1_EES1_PKS1_PKT2_SA_S7_PKT4_PKT5_S5_PT6_21rocsparse_index_base_b,"axG",@progbits,_ZN9rocsparseL18bsrxmvn_4x4_kernelILj128ELj8EfiiDF16_DF16_fEEvT3_20rocsparse_direction_NS_24const_host_device_scalarIT1_EES1_PKS1_PKT2_SA_S7_PKT4_PKT5_S5_PT6_21rocsparse_index_base_b,comdat
.Lfunc_end91:
	.size	_ZN9rocsparseL18bsrxmvn_4x4_kernelILj128ELj8EfiiDF16_DF16_fEEvT3_20rocsparse_direction_NS_24const_host_device_scalarIT1_EES1_PKS1_PKT2_SA_S7_PKT4_PKT5_S5_PT6_21rocsparse_index_base_b, .Lfunc_end91-_ZN9rocsparseL18bsrxmvn_4x4_kernelILj128ELj8EfiiDF16_DF16_fEEvT3_20rocsparse_direction_NS_24const_host_device_scalarIT1_EES1_PKS1_PKT2_SA_S7_PKT4_PKT5_S5_PT6_21rocsparse_index_base_b
                                        ; -- End function
	.set _ZN9rocsparseL18bsrxmvn_4x4_kernelILj128ELj8EfiiDF16_DF16_fEEvT3_20rocsparse_direction_NS_24const_host_device_scalarIT1_EES1_PKS1_PKT2_SA_S7_PKT4_PKT5_S5_PT6_21rocsparse_index_base_b.num_vgpr, 56
	.set _ZN9rocsparseL18bsrxmvn_4x4_kernelILj128ELj8EfiiDF16_DF16_fEEvT3_20rocsparse_direction_NS_24const_host_device_scalarIT1_EES1_PKS1_PKT2_SA_S7_PKT4_PKT5_S5_PT6_21rocsparse_index_base_b.num_agpr, 0
	.set _ZN9rocsparseL18bsrxmvn_4x4_kernelILj128ELj8EfiiDF16_DF16_fEEvT3_20rocsparse_direction_NS_24const_host_device_scalarIT1_EES1_PKS1_PKT2_SA_S7_PKT4_PKT5_S5_PT6_21rocsparse_index_base_b.numbered_sgpr, 20
	.set _ZN9rocsparseL18bsrxmvn_4x4_kernelILj128ELj8EfiiDF16_DF16_fEEvT3_20rocsparse_direction_NS_24const_host_device_scalarIT1_EES1_PKS1_PKT2_SA_S7_PKT4_PKT5_S5_PT6_21rocsparse_index_base_b.num_named_barrier, 0
	.set _ZN9rocsparseL18bsrxmvn_4x4_kernelILj128ELj8EfiiDF16_DF16_fEEvT3_20rocsparse_direction_NS_24const_host_device_scalarIT1_EES1_PKS1_PKT2_SA_S7_PKT4_PKT5_S5_PT6_21rocsparse_index_base_b.private_seg_size, 0
	.set _ZN9rocsparseL18bsrxmvn_4x4_kernelILj128ELj8EfiiDF16_DF16_fEEvT3_20rocsparse_direction_NS_24const_host_device_scalarIT1_EES1_PKS1_PKT2_SA_S7_PKT4_PKT5_S5_PT6_21rocsparse_index_base_b.uses_vcc, 1
	.set _ZN9rocsparseL18bsrxmvn_4x4_kernelILj128ELj8EfiiDF16_DF16_fEEvT3_20rocsparse_direction_NS_24const_host_device_scalarIT1_EES1_PKS1_PKT2_SA_S7_PKT4_PKT5_S5_PT6_21rocsparse_index_base_b.uses_flat_scratch, 0
	.set _ZN9rocsparseL18bsrxmvn_4x4_kernelILj128ELj8EfiiDF16_DF16_fEEvT3_20rocsparse_direction_NS_24const_host_device_scalarIT1_EES1_PKS1_PKT2_SA_S7_PKT4_PKT5_S5_PT6_21rocsparse_index_base_b.has_dyn_sized_stack, 0
	.set _ZN9rocsparseL18bsrxmvn_4x4_kernelILj128ELj8EfiiDF16_DF16_fEEvT3_20rocsparse_direction_NS_24const_host_device_scalarIT1_EES1_PKS1_PKT2_SA_S7_PKT4_PKT5_S5_PT6_21rocsparse_index_base_b.has_recursion, 0
	.set _ZN9rocsparseL18bsrxmvn_4x4_kernelILj128ELj8EfiiDF16_DF16_fEEvT3_20rocsparse_direction_NS_24const_host_device_scalarIT1_EES1_PKS1_PKT2_SA_S7_PKT4_PKT5_S5_PT6_21rocsparse_index_base_b.has_indirect_call, 0
	.section	.AMDGPU.csdata,"",@progbits
; Kernel info:
; codeLenInByte = 3588
; TotalNumSgprs: 22
; NumVgprs: 56
; ScratchSize: 0
; MemoryBound: 0
; FloatMode: 240
; IeeeMode: 1
; LDSByteSize: 0 bytes/workgroup (compile time only)
; SGPRBlocks: 0
; VGPRBlocks: 6
; NumSGPRsForWavesPerEU: 22
; NumVGPRsForWavesPerEU: 56
; Occupancy: 16
; WaveLimiterHint : 1
; COMPUTE_PGM_RSRC2:SCRATCH_EN: 0
; COMPUTE_PGM_RSRC2:USER_SGPR: 6
; COMPUTE_PGM_RSRC2:TRAP_HANDLER: 0
; COMPUTE_PGM_RSRC2:TGID_X_EN: 1
; COMPUTE_PGM_RSRC2:TGID_Y_EN: 0
; COMPUTE_PGM_RSRC2:TGID_Z_EN: 0
; COMPUTE_PGM_RSRC2:TIDIG_COMP_CNT: 0
	.section	.text._ZN9rocsparseL18bsrxmvn_4x4_kernelILj128ELj16EfiiDF16_DF16_fEEvT3_20rocsparse_direction_NS_24const_host_device_scalarIT1_EES1_PKS1_PKT2_SA_S7_PKT4_PKT5_S5_PT6_21rocsparse_index_base_b,"axG",@progbits,_ZN9rocsparseL18bsrxmvn_4x4_kernelILj128ELj16EfiiDF16_DF16_fEEvT3_20rocsparse_direction_NS_24const_host_device_scalarIT1_EES1_PKS1_PKT2_SA_S7_PKT4_PKT5_S5_PT6_21rocsparse_index_base_b,comdat
	.globl	_ZN9rocsparseL18bsrxmvn_4x4_kernelILj128ELj16EfiiDF16_DF16_fEEvT3_20rocsparse_direction_NS_24const_host_device_scalarIT1_EES1_PKS1_PKT2_SA_S7_PKT4_PKT5_S5_PT6_21rocsparse_index_base_b ; -- Begin function _ZN9rocsparseL18bsrxmvn_4x4_kernelILj128ELj16EfiiDF16_DF16_fEEvT3_20rocsparse_direction_NS_24const_host_device_scalarIT1_EES1_PKS1_PKT2_SA_S7_PKT4_PKT5_S5_PT6_21rocsparse_index_base_b
	.p2align	8
	.type	_ZN9rocsparseL18bsrxmvn_4x4_kernelILj128ELj16EfiiDF16_DF16_fEEvT3_20rocsparse_direction_NS_24const_host_device_scalarIT1_EES1_PKS1_PKT2_SA_S7_PKT4_PKT5_S5_PT6_21rocsparse_index_base_b,@function
_ZN9rocsparseL18bsrxmvn_4x4_kernelILj128ELj16EfiiDF16_DF16_fEEvT3_20rocsparse_direction_NS_24const_host_device_scalarIT1_EES1_PKS1_PKT2_SA_S7_PKT4_PKT5_S5_PT6_21rocsparse_index_base_b: ; @_ZN9rocsparseL18bsrxmvn_4x4_kernelILj128ELj16EfiiDF16_DF16_fEEvT3_20rocsparse_direction_NS_24const_host_device_scalarIT1_EES1_PKS1_PKT2_SA_S7_PKT4_PKT5_S5_PT6_21rocsparse_index_base_b
; %bb.0:
	s_clause 0x2
	s_load_dwordx2 s[18:19], s[4:5], 0x58
	s_load_dwordx2 s[16:17], s[4:5], 0x8
	;; [unrolled: 1-line block ×3, first 2 shown]
	s_waitcnt lgkmcnt(0)
	s_bitcmp1_b32 s19, 0
	s_cselect_b32 s0, -1, 0
	s_and_b32 vcc_lo, exec_lo, s0
	s_xor_b32 s0, s0, -1
	s_cbranch_vccnz .LBB92_2
; %bb.1:
	s_load_dword s16, s[16:17], 0x0
.LBB92_2:
	s_andn2_b32 vcc_lo, exec_lo, s0
	s_cbranch_vccnz .LBB92_4
; %bb.3:
	s_load_dword s2, s[2:3], 0x0
.LBB92_4:
	s_waitcnt lgkmcnt(0)
	v_cmp_neq_f32_e64 s0, s16, 0
	v_cmp_neq_f32_e64 s1, s2, 1.0
	s_mov_b32 s3, 0
	s_or_b32 s0, s0, s1
	s_andn2_b32 vcc_lo, exec_lo, s0
	s_cbranch_vccnz .LBB92_10
; %bb.5:
	s_clause 0x1
	s_load_dwordx2 s[8:9], s[4:5], 0x18
	s_load_dwordx2 s[0:1], s[4:5], 0x0
	v_lshrrev_b32_e32 v1, 4, v0
	v_lshl_or_b32 v4, s6, 3, v1
	s_waitcnt lgkmcnt(0)
	s_cmp_lg_u64 s[8:9], 0
	s_cbranch_scc0 .LBB92_11
; %bb.6:
	s_load_dword s3, s[4:5], 0x10
	s_mov_b32 s6, 0
                                        ; implicit-def: $vgpr1
	s_waitcnt lgkmcnt(0)
	v_cmp_gt_i32_e32 vcc_lo, s3, v4
	s_mov_b32 s3, 0
	s_and_saveexec_b32 s7, vcc_lo
	s_xor_b32 s7, exec_lo, s7
	s_cbranch_execz .LBB92_8
; %bb.7:
	v_ashrrev_i32_e32 v5, 31, v4
	s_mov_b32 s3, exec_lo
	v_lshlrev_b64 v[1:2], 2, v[4:5]
	v_add_co_u32 v1, vcc_lo, s8, v1
	v_add_co_ci_u32_e64 v2, null, s9, v2, vcc_lo
	global_load_dword v1, v[1:2], off
	s_waitcnt vmcnt(0)
	v_subrev_nc_u32_e32 v1, s18, v1
.LBB92_8:
	s_or_b32 exec_lo, exec_lo, s7
	s_and_b32 vcc_lo, exec_lo, s6
	s_cbranch_vccz .LBB92_12
.LBB92_9:
	v_cmp_gt_i32_e32 vcc_lo, s0, v4
	s_andn2_b32 s0, s3, exec_lo
	s_and_b32 s3, vcc_lo, exec_lo
	s_or_b32 s3, s0, s3
	s_and_saveexec_b32 s0, s3
	s_cbranch_execnz .LBB92_13
.LBB92_10:
	s_endpgm
.LBB92_11:
                                        ; implicit-def: $vgpr1
	s_cbranch_execnz .LBB92_9
.LBB92_12:
	v_mov_b32_e32 v4, v1
	s_and_saveexec_b32 s0, s3
	s_cbranch_execz .LBB92_10
.LBB92_13:
	s_load_dwordx8 s[8:15], s[4:5], 0x20
	v_ashrrev_i32_e32 v5, 31, v4
	v_and_b32_e32 v9, 15, v0
	s_load_dwordx2 s[6:7], s[4:5], 0x40
	v_lshlrev_b64 v[1:2], 2, v[4:5]
	s_waitcnt lgkmcnt(0)
	v_add_co_u32 v5, vcc_lo, s8, v1
	v_add_co_ci_u32_e64 v6, null, s9, v2, vcc_lo
	v_add_co_u32 v1, vcc_lo, s10, v1
	v_add_co_ci_u32_e64 v2, null, s11, v2, vcc_lo
	global_load_dword v15, v[5:6], off
	v_add_co_u32 v3, vcc_lo, v5, 4
	v_add_co_ci_u32_e64 v5, null, 0, v6, vcc_lo
	s_cmp_eq_u64 s[10:11], 0
	s_cselect_b32 vcc_lo, -1, 0
	s_cmp_eq_u32 s1, 1
	v_cndmask_b32_e32 v2, v2, v5, vcc_lo
	v_cndmask_b32_e32 v1, v1, v3, vcc_lo
	global_load_dword v5, v[1:2], off
	s_waitcnt vmcnt(1)
	v_subrev_nc_u32_e32 v0, s18, v15
	v_add_nc_u32_e32 v0, v0, v9
	v_ashrrev_i32_e32 v1, 31, v0
	s_waitcnt vmcnt(0)
	v_subrev_nc_u32_e32 v10, s18, v5
	v_lshlrev_b64 v[2:3], 5, v[0:1]
	v_cmp_lt_i32_e64 s0, v0, v10
	v_add_co_u32 v2, vcc_lo, s14, v2
	v_add_co_ci_u32_e64 v3, null, s15, v3, vcc_lo
	s_cbranch_scc1 .LBB92_25
; %bb.14:
	v_mov_b32_e32 v11, 0
	v_mov_b32_e32 v13, 0
	;; [unrolled: 1-line block ×4, first 2 shown]
	s_and_saveexec_b32 s1, s0
	s_cbranch_execz .LBB92_24
; %bb.15:
	v_add_nc_u32_e32 v1, v15, v9
	v_not_b32_e32 v5, v15
	v_mov_b32_e32 v8, v3
	v_mov_b32_e32 v12, 0
	;; [unrolled: 1-line block ×3, first 2 shown]
	v_subrev_nc_u32_e32 v1, s18, v1
	v_mov_b32_e32 v13, 0
	v_mov_b32_e32 v11, 0
	;; [unrolled: 1-line block ×3, first 2 shown]
	s_mov_b32 s3, exec_lo
	v_add_nc_u32_e32 v1, 16, v1
	v_max_i32_e32 v1, v1, v10
	v_add3_u32 v1, s18, v1, v5
	v_mov_b32_e32 v5, v0
	v_sub_nc_u32_e32 v1, v1, v9
	v_and_b32_e32 v6, 48, v1
	v_cmpx_ne_u32_e32 48, v6
	s_cbranch_execz .LBB92_19
; %bb.16:
	v_lshrrev_b32_e32 v5, 4, v1
	v_mov_b32_e32 v8, v3
	v_mov_b32_e32 v11, 0
	;; [unrolled: 1-line block ×4, first 2 shown]
	v_add_nc_u32_e32 v5, 1, v5
	v_mov_b32_e32 v14, 0
	v_mov_b32_e32 v12, 0
	s_mov_b32 s8, 0
	v_and_b32_e32 v6, 3, v5
	v_mov_b32_e32 v5, v0
	v_sub_nc_u32_e32 v16, 0, v6
.LBB92_17:                              ; =>This Inner Loop Header: Depth=1
	v_ashrrev_i32_e32 v6, 31, v5
	v_add_co_u32 v16, s9, v16, 1
	s_or_b32 s8, s9, s8
	v_lshlrev_b64 v[17:18], 2, v[5:6]
	v_add_nc_u32_e32 v5, 16, v5
	v_add_co_u32 v17, vcc_lo, s12, v17
	v_add_co_ci_u32_e64 v18, null, s13, v18, vcc_lo
	global_load_dword v6, v[17:18], off
	s_clause 0x1
	global_load_dwordx4 v[17:20], v[7:8], off
	global_load_dwordx4 v[21:24], v[7:8], off offset:16
	s_waitcnt vmcnt(2)
	v_subrev_nc_u32_e32 v6, s18, v6
	v_lshlrev_b32_e32 v25, 2, v6
	v_ashrrev_i32_e32 v26, 31, v25
	v_lshlrev_b64 v[25:26], 1, v[25:26]
	v_add_co_u32 v25, vcc_lo, s6, v25
	v_add_co_ci_u32_e64 v26, null, s7, v26, vcc_lo
	v_add_co_u32 v7, vcc_lo, 0x200, v7
	v_add_co_ci_u32_e64 v8, null, 0, v8, vcc_lo
	global_load_dwordx2 v[25:26], v[25:26], off
	s_waitcnt vmcnt(0)
	v_fma_mix_f32 v6, v17, v25, v12 op_sel_hi:[1,1,0]
	v_fma_mix_f32 v12, v19, v25, v14 op_sel_hi:[1,1,0]
	;; [unrolled: 1-line block ×4, first 2 shown]
	v_fma_mix_f32 v6, v17, v25, v6 op_sel:[1,1,0] op_sel_hi:[1,1,0]
	v_fma_mix_f32 v12, v19, v25, v12 op_sel:[1,1,0] op_sel_hi:[1,1,0]
	;; [unrolled: 1-line block ×4, first 2 shown]
	v_fma_mix_f32 v6, v18, v26, v6 op_sel_hi:[1,1,0]
	v_fma_mix_f32 v14, v20, v26, v12 op_sel_hi:[1,1,0]
	;; [unrolled: 1-line block ×4, first 2 shown]
	v_fma_mix_f32 v12, v18, v26, v6 op_sel:[1,1,0] op_sel_hi:[1,1,0]
	v_fma_mix_f32 v14, v20, v26, v14 op_sel:[1,1,0] op_sel_hi:[1,1,0]
	;; [unrolled: 1-line block ×4, first 2 shown]
	s_andn2_b32 exec_lo, exec_lo, s8
	s_cbranch_execnz .LBB92_17
; %bb.18:
	s_or_b32 exec_lo, exec_lo, s8
.LBB92_19:
	s_or_b32 exec_lo, exec_lo, s3
	s_mov_b32 s3, exec_lo
	v_cmpx_lt_u32_e32 47, v1
	s_cbranch_execz .LBB92_23
; %bb.20:
	s_mov_b32 s8, 0
.LBB92_21:                              ; =>This Inner Loop Header: Depth=1
	v_ashrrev_i32_e32 v6, 31, v5
	v_lshlrev_b64 v[16:17], 2, v[5:6]
	v_add_nc_u32_e32 v5, 64, v5
	v_add_co_u32 v16, vcc_lo, s12, v16
	v_add_co_ci_u32_e64 v17, null, s13, v17, vcc_lo
	s_clause 0x3
	global_load_dword v1, v[16:17], off
	global_load_dword v6, v[16:17], off offset:64
	global_load_dword v48, v[16:17], off offset:128
	;; [unrolled: 1-line block ×3, first 2 shown]
	s_clause 0x7
	global_load_dwordx4 v[16:19], v[7:8], off
	global_load_dwordx4 v[20:23], v[7:8], off offset:16
	global_load_dwordx4 v[24:27], v[7:8], off offset:512
	global_load_dwordx4 v[28:31], v[7:8], off offset:528
	global_load_dwordx4 v[32:35], v[7:8], off offset:1024
	global_load_dwordx4 v[36:39], v[7:8], off offset:1040
	global_load_dwordx4 v[40:43], v[7:8], off offset:1536
	global_load_dwordx4 v[44:47], v[7:8], off offset:1552
	s_waitcnt vmcnt(11)
	v_subrev_nc_u32_e32 v1, s18, v1
	s_waitcnt vmcnt(10)
	v_subrev_nc_u32_e32 v6, s18, v6
	;; [unrolled: 2-line block ×4, first 2 shown]
	v_lshlrev_b32_e32 v48, 2, v1
	v_lshlrev_b32_e32 v50, 2, v6
	;; [unrolled: 1-line block ×4, first 2 shown]
	v_ashrrev_i32_e32 v49, 31, v48
	v_ashrrev_i32_e32 v51, 31, v50
	;; [unrolled: 1-line block ×4, first 2 shown]
	v_lshlrev_b64 v[48:49], 1, v[48:49]
	v_lshlrev_b64 v[50:51], 1, v[50:51]
	;; [unrolled: 1-line block ×4, first 2 shown]
	v_add_co_u32 v48, vcc_lo, s6, v48
	v_add_co_ci_u32_e64 v49, null, s7, v49, vcc_lo
	v_add_co_u32 v50, vcc_lo, s6, v50
	v_add_co_ci_u32_e64 v51, null, s7, v51, vcc_lo
	global_load_dwordx2 v[48:49], v[48:49], off
	v_add_co_u32 v52, vcc_lo, s6, v52
	global_load_dwordx2 v[50:51], v[50:51], off
	v_add_co_ci_u32_e64 v53, null, s7, v53, vcc_lo
	v_add_co_u32 v54, vcc_lo, s6, v54
	v_add_co_ci_u32_e64 v55, null, s7, v55, vcc_lo
	global_load_dwordx2 v[52:53], v[52:53], off
	v_add_co_u32 v7, vcc_lo, 0x800, v7
	global_load_dwordx2 v[54:55], v[54:55], off
	v_add_co_ci_u32_e64 v8, null, 0, v8, vcc_lo
	v_cmp_ge_i32_e32 vcc_lo, v5, v10
	s_or_b32 s8, vcc_lo, s8
	s_waitcnt vmcnt(3)
	v_fma_mix_f32 v1, v16, v48, v12 op_sel_hi:[1,1,0]
	v_fma_mix_f32 v6, v18, v48, v14 op_sel_hi:[1,1,0]
	v_fma_mix_f32 v12, v20, v48, v13 op_sel_hi:[1,1,0]
	v_fma_mix_f32 v11, v22, v48, v11 op_sel_hi:[1,1,0]
	v_fma_mix_f32 v1, v16, v48, v1 op_sel:[1,1,0] op_sel_hi:[1,1,0]
	v_fma_mix_f32 v6, v18, v48, v6 op_sel:[1,1,0] op_sel_hi:[1,1,0]
	v_fma_mix_f32 v12, v20, v48, v12 op_sel:[1,1,0] op_sel_hi:[1,1,0]
	v_fma_mix_f32 v11, v22, v48, v11 op_sel:[1,1,0] op_sel_hi:[1,1,0]
	v_fma_mix_f32 v1, v17, v49, v1 op_sel_hi:[1,1,0]
	v_fma_mix_f32 v6, v19, v49, v6 op_sel_hi:[1,1,0]
	v_fma_mix_f32 v12, v21, v49, v12 op_sel_hi:[1,1,0]
	v_fma_mix_f32 v11, v23, v49, v11 op_sel_hi:[1,1,0]
	v_fma_mix_f32 v1, v17, v49, v1 op_sel:[1,1,0] op_sel_hi:[1,1,0]
	v_fma_mix_f32 v6, v19, v49, v6 op_sel:[1,1,0] op_sel_hi:[1,1,0]
	v_fma_mix_f32 v12, v21, v49, v12 op_sel:[1,1,0] op_sel_hi:[1,1,0]
	v_fma_mix_f32 v11, v23, v49, v11 op_sel:[1,1,0] op_sel_hi:[1,1,0]
	s_waitcnt vmcnt(2)
	v_fma_mix_f32 v1, v24, v50, v1 op_sel_hi:[1,1,0]
	v_fma_mix_f32 v6, v26, v50, v6 op_sel_hi:[1,1,0]
	v_fma_mix_f32 v12, v28, v50, v12 op_sel_hi:[1,1,0]
	v_fma_mix_f32 v11, v30, v50, v11 op_sel_hi:[1,1,0]
	v_fma_mix_f32 v1, v24, v50, v1 op_sel:[1,1,0] op_sel_hi:[1,1,0]
	v_fma_mix_f32 v6, v26, v50, v6 op_sel:[1,1,0] op_sel_hi:[1,1,0]
	v_fma_mix_f32 v12, v28, v50, v12 op_sel:[1,1,0] op_sel_hi:[1,1,0]
	v_fma_mix_f32 v11, v30, v50, v11 op_sel:[1,1,0] op_sel_hi:[1,1,0]
	v_fma_mix_f32 v1, v25, v51, v1 op_sel_hi:[1,1,0]
	v_fma_mix_f32 v6, v27, v51, v6 op_sel_hi:[1,1,0]
	v_fma_mix_f32 v12, v29, v51, v12 op_sel_hi:[1,1,0]
	v_fma_mix_f32 v11, v31, v51, v11 op_sel_hi:[1,1,0]
	v_fma_mix_f32 v1, v25, v51, v1 op_sel:[1,1,0] op_sel_hi:[1,1,0]
	v_fma_mix_f32 v6, v27, v51, v6 op_sel:[1,1,0] op_sel_hi:[1,1,0]
	v_fma_mix_f32 v12, v29, v51, v12 op_sel:[1,1,0] op_sel_hi:[1,1,0]
	v_fma_mix_f32 v11, v31, v51, v11 op_sel:[1,1,0] op_sel_hi:[1,1,0]
	;; [unrolled: 17-line block ×4, first 2 shown]
	s_andn2_b32 exec_lo, exec_lo, s8
	s_cbranch_execnz .LBB92_21
; %bb.22:
	s_or_b32 exec_lo, exec_lo, s8
.LBB92_23:
	s_or_b32 exec_lo, exec_lo, s3
.LBB92_24:
	s_or_b32 exec_lo, exec_lo, s1
	s_cbranch_execz .LBB92_26
	s_branch .LBB92_37
.LBB92_25:
                                        ; implicit-def: $vgpr11
                                        ; implicit-def: $vgpr13
                                        ; implicit-def: $vgpr14
                                        ; implicit-def: $vgpr12
.LBB92_26:
	v_mov_b32_e32 v11, 0
	v_mov_b32_e32 v13, 0
	;; [unrolled: 1-line block ×4, first 2 shown]
	s_and_saveexec_b32 s1, s0
	s_cbranch_execz .LBB92_36
; %bb.27:
	v_add_nc_u32_e32 v1, v15, v9
	v_not_b32_e32 v5, v15
	v_mov_b32_e32 v12, 0
	v_mov_b32_e32 v14, 0
	;; [unrolled: 1-line block ×3, first 2 shown]
	v_subrev_nc_u32_e32 v1, s18, v1
	v_mov_b32_e32 v11, 0
	s_mov_b32 s0, exec_lo
	v_add_nc_u32_e32 v1, 16, v1
	v_max_i32_e32 v1, v1, v10
	v_add3_u32 v1, s18, v1, v5
	v_sub_nc_u32_e32 v5, v1, v9
	v_and_b32_e32 v1, 48, v5
	v_cmpx_ne_u32_e32 48, v1
	s_cbranch_execz .LBB92_31
; %bb.28:
	v_lshrrev_b32_e32 v1, 4, v5
	v_mov_b32_e32 v11, 0
	v_mov_b32_e32 v13, 0
	v_mov_b32_e32 v14, 0
	v_mov_b32_e32 v12, 0
	v_add_nc_u32_e32 v1, 1, v1
	s_mov_b32 s3, 0
	v_and_b32_e32 v1, 3, v1
	v_sub_nc_u32_e32 v6, 0, v1
.LBB92_29:                              ; =>This Inner Loop Header: Depth=1
	v_ashrrev_i32_e32 v1, 31, v0
	v_add_co_u32 v6, s8, v6, 1
	s_or_b32 s3, s8, s3
	v_lshlrev_b64 v[7:8], 2, v[0:1]
	v_add_nc_u32_e32 v0, 16, v0
	v_add_co_u32 v7, vcc_lo, s12, v7
	v_add_co_ci_u32_e64 v8, null, s13, v8, vcc_lo
	global_load_dword v1, v[7:8], off
	global_load_dwordx4 v[15:18], v[2:3], off
	s_waitcnt vmcnt(1)
	v_subrev_nc_u32_e32 v1, s18, v1
	v_lshlrev_b32_e32 v7, 2, v1
	v_ashrrev_i32_e32 v8, 31, v7
	v_lshlrev_b64 v[7:8], 1, v[7:8]
	v_add_co_u32 v7, vcc_lo, s6, v7
	v_add_co_ci_u32_e64 v8, null, s7, v8, vcc_lo
	global_load_dwordx2 v[7:8], v[7:8], off
	global_load_dwordx4 v[19:22], v[2:3], off offset:16
	v_add_co_u32 v2, vcc_lo, 0x200, v2
	v_add_co_ci_u32_e64 v3, null, 0, v3, vcc_lo
	s_waitcnt vmcnt(1)
	v_fma_mix_f32 v1, v15, v7, v12 op_sel_hi:[1,1,0]
	v_fma_mix_f32 v12, v15, v7, v14 op_sel:[1,0,0] op_sel_hi:[1,1,0]
	v_fma_mix_f32 v13, v16, v7, v13 op_sel_hi:[1,1,0]
	v_fma_mix_f32 v11, v16, v7, v11 op_sel:[1,0,0] op_sel_hi:[1,1,0]
	v_fma_mix_f32 v1, v17, v7, v1 op_sel:[0,1,0] op_sel_hi:[1,1,0]
	;; [unrolled: 1-line block ×5, first 2 shown]
	s_waitcnt vmcnt(0)
	v_fma_mix_f32 v1, v19, v8, v1 op_sel_hi:[1,1,0]
	v_fma_mix_f32 v11, v19, v8, v12 op_sel:[1,0,0] op_sel_hi:[1,1,0]
	v_fma_mix_f32 v13, v20, v8, v13 op_sel_hi:[1,1,0]
	v_fma_mix_f32 v7, v20, v8, v7 op_sel:[1,0,0] op_sel_hi:[1,1,0]
	v_fma_mix_f32 v12, v21, v8, v1 op_sel:[0,1,0] op_sel_hi:[1,1,0]
	;; [unrolled: 1-line block ×5, first 2 shown]
	s_andn2_b32 exec_lo, exec_lo, s3
	s_cbranch_execnz .LBB92_29
; %bb.30:
	s_or_b32 exec_lo, exec_lo, s3
.LBB92_31:
	s_or_b32 exec_lo, exec_lo, s0
	s_mov_b32 s0, exec_lo
	v_cmpx_lt_u32_e32 47, v5
	s_cbranch_execz .LBB92_35
; %bb.32:
	s_mov_b32 s3, 0
.LBB92_33:                              ; =>This Inner Loop Header: Depth=1
	v_ashrrev_i32_e32 v1, 31, v0
	v_lshlrev_b64 v[5:6], 2, v[0:1]
	v_add_nc_u32_e32 v0, 64, v0
	v_add_co_u32 v5, vcc_lo, s12, v5
	v_add_co_ci_u32_e64 v6, null, s13, v6, vcc_lo
	s_clause 0x3
	global_load_dword v1, v[5:6], off
	global_load_dword v39, v[5:6], off offset:64
	global_load_dword v40, v[5:6], off offset:128
	;; [unrolled: 1-line block ×3, first 2 shown]
	s_clause 0x6
	global_load_dwordx4 v[5:8], v[2:3], off
	global_load_dwordx4 v[15:18], v[2:3], off offset:16
	global_load_dwordx4 v[19:22], v[2:3], off offset:512
	;; [unrolled: 1-line block ×6, first 2 shown]
	s_waitcnt vmcnt(10)
	v_subrev_nc_u32_e32 v1, s18, v1
	s_waitcnt vmcnt(9)
	v_subrev_nc_u32_e32 v42, s18, v39
	;; [unrolled: 2-line block ×4, first 2 shown]
	v_lshlrev_b32_e32 v39, 2, v1
	v_lshlrev_b32_e32 v41, 2, v42
	;; [unrolled: 1-line block ×4, first 2 shown]
	v_ashrrev_i32_e32 v40, 31, v39
	v_ashrrev_i32_e32 v42, 31, v41
	;; [unrolled: 1-line block ×4, first 2 shown]
	v_lshlrev_b64 v[39:40], 1, v[39:40]
	v_add_co_u32 v39, vcc_lo, s6, v39
	v_add_co_ci_u32_e64 v40, null, s7, v40, vcc_lo
	global_load_dwordx2 v[47:48], v[39:40], off
	v_lshlrev_b64 v[39:40], 1, v[41:42]
	v_add_co_u32 v39, vcc_lo, s6, v39
	v_add_co_ci_u32_e64 v40, null, s7, v40, vcc_lo
	global_load_dwordx2 v[49:50], v[39:40], off
	;; [unrolled: 4-line block ×4, first 2 shown]
	global_load_dwordx4 v[39:42], v[2:3], off offset:1552
	v_add_co_u32 v2, vcc_lo, 0x800, v2
	v_add_co_ci_u32_e64 v3, null, 0, v3, vcc_lo
	v_cmp_ge_i32_e32 vcc_lo, v0, v10
	s_or_b32 s3, vcc_lo, s3
	s_waitcnt vmcnt(4)
	v_fma_mix_f32 v1, v5, v47, v12 op_sel_hi:[1,1,0]
	v_fma_mix_f32 v5, v5, v47, v14 op_sel:[1,0,0] op_sel_hi:[1,1,0]
	v_fma_mix_f32 v12, v6, v47, v13 op_sel_hi:[1,1,0]
	v_fma_mix_f32 v6, v6, v47, v11 op_sel:[1,0,0] op_sel_hi:[1,1,0]
	v_fma_mix_f32 v1, v7, v47, v1 op_sel:[0,1,0] op_sel_hi:[1,1,0]
	v_fma_mix_f32 v5, v7, v47, v5 op_sel:[1,1,0] op_sel_hi:[1,1,0]
	v_fma_mix_f32 v7, v8, v47, v12 op_sel:[0,1,0] op_sel_hi:[1,1,0]
	v_fma_mix_f32 v6, v8, v47, v6 op_sel:[1,1,0] op_sel_hi:[1,1,0]
	v_fma_mix_f32 v1, v15, v48, v1 op_sel_hi:[1,1,0]
	v_fma_mix_f32 v5, v15, v48, v5 op_sel:[1,0,0] op_sel_hi:[1,1,0]
	v_fma_mix_f32 v7, v16, v48, v7 op_sel_hi:[1,1,0]
	v_fma_mix_f32 v6, v16, v48, v6 op_sel:[1,0,0] op_sel_hi:[1,1,0]
	v_fma_mix_f32 v1, v17, v48, v1 op_sel:[0,1,0] op_sel_hi:[1,1,0]
	v_fma_mix_f32 v5, v17, v48, v5 op_sel:[1,1,0] op_sel_hi:[1,1,0]
	v_fma_mix_f32 v7, v18, v48, v7 op_sel:[0,1,0] op_sel_hi:[1,1,0]
	v_fma_mix_f32 v6, v18, v48, v6 op_sel:[1,1,0] op_sel_hi:[1,1,0]
	s_waitcnt vmcnt(3)
	v_fma_mix_f32 v1, v19, v49, v1 op_sel_hi:[1,1,0]
	v_fma_mix_f32 v5, v19, v49, v5 op_sel:[1,0,0] op_sel_hi:[1,1,0]
	v_fma_mix_f32 v7, v20, v49, v7 op_sel_hi:[1,1,0]
	v_fma_mix_f32 v6, v20, v49, v6 op_sel:[1,0,0] op_sel_hi:[1,1,0]
	v_fma_mix_f32 v1, v21, v49, v1 op_sel:[0,1,0] op_sel_hi:[1,1,0]
	v_fma_mix_f32 v5, v21, v49, v5 op_sel:[1,1,0] op_sel_hi:[1,1,0]
	v_fma_mix_f32 v7, v22, v49, v7 op_sel:[0,1,0] op_sel_hi:[1,1,0]
	v_fma_mix_f32 v6, v22, v49, v6 op_sel:[1,1,0] op_sel_hi:[1,1,0]
	v_fma_mix_f32 v1, v23, v50, v1 op_sel_hi:[1,1,0]
	v_fma_mix_f32 v5, v23, v50, v5 op_sel:[1,0,0] op_sel_hi:[1,1,0]
	v_fma_mix_f32 v7, v24, v50, v7 op_sel_hi:[1,1,0]
	v_fma_mix_f32 v6, v24, v50, v6 op_sel:[1,0,0] op_sel_hi:[1,1,0]
	v_fma_mix_f32 v1, v25, v50, v1 op_sel:[0,1,0] op_sel_hi:[1,1,0]
	v_fma_mix_f32 v5, v25, v50, v5 op_sel:[1,1,0] op_sel_hi:[1,1,0]
	v_fma_mix_f32 v7, v26, v50, v7 op_sel:[0,1,0] op_sel_hi:[1,1,0]
	v_fma_mix_f32 v6, v26, v50, v6 op_sel:[1,1,0] op_sel_hi:[1,1,0]
	;; [unrolled: 17-line block ×3, first 2 shown]
	s_waitcnt vmcnt(1)
	v_fma_mix_f32 v1, v35, v45, v1 op_sel_hi:[1,1,0]
	v_fma_mix_f32 v5, v35, v45, v5 op_sel:[1,0,0] op_sel_hi:[1,1,0]
	v_fma_mix_f32 v7, v36, v45, v7 op_sel_hi:[1,1,0]
	v_fma_mix_f32 v6, v36, v45, v6 op_sel:[1,0,0] op_sel_hi:[1,1,0]
	v_fma_mix_f32 v1, v37, v45, v1 op_sel:[0,1,0] op_sel_hi:[1,1,0]
	;; [unrolled: 1-line block ×5, first 2 shown]
	s_waitcnt vmcnt(0)
	v_fma_mix_f32 v1, v39, v46, v1 op_sel_hi:[1,1,0]
	v_fma_mix_f32 v5, v39, v46, v5 op_sel:[1,0,0] op_sel_hi:[1,1,0]
	v_fma_mix_f32 v7, v40, v46, v7 op_sel_hi:[1,1,0]
	v_fma_mix_f32 v6, v40, v46, v6 op_sel:[1,0,0] op_sel_hi:[1,1,0]
	v_fma_mix_f32 v12, v41, v46, v1 op_sel:[0,1,0] op_sel_hi:[1,1,0]
	;; [unrolled: 1-line block ×5, first 2 shown]
	s_andn2_b32 exec_lo, exec_lo, s3
	s_cbranch_execnz .LBB92_33
; %bb.34:
	s_or_b32 exec_lo, exec_lo, s3
.LBB92_35:
	s_or_b32 exec_lo, exec_lo, s0
.LBB92_36:
	s_or_b32 exec_lo, exec_lo, s1
.LBB92_37:
	v_mbcnt_lo_u32_b32 v0, -1, 0
	s_mov_b32 s3, -1
	v_xor_b32_e32 v1, 8, v0
	v_xor_b32_e32 v6, 4, v0
	v_cmp_gt_i32_e32 vcc_lo, 32, v1
	v_cndmask_b32_e32 v1, v0, v1, vcc_lo
	v_cmp_gt_i32_e32 vcc_lo, 32, v6
	v_lshlrev_b32_e32 v1, 2, v1
	v_cndmask_b32_e32 v6, v0, v6, vcc_lo
	ds_bpermute_b32 v2, v1, v12
	ds_bpermute_b32 v3, v1, v14
	;; [unrolled: 1-line block ×4, first 2 shown]
	v_lshlrev_b32_e32 v6, 2, v6
	s_waitcnt lgkmcnt(3)
	v_add_f32_e32 v2, v12, v2
	s_waitcnt lgkmcnt(2)
	v_add_f32_e32 v3, v14, v3
	;; [unrolled: 2-line block ×4, first 2 shown]
	v_xor_b32_e32 v11, 2, v0
	ds_bpermute_b32 v7, v6, v2
	ds_bpermute_b32 v8, v6, v3
	;; [unrolled: 1-line block ×4, first 2 shown]
	v_cmp_gt_i32_e32 vcc_lo, 32, v11
	v_cndmask_b32_e32 v11, v0, v11, vcc_lo
	v_lshlrev_b32_e32 v11, 2, v11
	s_waitcnt lgkmcnt(3)
	v_add_f32_e32 v2, v2, v7
	s_waitcnt lgkmcnt(2)
	v_add_f32_e32 v3, v3, v8
	s_waitcnt lgkmcnt(1)
	v_add_f32_e32 v5, v5, v10
	s_waitcnt lgkmcnt(0)
	v_add_f32_e32 v6, v1, v6
	ds_bpermute_b32 v1, v11, v2
	ds_bpermute_b32 v7, v11, v3
	;; [unrolled: 1-line block ×4, first 2 shown]
	v_xor_b32_e32 v11, 1, v0
	v_cmp_gt_i32_e32 vcc_lo, 32, v11
	v_cndmask_b32_e32 v0, v0, v11, vcc_lo
	v_cmp_eq_u32_e32 vcc_lo, 15, v9
	v_lshlrev_b32_e32 v11, 2, v0
	s_waitcnt lgkmcnt(3)
	v_add_f32_e32 v0, v2, v1
	s_waitcnt lgkmcnt(2)
	v_add_f32_e32 v1, v3, v7
	;; [unrolled: 2-line block ×4, first 2 shown]
	ds_bpermute_b32 v5, v11, v0
	ds_bpermute_b32 v6, v11, v1
	ds_bpermute_b32 v7, v11, v2
	ds_bpermute_b32 v8, v11, v3
	s_and_b32 exec_lo, exec_lo, vcc_lo
	s_cbranch_execz .LBB92_10
; %bb.38:
	s_load_dwordx2 s[0:1], s[4:5], 0x50
	s_waitcnt lgkmcnt(0)
	v_add_f32_e32 v0, v0, v5
	v_add_f32_e32 v1, v1, v6
	v_add_f32_e32 v2, v2, v7
	v_add_f32_e32 v3, v3, v8
	v_cmp_eq_f32_e64 s4, s2, 0
	v_mul_f32_e32 v0, s16, v0
	v_mul_f32_e32 v1, s16, v1
	;; [unrolled: 1-line block ×4, first 2 shown]
	v_lshlrev_b32_e32 v4, 2, v4
	s_and_b32 vcc_lo, exec_lo, s4
	s_cbranch_vccz .LBB92_40
; %bb.39:
	v_ashrrev_i32_e32 v5, 31, v4
	s_mov_b32 s3, 0
	v_lshlrev_b64 v[5:6], 2, v[4:5]
	v_add_co_u32 v5, vcc_lo, s0, v5
	v_add_co_ci_u32_e64 v6, null, s1, v6, vcc_lo
	global_store_dwordx4 v[5:6], v[0:3], off
.LBB92_40:
	s_andn2_b32 vcc_lo, exec_lo, s3
	s_cbranch_vccnz .LBB92_10
; %bb.41:
	v_ashrrev_i32_e32 v5, 31, v4
	v_lshlrev_b64 v[4:5], 2, v[4:5]
	v_add_co_u32 v8, vcc_lo, s0, v4
	v_add_co_ci_u32_e64 v9, null, s1, v5, vcc_lo
	global_load_dwordx4 v[4:7], v[8:9], off
	s_waitcnt vmcnt(0)
	v_fmac_f32_e32 v0, s2, v4
	v_fmac_f32_e32 v1, s2, v5
	;; [unrolled: 1-line block ×4, first 2 shown]
	global_store_dwordx4 v[8:9], v[0:3], off
	s_endpgm
	.section	.rodata,"a",@progbits
	.p2align	6, 0x0
	.amdhsa_kernel _ZN9rocsparseL18bsrxmvn_4x4_kernelILj128ELj16EfiiDF16_DF16_fEEvT3_20rocsparse_direction_NS_24const_host_device_scalarIT1_EES1_PKS1_PKT2_SA_S7_PKT4_PKT5_S5_PT6_21rocsparse_index_base_b
		.amdhsa_group_segment_fixed_size 0
		.amdhsa_private_segment_fixed_size 0
		.amdhsa_kernarg_size 96
		.amdhsa_user_sgpr_count 6
		.amdhsa_user_sgpr_private_segment_buffer 1
		.amdhsa_user_sgpr_dispatch_ptr 0
		.amdhsa_user_sgpr_queue_ptr 0
		.amdhsa_user_sgpr_kernarg_segment_ptr 1
		.amdhsa_user_sgpr_dispatch_id 0
		.amdhsa_user_sgpr_flat_scratch_init 0
		.amdhsa_user_sgpr_private_segment_size 0
		.amdhsa_wavefront_size32 1
		.amdhsa_uses_dynamic_stack 0
		.amdhsa_system_sgpr_private_segment_wavefront_offset 0
		.amdhsa_system_sgpr_workgroup_id_x 1
		.amdhsa_system_sgpr_workgroup_id_y 0
		.amdhsa_system_sgpr_workgroup_id_z 0
		.amdhsa_system_sgpr_workgroup_info 0
		.amdhsa_system_vgpr_workitem_id 0
		.amdhsa_next_free_vgpr 56
		.amdhsa_next_free_sgpr 20
		.amdhsa_reserve_vcc 1
		.amdhsa_reserve_flat_scratch 0
		.amdhsa_float_round_mode_32 0
		.amdhsa_float_round_mode_16_64 0
		.amdhsa_float_denorm_mode_32 3
		.amdhsa_float_denorm_mode_16_64 3
		.amdhsa_dx10_clamp 1
		.amdhsa_ieee_mode 1
		.amdhsa_fp16_overflow 0
		.amdhsa_workgroup_processor_mode 1
		.amdhsa_memory_ordered 1
		.amdhsa_forward_progress 1
		.amdhsa_shared_vgpr_count 0
		.amdhsa_exception_fp_ieee_invalid_op 0
		.amdhsa_exception_fp_denorm_src 0
		.amdhsa_exception_fp_ieee_div_zero 0
		.amdhsa_exception_fp_ieee_overflow 0
		.amdhsa_exception_fp_ieee_underflow 0
		.amdhsa_exception_fp_ieee_inexact 0
		.amdhsa_exception_int_div_zero 0
	.end_amdhsa_kernel
	.section	.text._ZN9rocsparseL18bsrxmvn_4x4_kernelILj128ELj16EfiiDF16_DF16_fEEvT3_20rocsparse_direction_NS_24const_host_device_scalarIT1_EES1_PKS1_PKT2_SA_S7_PKT4_PKT5_S5_PT6_21rocsparse_index_base_b,"axG",@progbits,_ZN9rocsparseL18bsrxmvn_4x4_kernelILj128ELj16EfiiDF16_DF16_fEEvT3_20rocsparse_direction_NS_24const_host_device_scalarIT1_EES1_PKS1_PKT2_SA_S7_PKT4_PKT5_S5_PT6_21rocsparse_index_base_b,comdat
.Lfunc_end92:
	.size	_ZN9rocsparseL18bsrxmvn_4x4_kernelILj128ELj16EfiiDF16_DF16_fEEvT3_20rocsparse_direction_NS_24const_host_device_scalarIT1_EES1_PKS1_PKT2_SA_S7_PKT4_PKT5_S5_PT6_21rocsparse_index_base_b, .Lfunc_end92-_ZN9rocsparseL18bsrxmvn_4x4_kernelILj128ELj16EfiiDF16_DF16_fEEvT3_20rocsparse_direction_NS_24const_host_device_scalarIT1_EES1_PKS1_PKT2_SA_S7_PKT4_PKT5_S5_PT6_21rocsparse_index_base_b
                                        ; -- End function
	.set _ZN9rocsparseL18bsrxmvn_4x4_kernelILj128ELj16EfiiDF16_DF16_fEEvT3_20rocsparse_direction_NS_24const_host_device_scalarIT1_EES1_PKS1_PKT2_SA_S7_PKT4_PKT5_S5_PT6_21rocsparse_index_base_b.num_vgpr, 56
	.set _ZN9rocsparseL18bsrxmvn_4x4_kernelILj128ELj16EfiiDF16_DF16_fEEvT3_20rocsparse_direction_NS_24const_host_device_scalarIT1_EES1_PKS1_PKT2_SA_S7_PKT4_PKT5_S5_PT6_21rocsparse_index_base_b.num_agpr, 0
	.set _ZN9rocsparseL18bsrxmvn_4x4_kernelILj128ELj16EfiiDF16_DF16_fEEvT3_20rocsparse_direction_NS_24const_host_device_scalarIT1_EES1_PKS1_PKT2_SA_S7_PKT4_PKT5_S5_PT6_21rocsparse_index_base_b.numbered_sgpr, 20
	.set _ZN9rocsparseL18bsrxmvn_4x4_kernelILj128ELj16EfiiDF16_DF16_fEEvT3_20rocsparse_direction_NS_24const_host_device_scalarIT1_EES1_PKS1_PKT2_SA_S7_PKT4_PKT5_S5_PT6_21rocsparse_index_base_b.num_named_barrier, 0
	.set _ZN9rocsparseL18bsrxmvn_4x4_kernelILj128ELj16EfiiDF16_DF16_fEEvT3_20rocsparse_direction_NS_24const_host_device_scalarIT1_EES1_PKS1_PKT2_SA_S7_PKT4_PKT5_S5_PT6_21rocsparse_index_base_b.private_seg_size, 0
	.set _ZN9rocsparseL18bsrxmvn_4x4_kernelILj128ELj16EfiiDF16_DF16_fEEvT3_20rocsparse_direction_NS_24const_host_device_scalarIT1_EES1_PKS1_PKT2_SA_S7_PKT4_PKT5_S5_PT6_21rocsparse_index_base_b.uses_vcc, 1
	.set _ZN9rocsparseL18bsrxmvn_4x4_kernelILj128ELj16EfiiDF16_DF16_fEEvT3_20rocsparse_direction_NS_24const_host_device_scalarIT1_EES1_PKS1_PKT2_SA_S7_PKT4_PKT5_S5_PT6_21rocsparse_index_base_b.uses_flat_scratch, 0
	.set _ZN9rocsparseL18bsrxmvn_4x4_kernelILj128ELj16EfiiDF16_DF16_fEEvT3_20rocsparse_direction_NS_24const_host_device_scalarIT1_EES1_PKS1_PKT2_SA_S7_PKT4_PKT5_S5_PT6_21rocsparse_index_base_b.has_dyn_sized_stack, 0
	.set _ZN9rocsparseL18bsrxmvn_4x4_kernelILj128ELj16EfiiDF16_DF16_fEEvT3_20rocsparse_direction_NS_24const_host_device_scalarIT1_EES1_PKS1_PKT2_SA_S7_PKT4_PKT5_S5_PT6_21rocsparse_index_base_b.has_recursion, 0
	.set _ZN9rocsparseL18bsrxmvn_4x4_kernelILj128ELj16EfiiDF16_DF16_fEEvT3_20rocsparse_direction_NS_24const_host_device_scalarIT1_EES1_PKS1_PKT2_SA_S7_PKT4_PKT5_S5_PT6_21rocsparse_index_base_b.has_indirect_call, 0
	.section	.AMDGPU.csdata,"",@progbits
; Kernel info:
; codeLenInByte = 3668
; TotalNumSgprs: 22
; NumVgprs: 56
; ScratchSize: 0
; MemoryBound: 0
; FloatMode: 240
; IeeeMode: 1
; LDSByteSize: 0 bytes/workgroup (compile time only)
; SGPRBlocks: 0
; VGPRBlocks: 6
; NumSGPRsForWavesPerEU: 22
; NumVGPRsForWavesPerEU: 56
; Occupancy: 16
; WaveLimiterHint : 1
; COMPUTE_PGM_RSRC2:SCRATCH_EN: 0
; COMPUTE_PGM_RSRC2:USER_SGPR: 6
; COMPUTE_PGM_RSRC2:TRAP_HANDLER: 0
; COMPUTE_PGM_RSRC2:TGID_X_EN: 1
; COMPUTE_PGM_RSRC2:TGID_Y_EN: 0
; COMPUTE_PGM_RSRC2:TGID_Z_EN: 0
; COMPUTE_PGM_RSRC2:TIDIG_COMP_CNT: 0
	.section	.text._ZN9rocsparseL18bsrxmvn_4x4_kernelILj128ELj32EfiiDF16_DF16_fEEvT3_20rocsparse_direction_NS_24const_host_device_scalarIT1_EES1_PKS1_PKT2_SA_S7_PKT4_PKT5_S5_PT6_21rocsparse_index_base_b,"axG",@progbits,_ZN9rocsparseL18bsrxmvn_4x4_kernelILj128ELj32EfiiDF16_DF16_fEEvT3_20rocsparse_direction_NS_24const_host_device_scalarIT1_EES1_PKS1_PKT2_SA_S7_PKT4_PKT5_S5_PT6_21rocsparse_index_base_b,comdat
	.globl	_ZN9rocsparseL18bsrxmvn_4x4_kernelILj128ELj32EfiiDF16_DF16_fEEvT3_20rocsparse_direction_NS_24const_host_device_scalarIT1_EES1_PKS1_PKT2_SA_S7_PKT4_PKT5_S5_PT6_21rocsparse_index_base_b ; -- Begin function _ZN9rocsparseL18bsrxmvn_4x4_kernelILj128ELj32EfiiDF16_DF16_fEEvT3_20rocsparse_direction_NS_24const_host_device_scalarIT1_EES1_PKS1_PKT2_SA_S7_PKT4_PKT5_S5_PT6_21rocsparse_index_base_b
	.p2align	8
	.type	_ZN9rocsparseL18bsrxmvn_4x4_kernelILj128ELj32EfiiDF16_DF16_fEEvT3_20rocsparse_direction_NS_24const_host_device_scalarIT1_EES1_PKS1_PKT2_SA_S7_PKT4_PKT5_S5_PT6_21rocsparse_index_base_b,@function
_ZN9rocsparseL18bsrxmvn_4x4_kernelILj128ELj32EfiiDF16_DF16_fEEvT3_20rocsparse_direction_NS_24const_host_device_scalarIT1_EES1_PKS1_PKT2_SA_S7_PKT4_PKT5_S5_PT6_21rocsparse_index_base_b: ; @_ZN9rocsparseL18bsrxmvn_4x4_kernelILj128ELj32EfiiDF16_DF16_fEEvT3_20rocsparse_direction_NS_24const_host_device_scalarIT1_EES1_PKS1_PKT2_SA_S7_PKT4_PKT5_S5_PT6_21rocsparse_index_base_b
; %bb.0:
	s_clause 0x2
	s_load_dwordx2 s[18:19], s[4:5], 0x58
	s_load_dwordx2 s[16:17], s[4:5], 0x8
	;; [unrolled: 1-line block ×3, first 2 shown]
	s_waitcnt lgkmcnt(0)
	s_bitcmp1_b32 s19, 0
	s_cselect_b32 s0, -1, 0
	s_and_b32 vcc_lo, exec_lo, s0
	s_xor_b32 s0, s0, -1
	s_cbranch_vccnz .LBB93_2
; %bb.1:
	s_load_dword s16, s[16:17], 0x0
.LBB93_2:
	s_andn2_b32 vcc_lo, exec_lo, s0
	s_cbranch_vccnz .LBB93_4
; %bb.3:
	s_load_dword s2, s[2:3], 0x0
.LBB93_4:
	s_waitcnt lgkmcnt(0)
	v_cmp_neq_f32_e64 s0, s16, 0
	v_cmp_neq_f32_e64 s1, s2, 1.0
	s_mov_b32 s3, 0
	s_or_b32 s0, s0, s1
	s_andn2_b32 vcc_lo, exec_lo, s0
	s_cbranch_vccnz .LBB93_10
; %bb.5:
	s_clause 0x1
	s_load_dwordx2 s[8:9], s[4:5], 0x18
	s_load_dwordx2 s[0:1], s[4:5], 0x0
	v_lshrrev_b32_e32 v1, 5, v0
	v_lshl_or_b32 v4, s6, 2, v1
	s_waitcnt lgkmcnt(0)
	s_cmp_lg_u64 s[8:9], 0
	s_cbranch_scc0 .LBB93_11
; %bb.6:
	s_load_dword s3, s[4:5], 0x10
	s_mov_b32 s6, 0
                                        ; implicit-def: $vgpr1
	s_waitcnt lgkmcnt(0)
	v_cmp_gt_i32_e32 vcc_lo, s3, v4
	s_mov_b32 s3, 0
	s_and_saveexec_b32 s7, vcc_lo
	s_xor_b32 s7, exec_lo, s7
	s_cbranch_execz .LBB93_8
; %bb.7:
	v_ashrrev_i32_e32 v5, 31, v4
	s_mov_b32 s3, exec_lo
	v_lshlrev_b64 v[1:2], 2, v[4:5]
	v_add_co_u32 v1, vcc_lo, s8, v1
	v_add_co_ci_u32_e64 v2, null, s9, v2, vcc_lo
	global_load_dword v1, v[1:2], off
	s_waitcnt vmcnt(0)
	v_subrev_nc_u32_e32 v1, s18, v1
.LBB93_8:
	s_or_b32 exec_lo, exec_lo, s7
	s_and_b32 vcc_lo, exec_lo, s6
	s_cbranch_vccz .LBB93_12
.LBB93_9:
	v_cmp_gt_i32_e32 vcc_lo, s0, v4
	s_andn2_b32 s0, s3, exec_lo
	s_and_b32 s3, vcc_lo, exec_lo
	s_or_b32 s3, s0, s3
	s_and_saveexec_b32 s0, s3
	s_cbranch_execnz .LBB93_13
.LBB93_10:
	s_endpgm
.LBB93_11:
                                        ; implicit-def: $vgpr1
	s_cbranch_execnz .LBB93_9
.LBB93_12:
	v_mov_b32_e32 v4, v1
	s_and_saveexec_b32 s0, s3
	s_cbranch_execz .LBB93_10
.LBB93_13:
	s_load_dwordx8 s[8:15], s[4:5], 0x20
	v_ashrrev_i32_e32 v5, 31, v4
	v_and_b32_e32 v9, 31, v0
	s_load_dwordx2 s[6:7], s[4:5], 0x40
	v_lshlrev_b64 v[1:2], 2, v[4:5]
	s_waitcnt lgkmcnt(0)
	v_add_co_u32 v5, vcc_lo, s8, v1
	v_add_co_ci_u32_e64 v6, null, s9, v2, vcc_lo
	v_add_co_u32 v1, vcc_lo, s10, v1
	v_add_co_ci_u32_e64 v2, null, s11, v2, vcc_lo
	global_load_dword v15, v[5:6], off
	v_add_co_u32 v3, vcc_lo, v5, 4
	v_add_co_ci_u32_e64 v5, null, 0, v6, vcc_lo
	s_cmp_eq_u64 s[10:11], 0
	s_cselect_b32 vcc_lo, -1, 0
	s_cmp_eq_u32 s1, 1
	v_cndmask_b32_e32 v2, v2, v5, vcc_lo
	v_cndmask_b32_e32 v1, v1, v3, vcc_lo
	global_load_dword v5, v[1:2], off
	s_waitcnt vmcnt(1)
	v_subrev_nc_u32_e32 v0, s18, v15
	v_add_nc_u32_e32 v0, v0, v9
	v_ashrrev_i32_e32 v1, 31, v0
	s_waitcnt vmcnt(0)
	v_subrev_nc_u32_e32 v10, s18, v5
	v_lshlrev_b64 v[2:3], 5, v[0:1]
	v_cmp_lt_i32_e64 s0, v0, v10
	v_add_co_u32 v2, vcc_lo, s14, v2
	v_add_co_ci_u32_e64 v3, null, s15, v3, vcc_lo
	s_cbranch_scc1 .LBB93_25
; %bb.14:
	v_mov_b32_e32 v11, 0
	v_mov_b32_e32 v13, 0
	;; [unrolled: 1-line block ×4, first 2 shown]
	s_and_saveexec_b32 s1, s0
	s_cbranch_execz .LBB93_24
; %bb.15:
	v_add_nc_u32_e32 v1, v15, v9
	v_not_b32_e32 v5, v15
	v_mov_b32_e32 v8, v3
	v_mov_b32_e32 v12, 0
	;; [unrolled: 1-line block ×3, first 2 shown]
	v_subrev_nc_u32_e32 v1, s18, v1
	v_mov_b32_e32 v13, 0
	v_mov_b32_e32 v11, 0
	;; [unrolled: 1-line block ×3, first 2 shown]
	s_mov_b32 s3, exec_lo
	v_add_nc_u32_e32 v1, 32, v1
	v_max_i32_e32 v1, v1, v10
	v_add3_u32 v1, s18, v1, v5
	v_mov_b32_e32 v5, v0
	v_sub_nc_u32_e32 v1, v1, v9
	v_and_b32_e32 v6, 0x60, v1
	v_cmpx_ne_u32_e32 0x60, v6
	s_cbranch_execz .LBB93_19
; %bb.16:
	v_lshrrev_b32_e32 v5, 5, v1
	v_mov_b32_e32 v8, v3
	v_mov_b32_e32 v11, 0
	;; [unrolled: 1-line block ×4, first 2 shown]
	v_add_nc_u32_e32 v5, 1, v5
	v_mov_b32_e32 v14, 0
	v_mov_b32_e32 v12, 0
	s_mov_b32 s8, 0
	v_and_b32_e32 v6, 3, v5
	v_mov_b32_e32 v5, v0
	v_sub_nc_u32_e32 v16, 0, v6
.LBB93_17:                              ; =>This Inner Loop Header: Depth=1
	v_ashrrev_i32_e32 v6, 31, v5
	v_add_co_u32 v16, s9, v16, 1
	s_or_b32 s8, s9, s8
	v_lshlrev_b64 v[17:18], 2, v[5:6]
	v_add_nc_u32_e32 v5, 32, v5
	v_add_co_u32 v17, vcc_lo, s12, v17
	v_add_co_ci_u32_e64 v18, null, s13, v18, vcc_lo
	global_load_dword v6, v[17:18], off
	s_clause 0x1
	global_load_dwordx4 v[17:20], v[7:8], off
	global_load_dwordx4 v[21:24], v[7:8], off offset:16
	s_waitcnt vmcnt(2)
	v_subrev_nc_u32_e32 v6, s18, v6
	v_lshlrev_b32_e32 v25, 2, v6
	v_ashrrev_i32_e32 v26, 31, v25
	v_lshlrev_b64 v[25:26], 1, v[25:26]
	v_add_co_u32 v25, vcc_lo, s6, v25
	v_add_co_ci_u32_e64 v26, null, s7, v26, vcc_lo
	v_add_co_u32 v7, vcc_lo, 0x400, v7
	v_add_co_ci_u32_e64 v8, null, 0, v8, vcc_lo
	global_load_dwordx2 v[25:26], v[25:26], off
	s_waitcnt vmcnt(0)
	v_fma_mix_f32 v6, v17, v25, v12 op_sel_hi:[1,1,0]
	v_fma_mix_f32 v12, v19, v25, v14 op_sel_hi:[1,1,0]
	;; [unrolled: 1-line block ×4, first 2 shown]
	v_fma_mix_f32 v6, v17, v25, v6 op_sel:[1,1,0] op_sel_hi:[1,1,0]
	v_fma_mix_f32 v12, v19, v25, v12 op_sel:[1,1,0] op_sel_hi:[1,1,0]
	;; [unrolled: 1-line block ×4, first 2 shown]
	v_fma_mix_f32 v6, v18, v26, v6 op_sel_hi:[1,1,0]
	v_fma_mix_f32 v14, v20, v26, v12 op_sel_hi:[1,1,0]
	;; [unrolled: 1-line block ×4, first 2 shown]
	v_fma_mix_f32 v12, v18, v26, v6 op_sel:[1,1,0] op_sel_hi:[1,1,0]
	v_fma_mix_f32 v14, v20, v26, v14 op_sel:[1,1,0] op_sel_hi:[1,1,0]
	;; [unrolled: 1-line block ×4, first 2 shown]
	s_andn2_b32 exec_lo, exec_lo, s8
	s_cbranch_execnz .LBB93_17
; %bb.18:
	s_or_b32 exec_lo, exec_lo, s8
.LBB93_19:
	s_or_b32 exec_lo, exec_lo, s3
	s_mov_b32 s3, exec_lo
	v_cmpx_lt_u32_e32 0x5f, v1
	s_cbranch_execz .LBB93_23
; %bb.20:
	s_mov_b32 s8, 0
.LBB93_21:                              ; =>This Inner Loop Header: Depth=1
	v_ashrrev_i32_e32 v6, 31, v5
	v_lshlrev_b64 v[16:17], 2, v[5:6]
	v_add_nc_u32_e32 v5, 0x80, v5
	v_add_co_u32 v16, vcc_lo, s12, v16
	v_add_co_ci_u32_e64 v17, null, s13, v17, vcc_lo
	v_add_co_u32 v44, vcc_lo, 0x800, v7
	v_add_co_ci_u32_e64 v45, null, 0, v8, vcc_lo
	s_clause 0x3
	global_load_dword v1, v[16:17], off
	global_load_dword v6, v[16:17], off offset:128
	global_load_dword v48, v[16:17], off offset:256
	;; [unrolled: 1-line block ×3, first 2 shown]
	s_clause 0x7
	global_load_dwordx4 v[16:19], v[7:8], off
	global_load_dwordx4 v[20:23], v[7:8], off offset:16
	global_load_dwordx4 v[24:27], v[7:8], off offset:1024
	global_load_dwordx4 v[28:31], v[7:8], off offset:1040
	global_load_dwordx4 v[32:35], v[44:45], off
	global_load_dwordx4 v[36:39], v[44:45], off offset:16
	global_load_dwordx4 v[40:43], v[44:45], off offset:1024
	;; [unrolled: 1-line block ×3, first 2 shown]
	s_waitcnt vmcnt(11)
	v_subrev_nc_u32_e32 v1, s18, v1
	s_waitcnt vmcnt(10)
	v_subrev_nc_u32_e32 v6, s18, v6
	;; [unrolled: 2-line block ×4, first 2 shown]
	v_lshlrev_b32_e32 v48, 2, v1
	v_lshlrev_b32_e32 v50, 2, v6
	;; [unrolled: 1-line block ×4, first 2 shown]
	v_ashrrev_i32_e32 v49, 31, v48
	v_ashrrev_i32_e32 v51, 31, v50
	;; [unrolled: 1-line block ×4, first 2 shown]
	v_lshlrev_b64 v[48:49], 1, v[48:49]
	v_lshlrev_b64 v[50:51], 1, v[50:51]
	;; [unrolled: 1-line block ×4, first 2 shown]
	v_add_co_u32 v48, vcc_lo, s6, v48
	v_add_co_ci_u32_e64 v49, null, s7, v49, vcc_lo
	v_add_co_u32 v50, vcc_lo, s6, v50
	v_add_co_ci_u32_e64 v51, null, s7, v51, vcc_lo
	global_load_dwordx2 v[48:49], v[48:49], off
	v_add_co_u32 v52, vcc_lo, s6, v52
	global_load_dwordx2 v[50:51], v[50:51], off
	v_add_co_ci_u32_e64 v53, null, s7, v53, vcc_lo
	v_add_co_u32 v54, vcc_lo, s6, v54
	v_add_co_ci_u32_e64 v55, null, s7, v55, vcc_lo
	global_load_dwordx2 v[52:53], v[52:53], off
	v_add_co_u32 v7, vcc_lo, 0x1000, v7
	global_load_dwordx2 v[54:55], v[54:55], off
	v_add_co_ci_u32_e64 v8, null, 0, v8, vcc_lo
	v_cmp_ge_i32_e32 vcc_lo, v5, v10
	s_or_b32 s8, vcc_lo, s8
	s_waitcnt vmcnt(3)
	v_fma_mix_f32 v1, v16, v48, v12 op_sel_hi:[1,1,0]
	v_fma_mix_f32 v6, v18, v48, v14 op_sel_hi:[1,1,0]
	v_fma_mix_f32 v12, v20, v48, v13 op_sel_hi:[1,1,0]
	v_fma_mix_f32 v11, v22, v48, v11 op_sel_hi:[1,1,0]
	v_fma_mix_f32 v1, v16, v48, v1 op_sel:[1,1,0] op_sel_hi:[1,1,0]
	v_fma_mix_f32 v6, v18, v48, v6 op_sel:[1,1,0] op_sel_hi:[1,1,0]
	v_fma_mix_f32 v12, v20, v48, v12 op_sel:[1,1,0] op_sel_hi:[1,1,0]
	v_fma_mix_f32 v11, v22, v48, v11 op_sel:[1,1,0] op_sel_hi:[1,1,0]
	v_fma_mix_f32 v1, v17, v49, v1 op_sel_hi:[1,1,0]
	v_fma_mix_f32 v6, v19, v49, v6 op_sel_hi:[1,1,0]
	v_fma_mix_f32 v12, v21, v49, v12 op_sel_hi:[1,1,0]
	v_fma_mix_f32 v11, v23, v49, v11 op_sel_hi:[1,1,0]
	v_fma_mix_f32 v1, v17, v49, v1 op_sel:[1,1,0] op_sel_hi:[1,1,0]
	v_fma_mix_f32 v6, v19, v49, v6 op_sel:[1,1,0] op_sel_hi:[1,1,0]
	v_fma_mix_f32 v12, v21, v49, v12 op_sel:[1,1,0] op_sel_hi:[1,1,0]
	v_fma_mix_f32 v11, v23, v49, v11 op_sel:[1,1,0] op_sel_hi:[1,1,0]
	s_waitcnt vmcnt(2)
	v_fma_mix_f32 v1, v24, v50, v1 op_sel_hi:[1,1,0]
	v_fma_mix_f32 v6, v26, v50, v6 op_sel_hi:[1,1,0]
	v_fma_mix_f32 v12, v28, v50, v12 op_sel_hi:[1,1,0]
	v_fma_mix_f32 v11, v30, v50, v11 op_sel_hi:[1,1,0]
	v_fma_mix_f32 v1, v24, v50, v1 op_sel:[1,1,0] op_sel_hi:[1,1,0]
	v_fma_mix_f32 v6, v26, v50, v6 op_sel:[1,1,0] op_sel_hi:[1,1,0]
	v_fma_mix_f32 v12, v28, v50, v12 op_sel:[1,1,0] op_sel_hi:[1,1,0]
	v_fma_mix_f32 v11, v30, v50, v11 op_sel:[1,1,0] op_sel_hi:[1,1,0]
	v_fma_mix_f32 v1, v25, v51, v1 op_sel_hi:[1,1,0]
	v_fma_mix_f32 v6, v27, v51, v6 op_sel_hi:[1,1,0]
	v_fma_mix_f32 v12, v29, v51, v12 op_sel_hi:[1,1,0]
	v_fma_mix_f32 v11, v31, v51, v11 op_sel_hi:[1,1,0]
	v_fma_mix_f32 v1, v25, v51, v1 op_sel:[1,1,0] op_sel_hi:[1,1,0]
	v_fma_mix_f32 v6, v27, v51, v6 op_sel:[1,1,0] op_sel_hi:[1,1,0]
	v_fma_mix_f32 v12, v29, v51, v12 op_sel:[1,1,0] op_sel_hi:[1,1,0]
	v_fma_mix_f32 v11, v31, v51, v11 op_sel:[1,1,0] op_sel_hi:[1,1,0]
	;; [unrolled: 17-line block ×4, first 2 shown]
	s_andn2_b32 exec_lo, exec_lo, s8
	s_cbranch_execnz .LBB93_21
; %bb.22:
	s_or_b32 exec_lo, exec_lo, s8
.LBB93_23:
	s_or_b32 exec_lo, exec_lo, s3
.LBB93_24:
	s_or_b32 exec_lo, exec_lo, s1
	s_cbranch_execz .LBB93_26
	s_branch .LBB93_37
.LBB93_25:
                                        ; implicit-def: $vgpr11
                                        ; implicit-def: $vgpr13
                                        ; implicit-def: $vgpr14
                                        ; implicit-def: $vgpr12
.LBB93_26:
	v_mov_b32_e32 v11, 0
	v_mov_b32_e32 v13, 0
	;; [unrolled: 1-line block ×4, first 2 shown]
	s_and_saveexec_b32 s1, s0
	s_cbranch_execz .LBB93_36
; %bb.27:
	v_add_nc_u32_e32 v1, v15, v9
	v_not_b32_e32 v5, v15
	v_mov_b32_e32 v12, 0
	v_mov_b32_e32 v14, 0
	;; [unrolled: 1-line block ×3, first 2 shown]
	v_subrev_nc_u32_e32 v1, s18, v1
	v_mov_b32_e32 v11, 0
	s_mov_b32 s0, exec_lo
	v_add_nc_u32_e32 v1, 32, v1
	v_max_i32_e32 v1, v1, v10
	v_add3_u32 v1, s18, v1, v5
	v_sub_nc_u32_e32 v5, v1, v9
	v_and_b32_e32 v1, 0x60, v5
	v_cmpx_ne_u32_e32 0x60, v1
	s_cbranch_execz .LBB93_31
; %bb.28:
	v_lshrrev_b32_e32 v1, 5, v5
	v_mov_b32_e32 v11, 0
	v_mov_b32_e32 v13, 0
	v_mov_b32_e32 v14, 0
	v_mov_b32_e32 v12, 0
	v_add_nc_u32_e32 v1, 1, v1
	s_mov_b32 s3, 0
	v_and_b32_e32 v1, 3, v1
	v_sub_nc_u32_e32 v6, 0, v1
.LBB93_29:                              ; =>This Inner Loop Header: Depth=1
	v_ashrrev_i32_e32 v1, 31, v0
	v_add_co_u32 v6, s8, v6, 1
	s_or_b32 s3, s8, s3
	v_lshlrev_b64 v[7:8], 2, v[0:1]
	v_add_nc_u32_e32 v0, 32, v0
	v_add_co_u32 v7, vcc_lo, s12, v7
	v_add_co_ci_u32_e64 v8, null, s13, v8, vcc_lo
	global_load_dword v1, v[7:8], off
	global_load_dwordx4 v[15:18], v[2:3], off
	s_waitcnt vmcnt(1)
	v_subrev_nc_u32_e32 v1, s18, v1
	v_lshlrev_b32_e32 v7, 2, v1
	v_ashrrev_i32_e32 v8, 31, v7
	v_lshlrev_b64 v[7:8], 1, v[7:8]
	v_add_co_u32 v7, vcc_lo, s6, v7
	v_add_co_ci_u32_e64 v8, null, s7, v8, vcc_lo
	global_load_dwordx2 v[7:8], v[7:8], off
	global_load_dwordx4 v[19:22], v[2:3], off offset:16
	v_add_co_u32 v2, vcc_lo, 0x400, v2
	v_add_co_ci_u32_e64 v3, null, 0, v3, vcc_lo
	s_waitcnt vmcnt(1)
	v_fma_mix_f32 v1, v15, v7, v12 op_sel_hi:[1,1,0]
	v_fma_mix_f32 v12, v15, v7, v14 op_sel:[1,0,0] op_sel_hi:[1,1,0]
	v_fma_mix_f32 v13, v16, v7, v13 op_sel_hi:[1,1,0]
	v_fma_mix_f32 v11, v16, v7, v11 op_sel:[1,0,0] op_sel_hi:[1,1,0]
	v_fma_mix_f32 v1, v17, v7, v1 op_sel:[0,1,0] op_sel_hi:[1,1,0]
	;; [unrolled: 1-line block ×5, first 2 shown]
	s_waitcnt vmcnt(0)
	v_fma_mix_f32 v1, v19, v8, v1 op_sel_hi:[1,1,0]
	v_fma_mix_f32 v11, v19, v8, v12 op_sel:[1,0,0] op_sel_hi:[1,1,0]
	v_fma_mix_f32 v13, v20, v8, v13 op_sel_hi:[1,1,0]
	v_fma_mix_f32 v7, v20, v8, v7 op_sel:[1,0,0] op_sel_hi:[1,1,0]
	v_fma_mix_f32 v12, v21, v8, v1 op_sel:[0,1,0] op_sel_hi:[1,1,0]
	v_fma_mix_f32 v14, v21, v8, v11 op_sel:[1,1,0] op_sel_hi:[1,1,0]
	v_fma_mix_f32 v13, v22, v8, v13 op_sel:[0,1,0] op_sel_hi:[1,1,0]
	v_fma_mix_f32 v11, v22, v8, v7 op_sel:[1,1,0] op_sel_hi:[1,1,0]
	s_andn2_b32 exec_lo, exec_lo, s3
	s_cbranch_execnz .LBB93_29
; %bb.30:
	s_or_b32 exec_lo, exec_lo, s3
.LBB93_31:
	s_or_b32 exec_lo, exec_lo, s0
	s_mov_b32 s0, exec_lo
	v_cmpx_lt_u32_e32 0x5f, v5
	s_cbranch_execz .LBB93_35
; %bb.32:
	s_mov_b32 s3, 0
.LBB93_33:                              ; =>This Inner Loop Header: Depth=1
	v_ashrrev_i32_e32 v1, 31, v0
	v_lshlrev_b64 v[5:6], 2, v[0:1]
	v_add_nc_u32_e32 v0, 0x80, v0
	v_add_co_u32 v5, vcc_lo, s12, v5
	v_add_co_ci_u32_e64 v6, null, s13, v6, vcc_lo
	v_add_co_u32 v39, vcc_lo, 0x800, v2
	v_add_co_ci_u32_e64 v40, null, 0, v3, vcc_lo
	s_clause 0x3
	global_load_dword v1, v[5:6], off
	global_load_dword v41, v[5:6], off offset:128
	global_load_dword v42, v[5:6], off offset:256
	;; [unrolled: 1-line block ×3, first 2 shown]
	s_clause 0x6
	global_load_dwordx4 v[5:8], v[2:3], off
	global_load_dwordx4 v[15:18], v[2:3], off offset:16
	global_load_dwordx4 v[19:22], v[2:3], off offset:1024
	global_load_dwordx4 v[23:26], v[2:3], off offset:1040
	global_load_dwordx4 v[27:30], v[39:40], off
	global_load_dwordx4 v[31:34], v[39:40], off offset:16
	global_load_dwordx4 v[35:38], v[39:40], off offset:1024
	s_waitcnt vmcnt(10)
	v_subrev_nc_u32_e32 v1, s18, v1
	s_waitcnt vmcnt(9)
	v_subrev_nc_u32_e32 v44, s18, v41
	;; [unrolled: 2-line block ×4, first 2 shown]
	v_lshlrev_b32_e32 v41, 2, v1
	v_lshlrev_b32_e32 v43, 2, v44
	;; [unrolled: 1-line block ×4, first 2 shown]
	v_ashrrev_i32_e32 v42, 31, v41
	v_ashrrev_i32_e32 v44, 31, v43
	;; [unrolled: 1-line block ×4, first 2 shown]
	v_lshlrev_b64 v[41:42], 1, v[41:42]
	v_add_co_u32 v41, vcc_lo, s6, v41
	v_add_co_ci_u32_e64 v42, null, s7, v42, vcc_lo
	global_load_dwordx2 v[49:50], v[41:42], off
	v_lshlrev_b64 v[41:42], 1, v[43:44]
	v_add_co_u32 v41, vcc_lo, s6, v41
	v_add_co_ci_u32_e64 v42, null, s7, v42, vcc_lo
	global_load_dwordx2 v[43:44], v[41:42], off
	;; [unrolled: 4-line block ×4, first 2 shown]
	global_load_dwordx4 v[39:42], v[39:40], off offset:1040
	v_add_co_u32 v2, vcc_lo, 0x1000, v2
	v_add_co_ci_u32_e64 v3, null, 0, v3, vcc_lo
	v_cmp_ge_i32_e32 vcc_lo, v0, v10
	s_or_b32 s3, vcc_lo, s3
	s_waitcnt vmcnt(4)
	v_fma_mix_f32 v1, v5, v49, v12 op_sel_hi:[1,1,0]
	v_fma_mix_f32 v5, v5, v49, v14 op_sel:[1,0,0] op_sel_hi:[1,1,0]
	v_fma_mix_f32 v12, v6, v49, v13 op_sel_hi:[1,1,0]
	v_fma_mix_f32 v6, v6, v49, v11 op_sel:[1,0,0] op_sel_hi:[1,1,0]
	v_fma_mix_f32 v1, v7, v49, v1 op_sel:[0,1,0] op_sel_hi:[1,1,0]
	v_fma_mix_f32 v5, v7, v49, v5 op_sel:[1,1,0] op_sel_hi:[1,1,0]
	v_fma_mix_f32 v7, v8, v49, v12 op_sel:[0,1,0] op_sel_hi:[1,1,0]
	v_fma_mix_f32 v6, v8, v49, v6 op_sel:[1,1,0] op_sel_hi:[1,1,0]
	v_fma_mix_f32 v1, v15, v50, v1 op_sel_hi:[1,1,0]
	v_fma_mix_f32 v5, v15, v50, v5 op_sel:[1,0,0] op_sel_hi:[1,1,0]
	v_fma_mix_f32 v7, v16, v50, v7 op_sel_hi:[1,1,0]
	v_fma_mix_f32 v6, v16, v50, v6 op_sel:[1,0,0] op_sel_hi:[1,1,0]
	v_fma_mix_f32 v1, v17, v50, v1 op_sel:[0,1,0] op_sel_hi:[1,1,0]
	v_fma_mix_f32 v5, v17, v50, v5 op_sel:[1,1,0] op_sel_hi:[1,1,0]
	v_fma_mix_f32 v7, v18, v50, v7 op_sel:[0,1,0] op_sel_hi:[1,1,0]
	v_fma_mix_f32 v6, v18, v50, v6 op_sel:[1,1,0] op_sel_hi:[1,1,0]
	s_waitcnt vmcnt(3)
	v_fma_mix_f32 v1, v19, v43, v1 op_sel_hi:[1,1,0]
	v_fma_mix_f32 v5, v19, v43, v5 op_sel:[1,0,0] op_sel_hi:[1,1,0]
	v_fma_mix_f32 v7, v20, v43, v7 op_sel_hi:[1,1,0]
	v_fma_mix_f32 v6, v20, v43, v6 op_sel:[1,0,0] op_sel_hi:[1,1,0]
	v_fma_mix_f32 v1, v21, v43, v1 op_sel:[0,1,0] op_sel_hi:[1,1,0]
	v_fma_mix_f32 v5, v21, v43, v5 op_sel:[1,1,0] op_sel_hi:[1,1,0]
	v_fma_mix_f32 v7, v22, v43, v7 op_sel:[0,1,0] op_sel_hi:[1,1,0]
	v_fma_mix_f32 v6, v22, v43, v6 op_sel:[1,1,0] op_sel_hi:[1,1,0]
	v_fma_mix_f32 v1, v23, v44, v1 op_sel_hi:[1,1,0]
	v_fma_mix_f32 v5, v23, v44, v5 op_sel:[1,0,0] op_sel_hi:[1,1,0]
	v_fma_mix_f32 v7, v24, v44, v7 op_sel_hi:[1,1,0]
	v_fma_mix_f32 v6, v24, v44, v6 op_sel:[1,0,0] op_sel_hi:[1,1,0]
	v_fma_mix_f32 v1, v25, v44, v1 op_sel:[0,1,0] op_sel_hi:[1,1,0]
	v_fma_mix_f32 v5, v25, v44, v5 op_sel:[1,1,0] op_sel_hi:[1,1,0]
	v_fma_mix_f32 v7, v26, v44, v7 op_sel:[0,1,0] op_sel_hi:[1,1,0]
	v_fma_mix_f32 v6, v26, v44, v6 op_sel:[1,1,0] op_sel_hi:[1,1,0]
	;; [unrolled: 17-line block ×3, first 2 shown]
	s_waitcnt vmcnt(1)
	v_fma_mix_f32 v1, v35, v47, v1 op_sel_hi:[1,1,0]
	v_fma_mix_f32 v5, v35, v47, v5 op_sel:[1,0,0] op_sel_hi:[1,1,0]
	v_fma_mix_f32 v7, v36, v47, v7 op_sel_hi:[1,1,0]
	v_fma_mix_f32 v6, v36, v47, v6 op_sel:[1,0,0] op_sel_hi:[1,1,0]
	v_fma_mix_f32 v1, v37, v47, v1 op_sel:[0,1,0] op_sel_hi:[1,1,0]
	;; [unrolled: 1-line block ×5, first 2 shown]
	s_waitcnt vmcnt(0)
	v_fma_mix_f32 v1, v39, v48, v1 op_sel_hi:[1,1,0]
	v_fma_mix_f32 v5, v39, v48, v5 op_sel:[1,0,0] op_sel_hi:[1,1,0]
	v_fma_mix_f32 v7, v40, v48, v7 op_sel_hi:[1,1,0]
	v_fma_mix_f32 v6, v40, v48, v6 op_sel:[1,0,0] op_sel_hi:[1,1,0]
	v_fma_mix_f32 v12, v41, v48, v1 op_sel:[0,1,0] op_sel_hi:[1,1,0]
	;; [unrolled: 1-line block ×5, first 2 shown]
	s_andn2_b32 exec_lo, exec_lo, s3
	s_cbranch_execnz .LBB93_33
; %bb.34:
	s_or_b32 exec_lo, exec_lo, s3
.LBB93_35:
	s_or_b32 exec_lo, exec_lo, s0
.LBB93_36:
	s_or_b32 exec_lo, exec_lo, s1
.LBB93_37:
	v_mbcnt_lo_u32_b32 v0, -1, 0
	s_mov_b32 s3, -1
	v_xor_b32_e32 v1, 16, v0
	v_xor_b32_e32 v6, 8, v0
	v_cmp_gt_i32_e32 vcc_lo, 32, v1
	v_cndmask_b32_e32 v1, v0, v1, vcc_lo
	v_cmp_gt_i32_e32 vcc_lo, 32, v6
	v_lshlrev_b32_e32 v1, 2, v1
	v_cndmask_b32_e32 v6, v0, v6, vcc_lo
	ds_bpermute_b32 v2, v1, v12
	ds_bpermute_b32 v3, v1, v14
	;; [unrolled: 1-line block ×4, first 2 shown]
	v_lshlrev_b32_e32 v6, 2, v6
	s_waitcnt lgkmcnt(3)
	v_add_f32_e32 v2, v12, v2
	s_waitcnt lgkmcnt(2)
	v_add_f32_e32 v3, v14, v3
	;; [unrolled: 2-line block ×4, first 2 shown]
	v_xor_b32_e32 v11, 4, v0
	ds_bpermute_b32 v7, v6, v2
	ds_bpermute_b32 v8, v6, v3
	;; [unrolled: 1-line block ×4, first 2 shown]
	v_cmp_gt_i32_e32 vcc_lo, 32, v11
	v_cndmask_b32_e32 v11, v0, v11, vcc_lo
	v_lshlrev_b32_e32 v11, 2, v11
	s_waitcnt lgkmcnt(3)
	v_add_f32_e32 v2, v2, v7
	s_waitcnt lgkmcnt(2)
	v_add_f32_e32 v3, v3, v8
	;; [unrolled: 2-line block ×4, first 2 shown]
	ds_bpermute_b32 v6, v11, v2
	ds_bpermute_b32 v7, v11, v3
	;; [unrolled: 1-line block ×4, first 2 shown]
	v_xor_b32_e32 v11, 2, v0
	v_cmp_gt_i32_e32 vcc_lo, 32, v11
	v_cndmask_b32_e32 v11, v0, v11, vcc_lo
	v_lshlrev_b32_e32 v11, 2, v11
	s_waitcnt lgkmcnt(3)
	v_add_f32_e32 v2, v2, v6
	s_waitcnt lgkmcnt(2)
	v_add_f32_e32 v3, v3, v7
	;; [unrolled: 2-line block ×4, first 2 shown]
	ds_bpermute_b32 v1, v11, v2
	ds_bpermute_b32 v7, v11, v3
	;; [unrolled: 1-line block ×4, first 2 shown]
	v_xor_b32_e32 v11, 1, v0
	v_cmp_gt_i32_e32 vcc_lo, 32, v11
	v_cndmask_b32_e32 v0, v0, v11, vcc_lo
	v_cmp_eq_u32_e32 vcc_lo, 31, v9
	v_lshlrev_b32_e32 v11, 2, v0
	s_waitcnt lgkmcnt(3)
	v_add_f32_e32 v0, v2, v1
	s_waitcnt lgkmcnt(2)
	v_add_f32_e32 v1, v3, v7
	;; [unrolled: 2-line block ×4, first 2 shown]
	ds_bpermute_b32 v5, v11, v0
	ds_bpermute_b32 v6, v11, v1
	;; [unrolled: 1-line block ×4, first 2 shown]
	s_and_b32 exec_lo, exec_lo, vcc_lo
	s_cbranch_execz .LBB93_10
; %bb.38:
	s_load_dwordx2 s[0:1], s[4:5], 0x50
	s_waitcnt lgkmcnt(0)
	v_add_f32_e32 v0, v0, v5
	v_add_f32_e32 v1, v1, v6
	;; [unrolled: 1-line block ×4, first 2 shown]
	v_cmp_eq_f32_e64 s4, s2, 0
	v_mul_f32_e32 v0, s16, v0
	v_mul_f32_e32 v1, s16, v1
	;; [unrolled: 1-line block ×4, first 2 shown]
	v_lshlrev_b32_e32 v4, 2, v4
	s_and_b32 vcc_lo, exec_lo, s4
	s_cbranch_vccz .LBB93_40
; %bb.39:
	v_ashrrev_i32_e32 v5, 31, v4
	s_mov_b32 s3, 0
	v_lshlrev_b64 v[5:6], 2, v[4:5]
	v_add_co_u32 v5, vcc_lo, s0, v5
	v_add_co_ci_u32_e64 v6, null, s1, v6, vcc_lo
	global_store_dwordx4 v[5:6], v[0:3], off
.LBB93_40:
	s_andn2_b32 vcc_lo, exec_lo, s3
	s_cbranch_vccnz .LBB93_10
; %bb.41:
	v_ashrrev_i32_e32 v5, 31, v4
	v_lshlrev_b64 v[4:5], 2, v[4:5]
	v_add_co_u32 v8, vcc_lo, s0, v4
	v_add_co_ci_u32_e64 v9, null, s1, v5, vcc_lo
	global_load_dwordx4 v[4:7], v[8:9], off
	s_waitcnt vmcnt(0)
	v_fmac_f32_e32 v0, s2, v4
	v_fmac_f32_e32 v1, s2, v5
	;; [unrolled: 1-line block ×4, first 2 shown]
	global_store_dwordx4 v[8:9], v[0:3], off
	s_endpgm
	.section	.rodata,"a",@progbits
	.p2align	6, 0x0
	.amdhsa_kernel _ZN9rocsparseL18bsrxmvn_4x4_kernelILj128ELj32EfiiDF16_DF16_fEEvT3_20rocsparse_direction_NS_24const_host_device_scalarIT1_EES1_PKS1_PKT2_SA_S7_PKT4_PKT5_S5_PT6_21rocsparse_index_base_b
		.amdhsa_group_segment_fixed_size 0
		.amdhsa_private_segment_fixed_size 0
		.amdhsa_kernarg_size 96
		.amdhsa_user_sgpr_count 6
		.amdhsa_user_sgpr_private_segment_buffer 1
		.amdhsa_user_sgpr_dispatch_ptr 0
		.amdhsa_user_sgpr_queue_ptr 0
		.amdhsa_user_sgpr_kernarg_segment_ptr 1
		.amdhsa_user_sgpr_dispatch_id 0
		.amdhsa_user_sgpr_flat_scratch_init 0
		.amdhsa_user_sgpr_private_segment_size 0
		.amdhsa_wavefront_size32 1
		.amdhsa_uses_dynamic_stack 0
		.amdhsa_system_sgpr_private_segment_wavefront_offset 0
		.amdhsa_system_sgpr_workgroup_id_x 1
		.amdhsa_system_sgpr_workgroup_id_y 0
		.amdhsa_system_sgpr_workgroup_id_z 0
		.amdhsa_system_sgpr_workgroup_info 0
		.amdhsa_system_vgpr_workitem_id 0
		.amdhsa_next_free_vgpr 56
		.amdhsa_next_free_sgpr 20
		.amdhsa_reserve_vcc 1
		.amdhsa_reserve_flat_scratch 0
		.amdhsa_float_round_mode_32 0
		.amdhsa_float_round_mode_16_64 0
		.amdhsa_float_denorm_mode_32 3
		.amdhsa_float_denorm_mode_16_64 3
		.amdhsa_dx10_clamp 1
		.amdhsa_ieee_mode 1
		.amdhsa_fp16_overflow 0
		.amdhsa_workgroup_processor_mode 1
		.amdhsa_memory_ordered 1
		.amdhsa_forward_progress 1
		.amdhsa_shared_vgpr_count 0
		.amdhsa_exception_fp_ieee_invalid_op 0
		.amdhsa_exception_fp_denorm_src 0
		.amdhsa_exception_fp_ieee_div_zero 0
		.amdhsa_exception_fp_ieee_overflow 0
		.amdhsa_exception_fp_ieee_underflow 0
		.amdhsa_exception_fp_ieee_inexact 0
		.amdhsa_exception_int_div_zero 0
	.end_amdhsa_kernel
	.section	.text._ZN9rocsparseL18bsrxmvn_4x4_kernelILj128ELj32EfiiDF16_DF16_fEEvT3_20rocsparse_direction_NS_24const_host_device_scalarIT1_EES1_PKS1_PKT2_SA_S7_PKT4_PKT5_S5_PT6_21rocsparse_index_base_b,"axG",@progbits,_ZN9rocsparseL18bsrxmvn_4x4_kernelILj128ELj32EfiiDF16_DF16_fEEvT3_20rocsparse_direction_NS_24const_host_device_scalarIT1_EES1_PKS1_PKT2_SA_S7_PKT4_PKT5_S5_PT6_21rocsparse_index_base_b,comdat
.Lfunc_end93:
	.size	_ZN9rocsparseL18bsrxmvn_4x4_kernelILj128ELj32EfiiDF16_DF16_fEEvT3_20rocsparse_direction_NS_24const_host_device_scalarIT1_EES1_PKS1_PKT2_SA_S7_PKT4_PKT5_S5_PT6_21rocsparse_index_base_b, .Lfunc_end93-_ZN9rocsparseL18bsrxmvn_4x4_kernelILj128ELj32EfiiDF16_DF16_fEEvT3_20rocsparse_direction_NS_24const_host_device_scalarIT1_EES1_PKS1_PKT2_SA_S7_PKT4_PKT5_S5_PT6_21rocsparse_index_base_b
                                        ; -- End function
	.set _ZN9rocsparseL18bsrxmvn_4x4_kernelILj128ELj32EfiiDF16_DF16_fEEvT3_20rocsparse_direction_NS_24const_host_device_scalarIT1_EES1_PKS1_PKT2_SA_S7_PKT4_PKT5_S5_PT6_21rocsparse_index_base_b.num_vgpr, 56
	.set _ZN9rocsparseL18bsrxmvn_4x4_kernelILj128ELj32EfiiDF16_DF16_fEEvT3_20rocsparse_direction_NS_24const_host_device_scalarIT1_EES1_PKS1_PKT2_SA_S7_PKT4_PKT5_S5_PT6_21rocsparse_index_base_b.num_agpr, 0
	.set _ZN9rocsparseL18bsrxmvn_4x4_kernelILj128ELj32EfiiDF16_DF16_fEEvT3_20rocsparse_direction_NS_24const_host_device_scalarIT1_EES1_PKS1_PKT2_SA_S7_PKT4_PKT5_S5_PT6_21rocsparse_index_base_b.numbered_sgpr, 20
	.set _ZN9rocsparseL18bsrxmvn_4x4_kernelILj128ELj32EfiiDF16_DF16_fEEvT3_20rocsparse_direction_NS_24const_host_device_scalarIT1_EES1_PKS1_PKT2_SA_S7_PKT4_PKT5_S5_PT6_21rocsparse_index_base_b.num_named_barrier, 0
	.set _ZN9rocsparseL18bsrxmvn_4x4_kernelILj128ELj32EfiiDF16_DF16_fEEvT3_20rocsparse_direction_NS_24const_host_device_scalarIT1_EES1_PKS1_PKT2_SA_S7_PKT4_PKT5_S5_PT6_21rocsparse_index_base_b.private_seg_size, 0
	.set _ZN9rocsparseL18bsrxmvn_4x4_kernelILj128ELj32EfiiDF16_DF16_fEEvT3_20rocsparse_direction_NS_24const_host_device_scalarIT1_EES1_PKS1_PKT2_SA_S7_PKT4_PKT5_S5_PT6_21rocsparse_index_base_b.uses_vcc, 1
	.set _ZN9rocsparseL18bsrxmvn_4x4_kernelILj128ELj32EfiiDF16_DF16_fEEvT3_20rocsparse_direction_NS_24const_host_device_scalarIT1_EES1_PKS1_PKT2_SA_S7_PKT4_PKT5_S5_PT6_21rocsparse_index_base_b.uses_flat_scratch, 0
	.set _ZN9rocsparseL18bsrxmvn_4x4_kernelILj128ELj32EfiiDF16_DF16_fEEvT3_20rocsparse_direction_NS_24const_host_device_scalarIT1_EES1_PKS1_PKT2_SA_S7_PKT4_PKT5_S5_PT6_21rocsparse_index_base_b.has_dyn_sized_stack, 0
	.set _ZN9rocsparseL18bsrxmvn_4x4_kernelILj128ELj32EfiiDF16_DF16_fEEvT3_20rocsparse_direction_NS_24const_host_device_scalarIT1_EES1_PKS1_PKT2_SA_S7_PKT4_PKT5_S5_PT6_21rocsparse_index_base_b.has_recursion, 0
	.set _ZN9rocsparseL18bsrxmvn_4x4_kernelILj128ELj32EfiiDF16_DF16_fEEvT3_20rocsparse_direction_NS_24const_host_device_scalarIT1_EES1_PKS1_PKT2_SA_S7_PKT4_PKT5_S5_PT6_21rocsparse_index_base_b.has_indirect_call, 0
	.section	.AMDGPU.csdata,"",@progbits
; Kernel info:
; codeLenInByte = 3820
; TotalNumSgprs: 22
; NumVgprs: 56
; ScratchSize: 0
; MemoryBound: 0
; FloatMode: 240
; IeeeMode: 1
; LDSByteSize: 0 bytes/workgroup (compile time only)
; SGPRBlocks: 0
; VGPRBlocks: 6
; NumSGPRsForWavesPerEU: 22
; NumVGPRsForWavesPerEU: 56
; Occupancy: 16
; WaveLimiterHint : 1
; COMPUTE_PGM_RSRC2:SCRATCH_EN: 0
; COMPUTE_PGM_RSRC2:USER_SGPR: 6
; COMPUTE_PGM_RSRC2:TRAP_HANDLER: 0
; COMPUTE_PGM_RSRC2:TGID_X_EN: 1
; COMPUTE_PGM_RSRC2:TGID_Y_EN: 0
; COMPUTE_PGM_RSRC2:TGID_Z_EN: 0
; COMPUTE_PGM_RSRC2:TIDIG_COMP_CNT: 0
	.section	.text._ZN9rocsparseL18bsrxmvn_4x4_kernelILj128ELj64EfiiDF16_DF16_fEEvT3_20rocsparse_direction_NS_24const_host_device_scalarIT1_EES1_PKS1_PKT2_SA_S7_PKT4_PKT5_S5_PT6_21rocsparse_index_base_b,"axG",@progbits,_ZN9rocsparseL18bsrxmvn_4x4_kernelILj128ELj64EfiiDF16_DF16_fEEvT3_20rocsparse_direction_NS_24const_host_device_scalarIT1_EES1_PKS1_PKT2_SA_S7_PKT4_PKT5_S5_PT6_21rocsparse_index_base_b,comdat
	.globl	_ZN9rocsparseL18bsrxmvn_4x4_kernelILj128ELj64EfiiDF16_DF16_fEEvT3_20rocsparse_direction_NS_24const_host_device_scalarIT1_EES1_PKS1_PKT2_SA_S7_PKT4_PKT5_S5_PT6_21rocsparse_index_base_b ; -- Begin function _ZN9rocsparseL18bsrxmvn_4x4_kernelILj128ELj64EfiiDF16_DF16_fEEvT3_20rocsparse_direction_NS_24const_host_device_scalarIT1_EES1_PKS1_PKT2_SA_S7_PKT4_PKT5_S5_PT6_21rocsparse_index_base_b
	.p2align	8
	.type	_ZN9rocsparseL18bsrxmvn_4x4_kernelILj128ELj64EfiiDF16_DF16_fEEvT3_20rocsparse_direction_NS_24const_host_device_scalarIT1_EES1_PKS1_PKT2_SA_S7_PKT4_PKT5_S5_PT6_21rocsparse_index_base_b,@function
_ZN9rocsparseL18bsrxmvn_4x4_kernelILj128ELj64EfiiDF16_DF16_fEEvT3_20rocsparse_direction_NS_24const_host_device_scalarIT1_EES1_PKS1_PKT2_SA_S7_PKT4_PKT5_S5_PT6_21rocsparse_index_base_b: ; @_ZN9rocsparseL18bsrxmvn_4x4_kernelILj128ELj64EfiiDF16_DF16_fEEvT3_20rocsparse_direction_NS_24const_host_device_scalarIT1_EES1_PKS1_PKT2_SA_S7_PKT4_PKT5_S5_PT6_21rocsparse_index_base_b
; %bb.0:
	s_clause 0x2
	s_load_dwordx2 s[18:19], s[4:5], 0x58
	s_load_dwordx2 s[16:17], s[4:5], 0x8
	;; [unrolled: 1-line block ×3, first 2 shown]
	s_waitcnt lgkmcnt(0)
	s_bitcmp1_b32 s19, 0
	s_cselect_b32 s0, -1, 0
	s_and_b32 vcc_lo, exec_lo, s0
	s_xor_b32 s0, s0, -1
	s_cbranch_vccnz .LBB94_2
; %bb.1:
	s_load_dword s16, s[16:17], 0x0
.LBB94_2:
	s_andn2_b32 vcc_lo, exec_lo, s0
	s_cbranch_vccnz .LBB94_4
; %bb.3:
	s_load_dword s2, s[2:3], 0x0
.LBB94_4:
	s_waitcnt lgkmcnt(0)
	v_cmp_neq_f32_e64 s0, s16, 0
	v_cmp_neq_f32_e64 s1, s2, 1.0
	s_mov_b32 s3, 0
	s_or_b32 s0, s0, s1
	s_andn2_b32 vcc_lo, exec_lo, s0
	s_cbranch_vccnz .LBB94_10
; %bb.5:
	s_clause 0x1
	s_load_dwordx2 s[8:9], s[4:5], 0x18
	s_load_dwordx2 s[0:1], s[4:5], 0x0
	v_lshrrev_b32_e32 v1, 6, v0
	v_lshl_or_b32 v4, s6, 1, v1
	s_waitcnt lgkmcnt(0)
	s_cmp_lg_u64 s[8:9], 0
	s_cbranch_scc0 .LBB94_11
; %bb.6:
	s_load_dword s3, s[4:5], 0x10
	s_mov_b32 s6, 0
                                        ; implicit-def: $vgpr1
	s_waitcnt lgkmcnt(0)
	v_cmp_gt_i32_e32 vcc_lo, s3, v4
	s_mov_b32 s3, 0
	s_and_saveexec_b32 s7, vcc_lo
	s_xor_b32 s7, exec_lo, s7
	s_cbranch_execz .LBB94_8
; %bb.7:
	v_ashrrev_i32_e32 v5, 31, v4
	s_mov_b32 s3, exec_lo
	v_lshlrev_b64 v[1:2], 2, v[4:5]
	v_add_co_u32 v1, vcc_lo, s8, v1
	v_add_co_ci_u32_e64 v2, null, s9, v2, vcc_lo
	global_load_dword v1, v[1:2], off
	s_waitcnt vmcnt(0)
	v_subrev_nc_u32_e32 v1, s18, v1
.LBB94_8:
	s_or_b32 exec_lo, exec_lo, s7
	s_and_b32 vcc_lo, exec_lo, s6
	s_cbranch_vccz .LBB94_12
.LBB94_9:
	v_cmp_gt_i32_e32 vcc_lo, s0, v4
	s_andn2_b32 s0, s3, exec_lo
	s_and_b32 s3, vcc_lo, exec_lo
	s_or_b32 s3, s0, s3
	s_and_saveexec_b32 s0, s3
	s_cbranch_execnz .LBB94_13
.LBB94_10:
	s_endpgm
.LBB94_11:
                                        ; implicit-def: $vgpr1
	s_cbranch_execnz .LBB94_9
.LBB94_12:
	v_mov_b32_e32 v4, v1
	s_and_saveexec_b32 s0, s3
	s_cbranch_execz .LBB94_10
.LBB94_13:
	s_load_dwordx8 s[8:15], s[4:5], 0x20
	v_ashrrev_i32_e32 v5, 31, v4
	v_and_b32_e32 v9, 63, v0
	s_load_dwordx2 s[6:7], s[4:5], 0x40
	v_lshlrev_b64 v[1:2], 2, v[4:5]
	s_waitcnt lgkmcnt(0)
	v_add_co_u32 v5, vcc_lo, s8, v1
	v_add_co_ci_u32_e64 v6, null, s9, v2, vcc_lo
	v_add_co_u32 v1, vcc_lo, s10, v1
	v_add_co_ci_u32_e64 v2, null, s11, v2, vcc_lo
	global_load_dword v15, v[5:6], off
	v_add_co_u32 v3, vcc_lo, v5, 4
	v_add_co_ci_u32_e64 v5, null, 0, v6, vcc_lo
	s_cmp_eq_u64 s[10:11], 0
	s_cselect_b32 vcc_lo, -1, 0
	s_cmp_eq_u32 s1, 1
	v_cndmask_b32_e32 v2, v2, v5, vcc_lo
	v_cndmask_b32_e32 v1, v1, v3, vcc_lo
	global_load_dword v5, v[1:2], off
	s_waitcnt vmcnt(1)
	v_subrev_nc_u32_e32 v0, s18, v15
	v_add_nc_u32_e32 v0, v0, v9
	v_ashrrev_i32_e32 v1, 31, v0
	s_waitcnt vmcnt(0)
	v_subrev_nc_u32_e32 v10, s18, v5
	v_lshlrev_b64 v[2:3], 5, v[0:1]
	v_cmp_lt_i32_e64 s0, v0, v10
	v_add_co_u32 v2, vcc_lo, s14, v2
	v_add_co_ci_u32_e64 v3, null, s15, v3, vcc_lo
	s_cbranch_scc1 .LBB94_25
; %bb.14:
	v_mov_b32_e32 v11, 0
	v_mov_b32_e32 v13, 0
	;; [unrolled: 1-line block ×4, first 2 shown]
	s_and_saveexec_b32 s1, s0
	s_cbranch_execz .LBB94_24
; %bb.15:
	v_add_nc_u32_e32 v1, v15, v9
	v_not_b32_e32 v5, v15
	v_mov_b32_e32 v8, v3
	v_mov_b32_e32 v12, 0
	;; [unrolled: 1-line block ×3, first 2 shown]
	v_subrev_nc_u32_e32 v1, s18, v1
	v_mov_b32_e32 v13, 0
	v_mov_b32_e32 v11, 0
	;; [unrolled: 1-line block ×3, first 2 shown]
	s_mov_b32 s3, exec_lo
	v_add_nc_u32_e32 v1, 64, v1
	v_max_i32_e32 v1, v1, v10
	v_add3_u32 v1, s18, v1, v5
	v_mov_b32_e32 v5, v0
	v_sub_nc_u32_e32 v1, v1, v9
	v_and_b32_e32 v6, 0xc0, v1
	v_cmpx_ne_u32_e32 0xc0, v6
	s_cbranch_execz .LBB94_19
; %bb.16:
	v_lshrrev_b32_e32 v5, 6, v1
	v_mov_b32_e32 v8, v3
	v_mov_b32_e32 v11, 0
	;; [unrolled: 1-line block ×4, first 2 shown]
	v_add_nc_u32_e32 v5, 1, v5
	v_mov_b32_e32 v14, 0
	v_mov_b32_e32 v12, 0
	s_mov_b32 s8, 0
	v_and_b32_e32 v6, 3, v5
	v_mov_b32_e32 v5, v0
	v_sub_nc_u32_e32 v16, 0, v6
.LBB94_17:                              ; =>This Inner Loop Header: Depth=1
	v_ashrrev_i32_e32 v6, 31, v5
	v_add_co_u32 v16, s9, v16, 1
	s_or_b32 s8, s9, s8
	v_lshlrev_b64 v[17:18], 2, v[5:6]
	v_add_nc_u32_e32 v5, 64, v5
	v_add_co_u32 v17, vcc_lo, s12, v17
	v_add_co_ci_u32_e64 v18, null, s13, v18, vcc_lo
	global_load_dword v6, v[17:18], off
	s_clause 0x1
	global_load_dwordx4 v[17:20], v[7:8], off
	global_load_dwordx4 v[21:24], v[7:8], off offset:16
	s_waitcnt vmcnt(2)
	v_subrev_nc_u32_e32 v6, s18, v6
	v_lshlrev_b32_e32 v25, 2, v6
	v_ashrrev_i32_e32 v26, 31, v25
	v_lshlrev_b64 v[25:26], 1, v[25:26]
	v_add_co_u32 v25, vcc_lo, s6, v25
	v_add_co_ci_u32_e64 v26, null, s7, v26, vcc_lo
	v_add_co_u32 v7, vcc_lo, 0x800, v7
	v_add_co_ci_u32_e64 v8, null, 0, v8, vcc_lo
	global_load_dwordx2 v[25:26], v[25:26], off
	s_waitcnt vmcnt(0)
	v_fma_mix_f32 v6, v17, v25, v12 op_sel_hi:[1,1,0]
	v_fma_mix_f32 v12, v19, v25, v14 op_sel_hi:[1,1,0]
	;; [unrolled: 1-line block ×4, first 2 shown]
	v_fma_mix_f32 v6, v17, v25, v6 op_sel:[1,1,0] op_sel_hi:[1,1,0]
	v_fma_mix_f32 v12, v19, v25, v12 op_sel:[1,1,0] op_sel_hi:[1,1,0]
	;; [unrolled: 1-line block ×4, first 2 shown]
	v_fma_mix_f32 v6, v18, v26, v6 op_sel_hi:[1,1,0]
	v_fma_mix_f32 v14, v20, v26, v12 op_sel_hi:[1,1,0]
	;; [unrolled: 1-line block ×4, first 2 shown]
	v_fma_mix_f32 v12, v18, v26, v6 op_sel:[1,1,0] op_sel_hi:[1,1,0]
	v_fma_mix_f32 v14, v20, v26, v14 op_sel:[1,1,0] op_sel_hi:[1,1,0]
	;; [unrolled: 1-line block ×4, first 2 shown]
	s_andn2_b32 exec_lo, exec_lo, s8
	s_cbranch_execnz .LBB94_17
; %bb.18:
	s_or_b32 exec_lo, exec_lo, s8
.LBB94_19:
	s_or_b32 exec_lo, exec_lo, s3
	s_mov_b32 s3, exec_lo
	v_cmpx_lt_u32_e32 0xbf, v1
	s_cbranch_execz .LBB94_23
; %bb.20:
	s_mov_b32 s8, 0
.LBB94_21:                              ; =>This Inner Loop Header: Depth=1
	v_ashrrev_i32_e32 v6, 31, v5
	v_lshlrev_b64 v[16:17], 2, v[5:6]
	v_add_nc_u32_e32 v5, 0x100, v5
	v_add_co_u32 v16, vcc_lo, s12, v16
	v_add_co_ci_u32_e64 v17, null, s13, v17, vcc_lo
	v_add_co_u32 v24, vcc_lo, 0x800, v7
	v_add_co_ci_u32_e64 v25, null, 0, v8, vcc_lo
	s_clause 0x3
	global_load_dword v1, v[16:17], off
	global_load_dword v6, v[16:17], off offset:256
	global_load_dword v48, v[16:17], off offset:512
	;; [unrolled: 1-line block ×3, first 2 shown]
	s_clause 0x1
	global_load_dwordx4 v[16:19], v[7:8], off
	global_load_dwordx4 v[20:23], v[7:8], off offset:16
	v_add_co_u32 v32, vcc_lo, v7, 0x1000
	v_add_co_ci_u32_e64 v33, null, 0, v8, vcc_lo
	v_add_co_u32 v36, vcc_lo, 0x1000, v7
	v_add_co_ci_u32_e64 v37, null, 0, v8, vcc_lo
	;; [unrolled: 2-line block ×3, first 2 shown]
	s_clause 0x5
	global_load_dwordx4 v[24:27], v[24:25], off offset:16
	global_load_dwordx4 v[28:31], v[32:33], off offset:-2048
	global_load_dwordx4 v[32:35], v[32:33], off
	global_load_dwordx4 v[36:39], v[36:37], off offset:16
	global_load_dwordx4 v[40:43], v[44:45], off
	global_load_dwordx4 v[44:47], v[44:45], off offset:16
	s_waitcnt vmcnt(11)
	v_subrev_nc_u32_e32 v1, s18, v1
	s_waitcnt vmcnt(10)
	v_subrev_nc_u32_e32 v6, s18, v6
	;; [unrolled: 2-line block ×4, first 2 shown]
	v_lshlrev_b32_e32 v48, 2, v1
	v_lshlrev_b32_e32 v50, 2, v6
	;; [unrolled: 1-line block ×4, first 2 shown]
	v_ashrrev_i32_e32 v49, 31, v48
	v_ashrrev_i32_e32 v51, 31, v50
	;; [unrolled: 1-line block ×4, first 2 shown]
	v_lshlrev_b64 v[48:49], 1, v[48:49]
	v_lshlrev_b64 v[50:51], 1, v[50:51]
	;; [unrolled: 1-line block ×4, first 2 shown]
	v_add_co_u32 v48, vcc_lo, s6, v48
	v_add_co_ci_u32_e64 v49, null, s7, v49, vcc_lo
	v_add_co_u32 v50, vcc_lo, s6, v50
	v_add_co_ci_u32_e64 v51, null, s7, v51, vcc_lo
	global_load_dwordx2 v[48:49], v[48:49], off
	v_add_co_u32 v52, vcc_lo, s6, v52
	global_load_dwordx2 v[50:51], v[50:51], off
	v_add_co_ci_u32_e64 v53, null, s7, v53, vcc_lo
	v_add_co_u32 v54, vcc_lo, s6, v54
	v_add_co_ci_u32_e64 v55, null, s7, v55, vcc_lo
	global_load_dwordx2 v[52:53], v[52:53], off
	v_add_co_u32 v7, vcc_lo, 0x2000, v7
	global_load_dwordx2 v[54:55], v[54:55], off
	v_add_co_ci_u32_e64 v8, null, 0, v8, vcc_lo
	v_cmp_ge_i32_e32 vcc_lo, v5, v10
	s_or_b32 s8, vcc_lo, s8
	s_waitcnt vmcnt(3)
	v_fma_mix_f32 v1, v16, v48, v12 op_sel_hi:[1,1,0]
	v_fma_mix_f32 v6, v18, v48, v14 op_sel_hi:[1,1,0]
	v_fma_mix_f32 v12, v20, v48, v13 op_sel_hi:[1,1,0]
	v_fma_mix_f32 v11, v22, v48, v11 op_sel_hi:[1,1,0]
	v_fma_mix_f32 v1, v16, v48, v1 op_sel:[1,1,0] op_sel_hi:[1,1,0]
	v_fma_mix_f32 v6, v18, v48, v6 op_sel:[1,1,0] op_sel_hi:[1,1,0]
	v_fma_mix_f32 v12, v20, v48, v12 op_sel:[1,1,0] op_sel_hi:[1,1,0]
	v_fma_mix_f32 v11, v22, v48, v11 op_sel:[1,1,0] op_sel_hi:[1,1,0]
	v_fma_mix_f32 v1, v17, v49, v1 op_sel_hi:[1,1,0]
	v_fma_mix_f32 v6, v19, v49, v6 op_sel_hi:[1,1,0]
	v_fma_mix_f32 v12, v21, v49, v12 op_sel_hi:[1,1,0]
	v_fma_mix_f32 v11, v23, v49, v11 op_sel_hi:[1,1,0]
	v_fma_mix_f32 v1, v17, v49, v1 op_sel:[1,1,0] op_sel_hi:[1,1,0]
	v_fma_mix_f32 v6, v19, v49, v6 op_sel:[1,1,0] op_sel_hi:[1,1,0]
	v_fma_mix_f32 v12, v21, v49, v12 op_sel:[1,1,0] op_sel_hi:[1,1,0]
	v_fma_mix_f32 v11, v23, v49, v11 op_sel:[1,1,0] op_sel_hi:[1,1,0]
	s_waitcnt vmcnt(2)
	v_fma_mix_f32 v1, v28, v50, v1 op_sel_hi:[1,1,0]
	v_fma_mix_f32 v6, v30, v50, v6 op_sel_hi:[1,1,0]
	v_fma_mix_f32 v12, v24, v50, v12 op_sel_hi:[1,1,0]
	v_fma_mix_f32 v11, v26, v50, v11 op_sel_hi:[1,1,0]
	v_fma_mix_f32 v1, v28, v50, v1 op_sel:[1,1,0] op_sel_hi:[1,1,0]
	v_fma_mix_f32 v6, v30, v50, v6 op_sel:[1,1,0] op_sel_hi:[1,1,0]
	v_fma_mix_f32 v12, v24, v50, v12 op_sel:[1,1,0] op_sel_hi:[1,1,0]
	v_fma_mix_f32 v11, v26, v50, v11 op_sel:[1,1,0] op_sel_hi:[1,1,0]
	v_fma_mix_f32 v1, v29, v51, v1 op_sel_hi:[1,1,0]
	v_fma_mix_f32 v6, v31, v51, v6 op_sel_hi:[1,1,0]
	v_fma_mix_f32 v12, v25, v51, v12 op_sel_hi:[1,1,0]
	v_fma_mix_f32 v11, v27, v51, v11 op_sel_hi:[1,1,0]
	v_fma_mix_f32 v1, v29, v51, v1 op_sel:[1,1,0] op_sel_hi:[1,1,0]
	v_fma_mix_f32 v6, v31, v51, v6 op_sel:[1,1,0] op_sel_hi:[1,1,0]
	v_fma_mix_f32 v12, v25, v51, v12 op_sel:[1,1,0] op_sel_hi:[1,1,0]
	v_fma_mix_f32 v11, v27, v51, v11 op_sel:[1,1,0] op_sel_hi:[1,1,0]
	;; [unrolled: 17-line block ×4, first 2 shown]
	s_andn2_b32 exec_lo, exec_lo, s8
	s_cbranch_execnz .LBB94_21
; %bb.22:
	s_or_b32 exec_lo, exec_lo, s8
.LBB94_23:
	s_or_b32 exec_lo, exec_lo, s3
.LBB94_24:
	s_or_b32 exec_lo, exec_lo, s1
	s_cbranch_execz .LBB94_26
	s_branch .LBB94_37
.LBB94_25:
                                        ; implicit-def: $vgpr11
                                        ; implicit-def: $vgpr13
                                        ; implicit-def: $vgpr14
                                        ; implicit-def: $vgpr12
.LBB94_26:
	v_mov_b32_e32 v11, 0
	v_mov_b32_e32 v13, 0
	;; [unrolled: 1-line block ×4, first 2 shown]
	s_and_saveexec_b32 s1, s0
	s_cbranch_execz .LBB94_36
; %bb.27:
	v_add_nc_u32_e32 v1, v15, v9
	v_not_b32_e32 v5, v15
	v_mov_b32_e32 v12, 0
	v_mov_b32_e32 v14, 0
	;; [unrolled: 1-line block ×3, first 2 shown]
	v_subrev_nc_u32_e32 v1, s18, v1
	v_mov_b32_e32 v11, 0
	s_mov_b32 s0, exec_lo
	v_add_nc_u32_e32 v1, 64, v1
	v_max_i32_e32 v1, v1, v10
	v_add3_u32 v1, s18, v1, v5
	v_sub_nc_u32_e32 v5, v1, v9
	v_and_b32_e32 v1, 0xc0, v5
	v_cmpx_ne_u32_e32 0xc0, v1
	s_cbranch_execz .LBB94_31
; %bb.28:
	v_lshrrev_b32_e32 v1, 6, v5
	v_mov_b32_e32 v11, 0
	v_mov_b32_e32 v13, 0
	;; [unrolled: 1-line block ×4, first 2 shown]
	v_add_nc_u32_e32 v1, 1, v1
	s_mov_b32 s3, 0
	v_and_b32_e32 v1, 3, v1
	v_sub_nc_u32_e32 v6, 0, v1
.LBB94_29:                              ; =>This Inner Loop Header: Depth=1
	v_ashrrev_i32_e32 v1, 31, v0
	v_add_co_u32 v6, s8, v6, 1
	s_or_b32 s3, s8, s3
	v_lshlrev_b64 v[7:8], 2, v[0:1]
	v_add_nc_u32_e32 v0, 64, v0
	v_add_co_u32 v7, vcc_lo, s12, v7
	v_add_co_ci_u32_e64 v8, null, s13, v8, vcc_lo
	global_load_dword v1, v[7:8], off
	global_load_dwordx4 v[15:18], v[2:3], off
	s_waitcnt vmcnt(1)
	v_subrev_nc_u32_e32 v1, s18, v1
	v_lshlrev_b32_e32 v7, 2, v1
	v_ashrrev_i32_e32 v8, 31, v7
	v_lshlrev_b64 v[7:8], 1, v[7:8]
	v_add_co_u32 v7, vcc_lo, s6, v7
	v_add_co_ci_u32_e64 v8, null, s7, v8, vcc_lo
	global_load_dwordx2 v[7:8], v[7:8], off
	global_load_dwordx4 v[19:22], v[2:3], off offset:16
	v_add_co_u32 v2, vcc_lo, 0x800, v2
	v_add_co_ci_u32_e64 v3, null, 0, v3, vcc_lo
	s_waitcnt vmcnt(1)
	v_fma_mix_f32 v1, v15, v7, v12 op_sel_hi:[1,1,0]
	v_fma_mix_f32 v12, v15, v7, v14 op_sel:[1,0,0] op_sel_hi:[1,1,0]
	v_fma_mix_f32 v13, v16, v7, v13 op_sel_hi:[1,1,0]
	v_fma_mix_f32 v11, v16, v7, v11 op_sel:[1,0,0] op_sel_hi:[1,1,0]
	v_fma_mix_f32 v1, v17, v7, v1 op_sel:[0,1,0] op_sel_hi:[1,1,0]
	;; [unrolled: 1-line block ×5, first 2 shown]
	s_waitcnt vmcnt(0)
	v_fma_mix_f32 v1, v19, v8, v1 op_sel_hi:[1,1,0]
	v_fma_mix_f32 v11, v19, v8, v12 op_sel:[1,0,0] op_sel_hi:[1,1,0]
	v_fma_mix_f32 v13, v20, v8, v13 op_sel_hi:[1,1,0]
	v_fma_mix_f32 v7, v20, v8, v7 op_sel:[1,0,0] op_sel_hi:[1,1,0]
	v_fma_mix_f32 v12, v21, v8, v1 op_sel:[0,1,0] op_sel_hi:[1,1,0]
	;; [unrolled: 1-line block ×5, first 2 shown]
	s_andn2_b32 exec_lo, exec_lo, s3
	s_cbranch_execnz .LBB94_29
; %bb.30:
	s_or_b32 exec_lo, exec_lo, s3
.LBB94_31:
	s_or_b32 exec_lo, exec_lo, s0
	s_mov_b32 s0, exec_lo
	v_cmpx_lt_u32_e32 0xbf, v5
	s_cbranch_execz .LBB94_35
; %bb.32:
	s_mov_b32 s3, 0
.LBB94_33:                              ; =>This Inner Loop Header: Depth=1
	v_ashrrev_i32_e32 v1, 31, v0
	v_lshlrev_b64 v[5:6], 2, v[0:1]
	v_add_nc_u32_e32 v0, 0x100, v0
	v_add_co_u32 v5, vcc_lo, s12, v5
	v_add_co_ci_u32_e64 v6, null, s13, v6, vcc_lo
	v_add_co_u32 v19, vcc_lo, 0x800, v2
	v_add_co_ci_u32_e64 v20, null, 0, v3, vcc_lo
	s_clause 0x3
	global_load_dword v1, v[5:6], off
	global_load_dword v41, v[5:6], off offset:256
	global_load_dword v42, v[5:6], off offset:512
	;; [unrolled: 1-line block ×3, first 2 shown]
	s_clause 0x1
	global_load_dwordx4 v[5:8], v[2:3], off
	global_load_dwordx4 v[15:18], v[2:3], off offset:16
	v_add_co_u32 v27, vcc_lo, v2, 0x1000
	v_add_co_ci_u32_e64 v28, null, 0, v3, vcc_lo
	v_add_co_u32 v31, vcc_lo, 0x1000, v2
	v_add_co_ci_u32_e64 v32, null, 0, v3, vcc_lo
	;; [unrolled: 2-line block ×3, first 2 shown]
	s_clause 0x4
	global_load_dwordx4 v[19:22], v[19:20], off offset:16
	global_load_dwordx4 v[23:26], v[27:28], off offset:-2048
	global_load_dwordx4 v[27:30], v[27:28], off
	global_load_dwordx4 v[31:34], v[31:32], off offset:16
	global_load_dwordx4 v[35:38], v[39:40], off
	s_waitcnt vmcnt(10)
	v_subrev_nc_u32_e32 v1, s18, v1
	s_waitcnt vmcnt(9)
	v_subrev_nc_u32_e32 v44, s18, v41
	;; [unrolled: 2-line block ×4, first 2 shown]
	v_lshlrev_b32_e32 v41, 2, v1
	v_lshlrev_b32_e32 v43, 2, v44
	;; [unrolled: 1-line block ×4, first 2 shown]
	v_ashrrev_i32_e32 v42, 31, v41
	v_ashrrev_i32_e32 v44, 31, v43
	;; [unrolled: 1-line block ×4, first 2 shown]
	v_lshlrev_b64 v[41:42], 1, v[41:42]
	v_add_co_u32 v41, vcc_lo, s6, v41
	v_add_co_ci_u32_e64 v42, null, s7, v42, vcc_lo
	global_load_dwordx2 v[49:50], v[41:42], off
	v_lshlrev_b64 v[41:42], 1, v[43:44]
	v_add_co_u32 v41, vcc_lo, s6, v41
	v_add_co_ci_u32_e64 v42, null, s7, v42, vcc_lo
	global_load_dwordx2 v[43:44], v[41:42], off
	;; [unrolled: 4-line block ×4, first 2 shown]
	global_load_dwordx4 v[39:42], v[39:40], off offset:16
	v_add_co_u32 v2, vcc_lo, 0x2000, v2
	v_add_co_ci_u32_e64 v3, null, 0, v3, vcc_lo
	v_cmp_ge_i32_e32 vcc_lo, v0, v10
	s_or_b32 s3, vcc_lo, s3
	s_waitcnt vmcnt(4)
	v_fma_mix_f32 v1, v5, v49, v12 op_sel_hi:[1,1,0]
	v_fma_mix_f32 v5, v5, v49, v14 op_sel:[1,0,0] op_sel_hi:[1,1,0]
	v_fma_mix_f32 v12, v6, v49, v13 op_sel_hi:[1,1,0]
	v_fma_mix_f32 v6, v6, v49, v11 op_sel:[1,0,0] op_sel_hi:[1,1,0]
	v_fma_mix_f32 v1, v7, v49, v1 op_sel:[0,1,0] op_sel_hi:[1,1,0]
	v_fma_mix_f32 v5, v7, v49, v5 op_sel:[1,1,0] op_sel_hi:[1,1,0]
	v_fma_mix_f32 v7, v8, v49, v12 op_sel:[0,1,0] op_sel_hi:[1,1,0]
	v_fma_mix_f32 v6, v8, v49, v6 op_sel:[1,1,0] op_sel_hi:[1,1,0]
	v_fma_mix_f32 v1, v15, v50, v1 op_sel_hi:[1,1,0]
	v_fma_mix_f32 v5, v15, v50, v5 op_sel:[1,0,0] op_sel_hi:[1,1,0]
	v_fma_mix_f32 v7, v16, v50, v7 op_sel_hi:[1,1,0]
	v_fma_mix_f32 v6, v16, v50, v6 op_sel:[1,0,0] op_sel_hi:[1,1,0]
	v_fma_mix_f32 v1, v17, v50, v1 op_sel:[0,1,0] op_sel_hi:[1,1,0]
	v_fma_mix_f32 v5, v17, v50, v5 op_sel:[1,1,0] op_sel_hi:[1,1,0]
	v_fma_mix_f32 v7, v18, v50, v7 op_sel:[0,1,0] op_sel_hi:[1,1,0]
	v_fma_mix_f32 v6, v18, v50, v6 op_sel:[1,1,0] op_sel_hi:[1,1,0]
	s_waitcnt vmcnt(3)
	v_fma_mix_f32 v1, v23, v43, v1 op_sel_hi:[1,1,0]
	v_fma_mix_f32 v5, v23, v43, v5 op_sel:[1,0,0] op_sel_hi:[1,1,0]
	v_fma_mix_f32 v7, v24, v43, v7 op_sel_hi:[1,1,0]
	v_fma_mix_f32 v6, v24, v43, v6 op_sel:[1,0,0] op_sel_hi:[1,1,0]
	v_fma_mix_f32 v1, v25, v43, v1 op_sel:[0,1,0] op_sel_hi:[1,1,0]
	v_fma_mix_f32 v5, v25, v43, v5 op_sel:[1,1,0] op_sel_hi:[1,1,0]
	v_fma_mix_f32 v7, v26, v43, v7 op_sel:[0,1,0] op_sel_hi:[1,1,0]
	v_fma_mix_f32 v6, v26, v43, v6 op_sel:[1,1,0] op_sel_hi:[1,1,0]
	v_fma_mix_f32 v1, v19, v44, v1 op_sel_hi:[1,1,0]
	v_fma_mix_f32 v5, v19, v44, v5 op_sel:[1,0,0] op_sel_hi:[1,1,0]
	v_fma_mix_f32 v7, v20, v44, v7 op_sel_hi:[1,1,0]
	v_fma_mix_f32 v6, v20, v44, v6 op_sel:[1,0,0] op_sel_hi:[1,1,0]
	v_fma_mix_f32 v1, v21, v44, v1 op_sel:[0,1,0] op_sel_hi:[1,1,0]
	v_fma_mix_f32 v5, v21, v44, v5 op_sel:[1,1,0] op_sel_hi:[1,1,0]
	v_fma_mix_f32 v7, v22, v44, v7 op_sel:[0,1,0] op_sel_hi:[1,1,0]
	v_fma_mix_f32 v6, v22, v44, v6 op_sel:[1,1,0] op_sel_hi:[1,1,0]
	s_waitcnt vmcnt(2)
	v_fma_mix_f32 v1, v27, v45, v1 op_sel_hi:[1,1,0]
	v_fma_mix_f32 v5, v27, v45, v5 op_sel:[1,0,0] op_sel_hi:[1,1,0]
	v_fma_mix_f32 v7, v28, v45, v7 op_sel_hi:[1,1,0]
	v_fma_mix_f32 v6, v28, v45, v6 op_sel:[1,0,0] op_sel_hi:[1,1,0]
	v_fma_mix_f32 v1, v29, v45, v1 op_sel:[0,1,0] op_sel_hi:[1,1,0]
	v_fma_mix_f32 v5, v29, v45, v5 op_sel:[1,1,0] op_sel_hi:[1,1,0]
	v_fma_mix_f32 v7, v30, v45, v7 op_sel:[0,1,0] op_sel_hi:[1,1,0]
	v_fma_mix_f32 v6, v30, v45, v6 op_sel:[1,1,0] op_sel_hi:[1,1,0]
	v_fma_mix_f32 v1, v31, v46, v1 op_sel_hi:[1,1,0]
	v_fma_mix_f32 v5, v31, v46, v5 op_sel:[1,0,0] op_sel_hi:[1,1,0]
	v_fma_mix_f32 v7, v32, v46, v7 op_sel_hi:[1,1,0]
	v_fma_mix_f32 v6, v32, v46, v6 op_sel:[1,0,0] op_sel_hi:[1,1,0]
	v_fma_mix_f32 v1, v33, v46, v1 op_sel:[0,1,0] op_sel_hi:[1,1,0]
	v_fma_mix_f32 v5, v33, v46, v5 op_sel:[1,1,0] op_sel_hi:[1,1,0]
	v_fma_mix_f32 v7, v34, v46, v7 op_sel:[0,1,0] op_sel_hi:[1,1,0]
	v_fma_mix_f32 v6, v34, v46, v6 op_sel:[1,1,0] op_sel_hi:[1,1,0]
	s_waitcnt vmcnt(1)
	v_fma_mix_f32 v1, v35, v47, v1 op_sel_hi:[1,1,0]
	v_fma_mix_f32 v5, v35, v47, v5 op_sel:[1,0,0] op_sel_hi:[1,1,0]
	v_fma_mix_f32 v7, v36, v47, v7 op_sel_hi:[1,1,0]
	v_fma_mix_f32 v6, v36, v47, v6 op_sel:[1,0,0] op_sel_hi:[1,1,0]
	v_fma_mix_f32 v1, v37, v47, v1 op_sel:[0,1,0] op_sel_hi:[1,1,0]
	;; [unrolled: 1-line block ×5, first 2 shown]
	s_waitcnt vmcnt(0)
	v_fma_mix_f32 v1, v39, v48, v1 op_sel_hi:[1,1,0]
	v_fma_mix_f32 v5, v39, v48, v5 op_sel:[1,0,0] op_sel_hi:[1,1,0]
	v_fma_mix_f32 v7, v40, v48, v7 op_sel_hi:[1,1,0]
	v_fma_mix_f32 v6, v40, v48, v6 op_sel:[1,0,0] op_sel_hi:[1,1,0]
	v_fma_mix_f32 v12, v41, v48, v1 op_sel:[0,1,0] op_sel_hi:[1,1,0]
	;; [unrolled: 1-line block ×5, first 2 shown]
	s_andn2_b32 exec_lo, exec_lo, s3
	s_cbranch_execnz .LBB94_33
; %bb.34:
	s_or_b32 exec_lo, exec_lo, s3
.LBB94_35:
	s_or_b32 exec_lo, exec_lo, s0
.LBB94_36:
	s_or_b32 exec_lo, exec_lo, s1
.LBB94_37:
	v_mbcnt_lo_u32_b32 v0, -1, 0
	s_mov_b32 s3, -1
	v_or_b32_e32 v1, 32, v0
	v_xor_b32_e32 v6, 16, v0
	v_cmp_gt_i32_e32 vcc_lo, 32, v1
	v_cndmask_b32_e32 v1, v0, v1, vcc_lo
	v_cmp_gt_i32_e32 vcc_lo, 32, v6
	v_lshlrev_b32_e32 v1, 2, v1
	v_cndmask_b32_e32 v6, v0, v6, vcc_lo
	ds_bpermute_b32 v2, v1, v12
	ds_bpermute_b32 v3, v1, v14
	;; [unrolled: 1-line block ×4, first 2 shown]
	v_lshlrev_b32_e32 v6, 2, v6
	s_waitcnt lgkmcnt(3)
	v_add_f32_e32 v2, v12, v2
	s_waitcnt lgkmcnt(2)
	v_add_f32_e32 v3, v14, v3
	;; [unrolled: 2-line block ×4, first 2 shown]
	v_xor_b32_e32 v11, 8, v0
	ds_bpermute_b32 v7, v6, v2
	ds_bpermute_b32 v8, v6, v3
	ds_bpermute_b32 v10, v6, v5
	ds_bpermute_b32 v6, v6, v1
	v_cmp_gt_i32_e32 vcc_lo, 32, v11
	v_cndmask_b32_e32 v11, v0, v11, vcc_lo
	v_lshlrev_b32_e32 v11, 2, v11
	s_waitcnt lgkmcnt(3)
	v_add_f32_e32 v2, v2, v7
	s_waitcnt lgkmcnt(2)
	v_add_f32_e32 v3, v3, v8
	s_waitcnt lgkmcnt(1)
	v_add_f32_e32 v5, v5, v10
	s_waitcnt lgkmcnt(0)
	v_add_f32_e32 v1, v1, v6
	ds_bpermute_b32 v6, v11, v2
	ds_bpermute_b32 v7, v11, v3
	ds_bpermute_b32 v8, v11, v5
	ds_bpermute_b32 v10, v11, v1
	v_xor_b32_e32 v11, 4, v0
	v_cmp_gt_i32_e32 vcc_lo, 32, v11
	v_cndmask_b32_e32 v11, v0, v11, vcc_lo
	v_lshlrev_b32_e32 v11, 2, v11
	s_waitcnt lgkmcnt(3)
	v_add_f32_e32 v2, v2, v6
	s_waitcnt lgkmcnt(2)
	v_add_f32_e32 v3, v3, v7
	s_waitcnt lgkmcnt(1)
	v_add_f32_e32 v5, v5, v8
	s_waitcnt lgkmcnt(0)
	v_add_f32_e32 v1, v1, v10
	ds_bpermute_b32 v6, v11, v2
	ds_bpermute_b32 v7, v11, v3
	ds_bpermute_b32 v8, v11, v5
	ds_bpermute_b32 v10, v11, v1
	v_xor_b32_e32 v11, 2, v0
	;; [unrolled: 16-line block ×3, first 2 shown]
	v_cmp_gt_i32_e32 vcc_lo, 32, v11
	v_cndmask_b32_e32 v0, v0, v11, vcc_lo
	v_cmp_eq_u32_e32 vcc_lo, 63, v9
	v_lshlrev_b32_e32 v11, 2, v0
	s_waitcnt lgkmcnt(3)
	v_add_f32_e32 v0, v2, v1
	s_waitcnt lgkmcnt(2)
	v_add_f32_e32 v1, v3, v7
	;; [unrolled: 2-line block ×4, first 2 shown]
	ds_bpermute_b32 v5, v11, v0
	ds_bpermute_b32 v6, v11, v1
	;; [unrolled: 1-line block ×4, first 2 shown]
	s_and_b32 exec_lo, exec_lo, vcc_lo
	s_cbranch_execz .LBB94_10
; %bb.38:
	s_load_dwordx2 s[0:1], s[4:5], 0x50
	s_waitcnt lgkmcnt(0)
	v_add_f32_e32 v0, v0, v5
	v_add_f32_e32 v1, v1, v6
	;; [unrolled: 1-line block ×4, first 2 shown]
	v_cmp_eq_f32_e64 s4, s2, 0
	v_mul_f32_e32 v0, s16, v0
	v_mul_f32_e32 v1, s16, v1
	;; [unrolled: 1-line block ×4, first 2 shown]
	v_lshlrev_b32_e32 v4, 2, v4
	s_and_b32 vcc_lo, exec_lo, s4
	s_cbranch_vccz .LBB94_40
; %bb.39:
	v_ashrrev_i32_e32 v5, 31, v4
	s_mov_b32 s3, 0
	v_lshlrev_b64 v[5:6], 2, v[4:5]
	v_add_co_u32 v5, vcc_lo, s0, v5
	v_add_co_ci_u32_e64 v6, null, s1, v6, vcc_lo
	global_store_dwordx4 v[5:6], v[0:3], off
.LBB94_40:
	s_andn2_b32 vcc_lo, exec_lo, s3
	s_cbranch_vccnz .LBB94_10
; %bb.41:
	v_ashrrev_i32_e32 v5, 31, v4
	v_lshlrev_b64 v[4:5], 2, v[4:5]
	v_add_co_u32 v8, vcc_lo, s0, v4
	v_add_co_ci_u32_e64 v9, null, s1, v5, vcc_lo
	global_load_dwordx4 v[4:7], v[8:9], off
	s_waitcnt vmcnt(0)
	v_fmac_f32_e32 v0, s2, v4
	v_fmac_f32_e32 v1, s2, v5
	v_fmac_f32_e32 v2, s2, v6
	v_fmac_f32_e32 v3, s2, v7
	global_store_dwordx4 v[8:9], v[0:3], off
	s_endpgm
	.section	.rodata,"a",@progbits
	.p2align	6, 0x0
	.amdhsa_kernel _ZN9rocsparseL18bsrxmvn_4x4_kernelILj128ELj64EfiiDF16_DF16_fEEvT3_20rocsparse_direction_NS_24const_host_device_scalarIT1_EES1_PKS1_PKT2_SA_S7_PKT4_PKT5_S5_PT6_21rocsparse_index_base_b
		.amdhsa_group_segment_fixed_size 0
		.amdhsa_private_segment_fixed_size 0
		.amdhsa_kernarg_size 96
		.amdhsa_user_sgpr_count 6
		.amdhsa_user_sgpr_private_segment_buffer 1
		.amdhsa_user_sgpr_dispatch_ptr 0
		.amdhsa_user_sgpr_queue_ptr 0
		.amdhsa_user_sgpr_kernarg_segment_ptr 1
		.amdhsa_user_sgpr_dispatch_id 0
		.amdhsa_user_sgpr_flat_scratch_init 0
		.amdhsa_user_sgpr_private_segment_size 0
		.amdhsa_wavefront_size32 1
		.amdhsa_uses_dynamic_stack 0
		.amdhsa_system_sgpr_private_segment_wavefront_offset 0
		.amdhsa_system_sgpr_workgroup_id_x 1
		.amdhsa_system_sgpr_workgroup_id_y 0
		.amdhsa_system_sgpr_workgroup_id_z 0
		.amdhsa_system_sgpr_workgroup_info 0
		.amdhsa_system_vgpr_workitem_id 0
		.amdhsa_next_free_vgpr 56
		.amdhsa_next_free_sgpr 20
		.amdhsa_reserve_vcc 1
		.amdhsa_reserve_flat_scratch 0
		.amdhsa_float_round_mode_32 0
		.amdhsa_float_round_mode_16_64 0
		.amdhsa_float_denorm_mode_32 3
		.amdhsa_float_denorm_mode_16_64 3
		.amdhsa_dx10_clamp 1
		.amdhsa_ieee_mode 1
		.amdhsa_fp16_overflow 0
		.amdhsa_workgroup_processor_mode 1
		.amdhsa_memory_ordered 1
		.amdhsa_forward_progress 1
		.amdhsa_shared_vgpr_count 0
		.amdhsa_exception_fp_ieee_invalid_op 0
		.amdhsa_exception_fp_denorm_src 0
		.amdhsa_exception_fp_ieee_div_zero 0
		.amdhsa_exception_fp_ieee_overflow 0
		.amdhsa_exception_fp_ieee_underflow 0
		.amdhsa_exception_fp_ieee_inexact 0
		.amdhsa_exception_int_div_zero 0
	.end_amdhsa_kernel
	.section	.text._ZN9rocsparseL18bsrxmvn_4x4_kernelILj128ELj64EfiiDF16_DF16_fEEvT3_20rocsparse_direction_NS_24const_host_device_scalarIT1_EES1_PKS1_PKT2_SA_S7_PKT4_PKT5_S5_PT6_21rocsparse_index_base_b,"axG",@progbits,_ZN9rocsparseL18bsrxmvn_4x4_kernelILj128ELj64EfiiDF16_DF16_fEEvT3_20rocsparse_direction_NS_24const_host_device_scalarIT1_EES1_PKS1_PKT2_SA_S7_PKT4_PKT5_S5_PT6_21rocsparse_index_base_b,comdat
.Lfunc_end94:
	.size	_ZN9rocsparseL18bsrxmvn_4x4_kernelILj128ELj64EfiiDF16_DF16_fEEvT3_20rocsparse_direction_NS_24const_host_device_scalarIT1_EES1_PKS1_PKT2_SA_S7_PKT4_PKT5_S5_PT6_21rocsparse_index_base_b, .Lfunc_end94-_ZN9rocsparseL18bsrxmvn_4x4_kernelILj128ELj64EfiiDF16_DF16_fEEvT3_20rocsparse_direction_NS_24const_host_device_scalarIT1_EES1_PKS1_PKT2_SA_S7_PKT4_PKT5_S5_PT6_21rocsparse_index_base_b
                                        ; -- End function
	.set _ZN9rocsparseL18bsrxmvn_4x4_kernelILj128ELj64EfiiDF16_DF16_fEEvT3_20rocsparse_direction_NS_24const_host_device_scalarIT1_EES1_PKS1_PKT2_SA_S7_PKT4_PKT5_S5_PT6_21rocsparse_index_base_b.num_vgpr, 56
	.set _ZN9rocsparseL18bsrxmvn_4x4_kernelILj128ELj64EfiiDF16_DF16_fEEvT3_20rocsparse_direction_NS_24const_host_device_scalarIT1_EES1_PKS1_PKT2_SA_S7_PKT4_PKT5_S5_PT6_21rocsparse_index_base_b.num_agpr, 0
	.set _ZN9rocsparseL18bsrxmvn_4x4_kernelILj128ELj64EfiiDF16_DF16_fEEvT3_20rocsparse_direction_NS_24const_host_device_scalarIT1_EES1_PKS1_PKT2_SA_S7_PKT4_PKT5_S5_PT6_21rocsparse_index_base_b.numbered_sgpr, 20
	.set _ZN9rocsparseL18bsrxmvn_4x4_kernelILj128ELj64EfiiDF16_DF16_fEEvT3_20rocsparse_direction_NS_24const_host_device_scalarIT1_EES1_PKS1_PKT2_SA_S7_PKT4_PKT5_S5_PT6_21rocsparse_index_base_b.num_named_barrier, 0
	.set _ZN9rocsparseL18bsrxmvn_4x4_kernelILj128ELj64EfiiDF16_DF16_fEEvT3_20rocsparse_direction_NS_24const_host_device_scalarIT1_EES1_PKS1_PKT2_SA_S7_PKT4_PKT5_S5_PT6_21rocsparse_index_base_b.private_seg_size, 0
	.set _ZN9rocsparseL18bsrxmvn_4x4_kernelILj128ELj64EfiiDF16_DF16_fEEvT3_20rocsparse_direction_NS_24const_host_device_scalarIT1_EES1_PKS1_PKT2_SA_S7_PKT4_PKT5_S5_PT6_21rocsparse_index_base_b.uses_vcc, 1
	.set _ZN9rocsparseL18bsrxmvn_4x4_kernelILj128ELj64EfiiDF16_DF16_fEEvT3_20rocsparse_direction_NS_24const_host_device_scalarIT1_EES1_PKS1_PKT2_SA_S7_PKT4_PKT5_S5_PT6_21rocsparse_index_base_b.uses_flat_scratch, 0
	.set _ZN9rocsparseL18bsrxmvn_4x4_kernelILj128ELj64EfiiDF16_DF16_fEEvT3_20rocsparse_direction_NS_24const_host_device_scalarIT1_EES1_PKS1_PKT2_SA_S7_PKT4_PKT5_S5_PT6_21rocsparse_index_base_b.has_dyn_sized_stack, 0
	.set _ZN9rocsparseL18bsrxmvn_4x4_kernelILj128ELj64EfiiDF16_DF16_fEEvT3_20rocsparse_direction_NS_24const_host_device_scalarIT1_EES1_PKS1_PKT2_SA_S7_PKT4_PKT5_S5_PT6_21rocsparse_index_base_b.has_recursion, 0
	.set _ZN9rocsparseL18bsrxmvn_4x4_kernelILj128ELj64EfiiDF16_DF16_fEEvT3_20rocsparse_direction_NS_24const_host_device_scalarIT1_EES1_PKS1_PKT2_SA_S7_PKT4_PKT5_S5_PT6_21rocsparse_index_base_b.has_indirect_call, 0
	.section	.AMDGPU.csdata,"",@progbits
; Kernel info:
; codeLenInByte = 4028
; TotalNumSgprs: 22
; NumVgprs: 56
; ScratchSize: 0
; MemoryBound: 0
; FloatMode: 240
; IeeeMode: 1
; LDSByteSize: 0 bytes/workgroup (compile time only)
; SGPRBlocks: 0
; VGPRBlocks: 6
; NumSGPRsForWavesPerEU: 22
; NumVGPRsForWavesPerEU: 56
; Occupancy: 16
; WaveLimiterHint : 1
; COMPUTE_PGM_RSRC2:SCRATCH_EN: 0
; COMPUTE_PGM_RSRC2:USER_SGPR: 6
; COMPUTE_PGM_RSRC2:TRAP_HANDLER: 0
; COMPUTE_PGM_RSRC2:TGID_X_EN: 1
; COMPUTE_PGM_RSRC2:TGID_Y_EN: 0
; COMPUTE_PGM_RSRC2:TGID_Z_EN: 0
; COMPUTE_PGM_RSRC2:TIDIG_COMP_CNT: 0
	.section	.text._ZN9rocsparseL18bsrxmvn_4x4_kernelILj128ELj4EfliDF16_DF16_fEEvT3_20rocsparse_direction_NS_24const_host_device_scalarIT1_EES1_PKS1_PKT2_SA_S7_PKT4_PKT5_S5_PT6_21rocsparse_index_base_b,"axG",@progbits,_ZN9rocsparseL18bsrxmvn_4x4_kernelILj128ELj4EfliDF16_DF16_fEEvT3_20rocsparse_direction_NS_24const_host_device_scalarIT1_EES1_PKS1_PKT2_SA_S7_PKT4_PKT5_S5_PT6_21rocsparse_index_base_b,comdat
	.globl	_ZN9rocsparseL18bsrxmvn_4x4_kernelILj128ELj4EfliDF16_DF16_fEEvT3_20rocsparse_direction_NS_24const_host_device_scalarIT1_EES1_PKS1_PKT2_SA_S7_PKT4_PKT5_S5_PT6_21rocsparse_index_base_b ; -- Begin function _ZN9rocsparseL18bsrxmvn_4x4_kernelILj128ELj4EfliDF16_DF16_fEEvT3_20rocsparse_direction_NS_24const_host_device_scalarIT1_EES1_PKS1_PKT2_SA_S7_PKT4_PKT5_S5_PT6_21rocsparse_index_base_b
	.p2align	8
	.type	_ZN9rocsparseL18bsrxmvn_4x4_kernelILj128ELj4EfliDF16_DF16_fEEvT3_20rocsparse_direction_NS_24const_host_device_scalarIT1_EES1_PKS1_PKT2_SA_S7_PKT4_PKT5_S5_PT6_21rocsparse_index_base_b,@function
_ZN9rocsparseL18bsrxmvn_4x4_kernelILj128ELj4EfliDF16_DF16_fEEvT3_20rocsparse_direction_NS_24const_host_device_scalarIT1_EES1_PKS1_PKT2_SA_S7_PKT4_PKT5_S5_PT6_21rocsparse_index_base_b: ; @_ZN9rocsparseL18bsrxmvn_4x4_kernelILj128ELj4EfliDF16_DF16_fEEvT3_20rocsparse_direction_NS_24const_host_device_scalarIT1_EES1_PKS1_PKT2_SA_S7_PKT4_PKT5_S5_PT6_21rocsparse_index_base_b
; %bb.0:
	s_clause 0x2
	s_load_dwordx2 s[18:19], s[4:5], 0x58
	s_load_dwordx2 s[16:17], s[4:5], 0x8
	;; [unrolled: 1-line block ×3, first 2 shown]
	s_waitcnt lgkmcnt(0)
	s_bitcmp1_b32 s19, 0
	s_cselect_b32 s0, -1, 0
	s_and_b32 vcc_lo, exec_lo, s0
	s_xor_b32 s0, s0, -1
	s_cbranch_vccnz .LBB95_2
; %bb.1:
	s_load_dword s16, s[16:17], 0x0
.LBB95_2:
	s_andn2_b32 vcc_lo, exec_lo, s0
	s_cbranch_vccnz .LBB95_4
; %bb.3:
	s_load_dword s2, s[2:3], 0x0
.LBB95_4:
	s_waitcnt lgkmcnt(0)
	v_cmp_neq_f32_e64 s0, s16, 0
	v_cmp_neq_f32_e64 s1, s2, 1.0
	s_mov_b32 s3, 0
	s_or_b32 s0, s0, s1
	s_andn2_b32 vcc_lo, exec_lo, s0
	s_cbranch_vccnz .LBB95_10
; %bb.5:
	s_clause 0x1
	s_load_dwordx2 s[8:9], s[4:5], 0x18
	s_load_dwordx2 s[0:1], s[4:5], 0x0
	v_lshrrev_b32_e32 v1, 2, v0
	v_lshl_or_b32 v4, s6, 5, v1
	s_waitcnt lgkmcnt(0)
	s_cmp_lg_u64 s[8:9], 0
	s_cbranch_scc0 .LBB95_11
; %bb.6:
	s_load_dword s3, s[4:5], 0x10
	s_mov_b32 s6, 0
                                        ; implicit-def: $vgpr1
	s_waitcnt lgkmcnt(0)
	v_cmp_gt_i32_e32 vcc_lo, s3, v4
	s_mov_b32 s3, 0
	s_and_saveexec_b32 s7, vcc_lo
	s_xor_b32 s7, exec_lo, s7
	s_cbranch_execz .LBB95_8
; %bb.7:
	v_ashrrev_i32_e32 v5, 31, v4
	s_mov_b32 s3, exec_lo
	v_lshlrev_b64 v[1:2], 2, v[4:5]
	v_add_co_u32 v1, vcc_lo, s8, v1
	v_add_co_ci_u32_e64 v2, null, s9, v2, vcc_lo
	global_load_dword v1, v[1:2], off
	s_waitcnt vmcnt(0)
	v_subrev_nc_u32_e32 v1, s18, v1
.LBB95_8:
	s_or_b32 exec_lo, exec_lo, s7
	s_and_b32 vcc_lo, exec_lo, s6
	s_cbranch_vccz .LBB95_12
.LBB95_9:
	v_cmp_gt_i32_e32 vcc_lo, s0, v4
	s_andn2_b32 s0, s3, exec_lo
	s_and_b32 s3, vcc_lo, exec_lo
	s_or_b32 s3, s0, s3
	s_and_saveexec_b32 s0, s3
	s_cbranch_execnz .LBB95_13
.LBB95_10:
	s_endpgm
.LBB95_11:
                                        ; implicit-def: $vgpr1
	s_cbranch_execnz .LBB95_9
.LBB95_12:
	v_mov_b32_e32 v4, v1
	s_and_saveexec_b32 s0, s3
	s_cbranch_execz .LBB95_10
.LBB95_13:
	s_load_dwordx8 s[8:15], s[4:5], 0x20
	v_ashrrev_i32_e32 v5, 31, v4
	v_and_b32_e32 v21, 3, v0
	s_load_dwordx2 s[6:7], s[4:5], 0x40
	v_mov_b32_e32 v22, 0
	v_lshlrev_b64 v[1:2], 3, v[4:5]
	s_waitcnt lgkmcnt(0)
	v_add_co_u32 v5, vcc_lo, s8, v1
	v_add_co_ci_u32_e64 v6, null, s9, v2, vcc_lo
	v_add_co_u32 v1, vcc_lo, s10, v1
	v_add_co_ci_u32_e64 v2, null, s11, v2, vcc_lo
	v_add_co_u32 v3, vcc_lo, v5, 8
	global_load_dwordx2 v[9:10], v[5:6], off
	v_add_co_ci_u32_e64 v7, null, 0, v6, vcc_lo
	s_cmp_eq_u64 s[10:11], 0
	s_cselect_b32 vcc_lo, -1, 0
	s_cmp_eq_u32 s1, 1
	v_cndmask_b32_e32 v2, v2, v7, vcc_lo
	v_cndmask_b32_e32 v1, v1, v3, vcc_lo
	global_load_dwordx2 v[2:3], v[1:2], off
	s_waitcnt vmcnt(1)
	v_sub_co_u32 v0, vcc_lo, v9, s18
	v_subrev_co_ci_u32_e64 v1, null, 0, v10, vcc_lo
	v_add_co_u32 v0, vcc_lo, v0, v21
	v_add_co_ci_u32_e64 v1, null, 0, v1, vcc_lo
	v_lshlrev_b64 v[5:6], 5, v[0:1]
	s_waitcnt vmcnt(0)
	v_sub_co_u32 v2, vcc_lo, v2, s18
	v_subrev_co_ci_u32_e64 v3, null, 0, v3, vcc_lo
	v_add_co_u32 v5, vcc_lo, s14, v5
	v_cmp_lt_i64_e64 s0, v[0:1], v[2:3]
	v_add_co_ci_u32_e64 v6, null, s15, v6, vcc_lo
	s_cbranch_scc1 .LBB95_25
; %bb.14:
	v_mov_b32_e32 v23, 0
	v_mov_b32_e32 v24, 0
	v_mov_b32_e32 v8, 0
	s_and_saveexec_b32 s1, s0
	s_cbranch_execz .LBB95_24
; %bb.15:
	v_or_b32_e32 v7, 4, v21
	v_not_b32_e32 v12, v9
	v_not_b32_e32 v11, v10
	v_sub_co_u32 v7, s3, v7, s18
	v_sub_co_ci_u32_e64 v8, null, 0, 0, s3
	v_sub_co_u32 v13, s3, s18, v21
	v_add_co_u32 v7, vcc_lo, v7, v9
	v_add_co_ci_u32_e64 v8, null, v8, v10, vcc_lo
	v_sub_co_ci_u32_e64 v14, null, 0, 0, s3
	s_mov_b32 s3, exec_lo
	v_cmp_gt_i64_e32 vcc_lo, v[7:8], v[2:3]
	v_cndmask_b32_e32 v16, v3, v8, vcc_lo
	v_cndmask_b32_e32 v7, v2, v7, vcc_lo
	v_add_co_u32 v8, vcc_lo, v13, v12
	v_add_co_ci_u32_e64 v11, null, v14, v11, vcc_lo
	v_mov_b32_e32 v14, v6
	v_add_co_u32 v15, vcc_lo, v8, v7
	v_mov_b32_e32 v8, 0
	v_add_co_ci_u32_e64 v16, null, v11, v16, vcc_lo
	v_mov_b32_e32 v12, v1
	v_and_b32_e32 v7, 12, v15
	v_mov_b32_e32 v24, v8
	v_mov_b32_e32 v23, v8
	;; [unrolled: 1-line block ×5, first 2 shown]
	v_cmpx_ne_u64_e32 12, v[7:8]
	s_cbranch_execz .LBB95_19
; %bb.16:
	v_lshrrev_b32_e32 v7, 2, v15
	v_mov_b32_e32 v14, v6
	v_mov_b32_e32 v12, v1
	;; [unrolled: 1-line block ×4, first 2 shown]
	v_add_nc_u32_e32 v17, 1, v7
	v_lshlrev_b64 v[7:8], 2, v[0:1]
	v_mov_b32_e32 v11, v0
	v_mov_b32_e32 v23, 0
	;; [unrolled: 1-line block ×3, first 2 shown]
	v_and_b32_e32 v19, 3, v17
	v_add_co_u32 v17, vcc_lo, s12, v7
	v_add_co_ci_u32_e64 v18, null, s13, v8, vcc_lo
	v_sub_co_u32 v19, s8, 0, v19
	v_sub_co_ci_u32_e64 v20, null, 0, 0, s8
	v_mov_b32_e32 v8, 0
	s_mov_b32 s8, 0
.LBB95_17:                              ; =>This Inner Loop Header: Depth=1
	global_load_dword v7, v[17:18], off
	s_clause 0x1
	global_load_dwordx4 v[25:28], v[13:14], off
	global_load_dwordx4 v[29:32], v[13:14], off offset:16
	s_waitcnt vmcnt(2)
	v_subrev_nc_u32_e32 v7, s18, v7
	v_lshlrev_b32_e32 v33, 2, v7
	v_ashrrev_i32_e32 v34, 31, v33
	v_lshlrev_b64 v[33:34], 1, v[33:34]
	v_add_co_u32 v33, vcc_lo, s6, v33
	v_add_co_ci_u32_e64 v34, null, s7, v34, vcc_lo
	v_add_co_u32 v13, vcc_lo, 0x80, v13
	v_add_co_ci_u32_e64 v14, null, 0, v14, vcc_lo
	global_load_dwordx2 v[33:34], v[33:34], off
	v_add_co_u32 v11, vcc_lo, v11, 4
	v_add_co_ci_u32_e64 v12, null, 0, v12, vcc_lo
	v_add_co_u32 v17, vcc_lo, v17, 16
	v_add_co_ci_u32_e64 v18, null, 0, v18, vcc_lo
	;; [unrolled: 2-line block ×3, first 2 shown]
	v_cmp_eq_u64_e32 vcc_lo, 0, v[19:20]
	s_or_b32 s8, vcc_lo, s8
	s_waitcnt vmcnt(0)
	v_fma_mix_f32 v7, v25, v33, v8 op_sel_hi:[1,1,0]
	v_fma_mix_f32 v8, v27, v33, v24 op_sel_hi:[1,1,0]
	;; [unrolled: 1-line block ×4, first 2 shown]
	v_fma_mix_f32 v7, v25, v33, v7 op_sel:[1,1,0] op_sel_hi:[1,1,0]
	v_fma_mix_f32 v8, v27, v33, v8 op_sel:[1,1,0] op_sel_hi:[1,1,0]
	v_fma_mix_f32 v23, v29, v33, v23 op_sel:[1,1,0] op_sel_hi:[1,1,0]
	v_fma_mix_f32 v22, v31, v33, v22 op_sel:[1,1,0] op_sel_hi:[1,1,0]
	v_fma_mix_f32 v7, v26, v34, v7 op_sel_hi:[1,1,0]
	v_fma_mix_f32 v24, v28, v34, v8 op_sel_hi:[1,1,0]
	;; [unrolled: 1-line block ×4, first 2 shown]
	v_fma_mix_f32 v8, v26, v34, v7 op_sel:[1,1,0] op_sel_hi:[1,1,0]
	v_fma_mix_f32 v24, v28, v34, v24 op_sel:[1,1,0] op_sel_hi:[1,1,0]
	;; [unrolled: 1-line block ×4, first 2 shown]
	s_andn2_b32 exec_lo, exec_lo, s8
	s_cbranch_execnz .LBB95_17
; %bb.18:
	s_or_b32 exec_lo, exec_lo, s8
.LBB95_19:
	s_or_b32 exec_lo, exec_lo, s3
	s_mov_b32 s3, exec_lo
	v_cmpx_lt_u64_e32 11, v[15:16]
	s_cbranch_execz .LBB95_23
; %bb.20:
	v_lshlrev_b64 v[15:16], 2, v[11:12]
	s_mov_b32 s8, 0
	v_add_co_u32 v7, vcc_lo, s12, v15
	v_add_co_ci_u32_e64 v16, null, s13, v16, vcc_lo
	v_add_co_u32 v15, vcc_lo, v7, 32
	v_add_co_ci_u32_e64 v16, null, 0, v16, vcc_lo
.LBB95_21:                              ; =>This Inner Loop Header: Depth=1
	s_clause 0x3
	global_load_dword v7, v[15:16], off offset:-32
	global_load_dword v53, v[15:16], off offset:-16
	global_load_dword v54, v[15:16], off
	global_load_dword v55, v[15:16], off offset:16
	s_clause 0x7
	global_load_dwordx4 v[17:20], v[13:14], off
	global_load_dwordx4 v[25:28], v[13:14], off offset:16
	global_load_dwordx4 v[29:32], v[13:14], off offset:128
	;; [unrolled: 1-line block ×7, first 2 shown]
	s_waitcnt vmcnt(11)
	v_subrev_nc_u32_e32 v7, s18, v7
	s_waitcnt vmcnt(10)
	v_subrev_nc_u32_e32 v56, s18, v53
	;; [unrolled: 2-line block ×4, first 2 shown]
	v_lshlrev_b32_e32 v53, 2, v7
	v_lshlrev_b32_e32 v55, 2, v56
	v_lshlrev_b32_e32 v57, 2, v54
	v_lshlrev_b32_e32 v59, 2, v58
	v_ashrrev_i32_e32 v54, 31, v53
	v_ashrrev_i32_e32 v56, 31, v55
	;; [unrolled: 1-line block ×4, first 2 shown]
	v_lshlrev_b64 v[53:54], 1, v[53:54]
	v_lshlrev_b64 v[55:56], 1, v[55:56]
	;; [unrolled: 1-line block ×4, first 2 shown]
	v_add_co_u32 v53, vcc_lo, s6, v53
	v_add_co_ci_u32_e64 v54, null, s7, v54, vcc_lo
	v_add_co_u32 v55, vcc_lo, s6, v55
	v_add_co_ci_u32_e64 v56, null, s7, v56, vcc_lo
	global_load_dwordx2 v[53:54], v[53:54], off
	v_add_co_u32 v57, vcc_lo, s6, v57
	global_load_dwordx2 v[55:56], v[55:56], off
	v_add_co_ci_u32_e64 v58, null, s7, v58, vcc_lo
	v_add_co_u32 v59, vcc_lo, s6, v59
	v_add_co_ci_u32_e64 v60, null, s7, v60, vcc_lo
	global_load_dwordx2 v[57:58], v[57:58], off
	v_add_co_u32 v13, vcc_lo, 0x200, v13
	global_load_dwordx2 v[59:60], v[59:60], off
	v_add_co_ci_u32_e64 v14, null, 0, v14, vcc_lo
	v_add_co_u32 v11, vcc_lo, v11, 16
	v_add_co_ci_u32_e64 v12, null, 0, v12, vcc_lo
	v_add_co_u32 v15, vcc_lo, v15, 64
	v_add_co_ci_u32_e64 v16, null, 0, v16, vcc_lo
	v_cmp_ge_i64_e32 vcc_lo, v[11:12], v[2:3]
	s_or_b32 s8, vcc_lo, s8
	s_waitcnt vmcnt(3)
	v_fma_mix_f32 v7, v17, v53, v8 op_sel_hi:[1,1,0]
	v_fma_mix_f32 v8, v19, v53, v24 op_sel_hi:[1,1,0]
	v_fma_mix_f32 v23, v25, v53, v23 op_sel_hi:[1,1,0]
	v_fma_mix_f32 v22, v27, v53, v22 op_sel_hi:[1,1,0]
	v_fma_mix_f32 v7, v17, v53, v7 op_sel:[1,1,0] op_sel_hi:[1,1,0]
	v_fma_mix_f32 v8, v19, v53, v8 op_sel:[1,1,0] op_sel_hi:[1,1,0]
	v_fma_mix_f32 v17, v25, v53, v23 op_sel:[1,1,0] op_sel_hi:[1,1,0]
	v_fma_mix_f32 v19, v27, v53, v22 op_sel:[1,1,0] op_sel_hi:[1,1,0]
	v_fma_mix_f32 v7, v18, v54, v7 op_sel_hi:[1,1,0]
	v_fma_mix_f32 v8, v20, v54, v8 op_sel_hi:[1,1,0]
	v_fma_mix_f32 v17, v26, v54, v17 op_sel_hi:[1,1,0]
	v_fma_mix_f32 v19, v28, v54, v19 op_sel_hi:[1,1,0]
	v_fma_mix_f32 v7, v18, v54, v7 op_sel:[1,1,0] op_sel_hi:[1,1,0]
	v_fma_mix_f32 v8, v20, v54, v8 op_sel:[1,1,0] op_sel_hi:[1,1,0]
	v_fma_mix_f32 v17, v26, v54, v17 op_sel:[1,1,0] op_sel_hi:[1,1,0]
	v_fma_mix_f32 v18, v28, v54, v19 op_sel:[1,1,0] op_sel_hi:[1,1,0]
	s_waitcnt vmcnt(2)
	v_fma_mix_f32 v7, v29, v55, v7 op_sel_hi:[1,1,0]
	v_fma_mix_f32 v8, v31, v55, v8 op_sel_hi:[1,1,0]
	v_fma_mix_f32 v17, v33, v55, v17 op_sel_hi:[1,1,0]
	v_fma_mix_f32 v18, v35, v55, v18 op_sel_hi:[1,1,0]
	v_fma_mix_f32 v7, v29, v55, v7 op_sel:[1,1,0] op_sel_hi:[1,1,0]
	v_fma_mix_f32 v8, v31, v55, v8 op_sel:[1,1,0] op_sel_hi:[1,1,0]
	v_fma_mix_f32 v17, v33, v55, v17 op_sel:[1,1,0] op_sel_hi:[1,1,0]
	v_fma_mix_f32 v18, v35, v55, v18 op_sel:[1,1,0] op_sel_hi:[1,1,0]
	v_fma_mix_f32 v7, v30, v56, v7 op_sel_hi:[1,1,0]
	v_fma_mix_f32 v8, v32, v56, v8 op_sel_hi:[1,1,0]
	v_fma_mix_f32 v17, v34, v56, v17 op_sel_hi:[1,1,0]
	v_fma_mix_f32 v18, v36, v56, v18 op_sel_hi:[1,1,0]
	v_fma_mix_f32 v7, v30, v56, v7 op_sel:[1,1,0] op_sel_hi:[1,1,0]
	v_fma_mix_f32 v8, v32, v56, v8 op_sel:[1,1,0] op_sel_hi:[1,1,0]
	v_fma_mix_f32 v17, v34, v56, v17 op_sel:[1,1,0] op_sel_hi:[1,1,0]
	v_fma_mix_f32 v18, v36, v56, v18 op_sel:[1,1,0] op_sel_hi:[1,1,0]
	;; [unrolled: 17-line block ×4, first 2 shown]
	s_andn2_b32 exec_lo, exec_lo, s8
	s_cbranch_execnz .LBB95_21
; %bb.22:
	s_or_b32 exec_lo, exec_lo, s8
.LBB95_23:
	s_or_b32 exec_lo, exec_lo, s3
.LBB95_24:
	s_or_b32 exec_lo, exec_lo, s1
	s_cbranch_execz .LBB95_26
	s_branch .LBB95_37
.LBB95_25:
                                        ; implicit-def: $vgpr22
                                        ; implicit-def: $vgpr23
                                        ; implicit-def: $vgpr24
                                        ; implicit-def: $vgpr8
.LBB95_26:
	v_mov_b32_e32 v22, 0
	v_mov_b32_e32 v23, 0
	;; [unrolled: 1-line block ×4, first 2 shown]
	s_and_saveexec_b32 s1, s0
	s_cbranch_execz .LBB95_36
; %bb.27:
	v_or_b32_e32 v7, 4, v21
	v_sub_co_u32 v7, s0, v7, s18
	v_sub_co_ci_u32_e64 v8, null, 0, 0, s0
	v_sub_co_u32 v11, s0, s18, v21
	v_add_co_u32 v7, vcc_lo, v7, v9
	v_add_co_ci_u32_e64 v8, null, v8, v10, vcc_lo
	v_not_b32_e32 v9, v9
	v_not_b32_e32 v10, v10
	v_sub_co_ci_u32_e64 v12, null, 0, 0, s0
	v_cmp_gt_i64_e32 vcc_lo, v[7:8], v[2:3]
	s_mov_b32 s0, exec_lo
	v_cndmask_b32_e32 v13, v3, v8, vcc_lo
	v_cndmask_b32_e32 v7, v2, v7, vcc_lo
	v_add_co_u32 v8, vcc_lo, v11, v9
	v_add_co_ci_u32_e64 v10, null, v12, v10, vcc_lo
	v_add_co_u32 v9, vcc_lo, v8, v7
	v_mov_b32_e32 v8, 0
	v_add_co_ci_u32_e64 v10, null, v10, v13, vcc_lo
	v_and_b32_e32 v7, 12, v9
	v_mov_b32_e32 v24, v8
	v_mov_b32_e32 v23, v8
	;; [unrolled: 1-line block ×3, first 2 shown]
	v_cmpx_ne_u64_e32 12, v[7:8]
	s_cbranch_execz .LBB95_31
; %bb.28:
	v_lshrrev_b32_e32 v7, 2, v9
	v_mov_b32_e32 v22, 0
	v_mov_b32_e32 v23, 0
	;; [unrolled: 1-line block ×3, first 2 shown]
	v_add_nc_u32_e32 v11, 1, v7
	v_lshlrev_b64 v[7:8], 2, v[0:1]
	v_and_b32_e32 v13, 3, v11
	v_add_co_u32 v11, vcc_lo, s12, v7
	v_add_co_ci_u32_e64 v12, null, s13, v8, vcc_lo
	v_sub_co_u32 v13, s3, 0, v13
	v_sub_co_ci_u32_e64 v14, null, 0, 0, s3
	v_mov_b32_e32 v8, 0
	s_mov_b32 s3, 0
.LBB95_29:                              ; =>This Inner Loop Header: Depth=1
	global_load_dword v7, v[11:12], off
	global_load_dwordx4 v[15:18], v[5:6], off
	s_waitcnt vmcnt(1)
	v_subrev_nc_u32_e32 v7, s18, v7
	v_lshlrev_b32_e32 v19, 2, v7
	v_ashrrev_i32_e32 v20, 31, v19
	v_lshlrev_b64 v[19:20], 1, v[19:20]
	v_add_co_u32 v19, vcc_lo, s6, v19
	v_add_co_ci_u32_e64 v20, null, s7, v20, vcc_lo
	global_load_dwordx2 v[19:20], v[19:20], off
	global_load_dwordx4 v[25:28], v[5:6], off offset:16
	v_add_co_u32 v5, vcc_lo, 0x80, v5
	v_add_co_ci_u32_e64 v6, null, 0, v6, vcc_lo
	v_add_co_u32 v0, vcc_lo, v0, 4
	v_add_co_ci_u32_e64 v1, null, 0, v1, vcc_lo
	v_add_co_u32 v11, vcc_lo, v11, 16
	v_add_co_ci_u32_e64 v12, null, 0, v12, vcc_lo
	v_add_co_u32 v13, vcc_lo, v13, 1
	v_add_co_ci_u32_e64 v14, null, 0, v14, vcc_lo
	v_cmp_eq_u64_e32 vcc_lo, 0, v[13:14]
	s_or_b32 s3, vcc_lo, s3
	s_waitcnt vmcnt(1)
	v_fma_mix_f32 v7, v15, v19, v8 op_sel_hi:[1,1,0]
	v_fma_mix_f32 v8, v15, v19, v24 op_sel:[1,0,0] op_sel_hi:[1,1,0]
	v_fma_mix_f32 v15, v16, v19, v23 op_sel_hi:[1,1,0]
	v_fma_mix_f32 v16, v16, v19, v22 op_sel:[1,0,0] op_sel_hi:[1,1,0]
	v_fma_mix_f32 v7, v17, v19, v7 op_sel:[0,1,0] op_sel_hi:[1,1,0]
	v_fma_mix_f32 v8, v17, v19, v8 op_sel:[1,1,0] op_sel_hi:[1,1,0]
	v_fma_mix_f32 v15, v18, v19, v15 op_sel:[0,1,0] op_sel_hi:[1,1,0]
	v_fma_mix_f32 v16, v18, v19, v16 op_sel:[1,1,0] op_sel_hi:[1,1,0]
	s_waitcnt vmcnt(0)
	v_fma_mix_f32 v7, v25, v20, v7 op_sel_hi:[1,1,0]
	v_fma_mix_f32 v17, v25, v20, v8 op_sel:[1,0,0] op_sel_hi:[1,1,0]
	v_fma_mix_f32 v15, v26, v20, v15 op_sel_hi:[1,1,0]
	v_fma_mix_f32 v16, v26, v20, v16 op_sel:[1,0,0] op_sel_hi:[1,1,0]
	v_fma_mix_f32 v8, v27, v20, v7 op_sel:[0,1,0] op_sel_hi:[1,1,0]
	v_fma_mix_f32 v24, v27, v20, v17 op_sel:[1,1,0] op_sel_hi:[1,1,0]
	v_fma_mix_f32 v23, v28, v20, v15 op_sel:[0,1,0] op_sel_hi:[1,1,0]
	v_fma_mix_f32 v22, v28, v20, v16 op_sel:[1,1,0] op_sel_hi:[1,1,0]
	s_andn2_b32 exec_lo, exec_lo, s3
	s_cbranch_execnz .LBB95_29
; %bb.30:
	s_or_b32 exec_lo, exec_lo, s3
.LBB95_31:
	s_or_b32 exec_lo, exec_lo, s0
	s_mov_b32 s0, exec_lo
	v_cmpx_lt_u64_e32 11, v[9:10]
	s_cbranch_execz .LBB95_35
; %bb.32:
	v_lshlrev_b64 v[9:10], 2, v[0:1]
	s_mov_b32 s3, 0
	v_add_co_u32 v7, vcc_lo, s12, v9
	v_add_co_ci_u32_e64 v10, null, s13, v10, vcc_lo
	v_add_co_u32 v9, vcc_lo, v7, 32
	v_add_co_ci_u32_e64 v10, null, 0, v10, vcc_lo
.LBB95_33:                              ; =>This Inner Loop Header: Depth=1
	s_clause 0x3
	global_load_dword v7, v[9:10], off offset:-32
	global_load_dword v19, v[9:10], off offset:-16
	global_load_dword v20, v[9:10], off
	global_load_dword v45, v[9:10], off offset:16
	s_clause 0x6
	global_load_dwordx4 v[11:14], v[5:6], off
	global_load_dwordx4 v[15:18], v[5:6], off offset:16
	global_load_dwordx4 v[25:28], v[5:6], off offset:128
	;; [unrolled: 1-line block ×6, first 2 shown]
	s_waitcnt vmcnt(10)
	v_subrev_nc_u32_e32 v7, s18, v7
	s_waitcnt vmcnt(9)
	v_subrev_nc_u32_e32 v46, s18, v19
	;; [unrolled: 2-line block ×4, first 2 shown]
	v_lshlrev_b32_e32 v19, 2, v7
	v_lshlrev_b32_e32 v45, 2, v46
	;; [unrolled: 1-line block ×4, first 2 shown]
	v_ashrrev_i32_e32 v20, 31, v19
	v_ashrrev_i32_e32 v46, 31, v45
	;; [unrolled: 1-line block ×4, first 2 shown]
	v_lshlrev_b64 v[19:20], 1, v[19:20]
	v_lshlrev_b64 v[45:46], 1, v[45:46]
	v_add_co_u32 v19, vcc_lo, s6, v19
	v_add_co_ci_u32_e64 v20, null, s7, v20, vcc_lo
	v_add_co_u32 v45, vcc_lo, s6, v45
	v_add_co_ci_u32_e64 v46, null, s7, v46, vcc_lo
	s_clause 0x1
	global_load_dwordx2 v[19:20], v[19:20], off
	global_load_dwordx2 v[51:52], v[45:46], off
	v_lshlrev_b64 v[45:46], 1, v[47:48]
	v_add_co_u32 v45, vcc_lo, s6, v45
	v_add_co_ci_u32_e64 v46, null, s7, v46, vcc_lo
	global_load_dwordx2 v[53:54], v[45:46], off
	v_lshlrev_b64 v[45:46], 1, v[49:50]
	v_add_co_u32 v45, vcc_lo, s6, v45
	v_add_co_ci_u32_e64 v46, null, s7, v46, vcc_lo
	global_load_dwordx2 v[49:50], v[45:46], off
	global_load_dwordx4 v[45:48], v[5:6], off offset:400
	v_add_co_u32 v5, vcc_lo, 0x200, v5
	v_add_co_ci_u32_e64 v6, null, 0, v6, vcc_lo
	v_add_co_u32 v0, vcc_lo, v0, 16
	v_add_co_ci_u32_e64 v1, null, 0, v1, vcc_lo
	;; [unrolled: 2-line block ×3, first 2 shown]
	v_cmp_ge_i64_e32 vcc_lo, v[0:1], v[2:3]
	s_or_b32 s3, vcc_lo, s3
	s_waitcnt vmcnt(4)
	v_fma_mix_f32 v7, v11, v19, v8 op_sel_hi:[1,1,0]
	v_fma_mix_f32 v8, v11, v19, v24 op_sel:[1,0,0] op_sel_hi:[1,1,0]
	v_fma_mix_f32 v11, v12, v19, v23 op_sel_hi:[1,1,0]
	v_fma_mix_f32 v12, v12, v19, v22 op_sel:[1,0,0] op_sel_hi:[1,1,0]
	v_fma_mix_f32 v7, v13, v19, v7 op_sel:[0,1,0] op_sel_hi:[1,1,0]
	v_fma_mix_f32 v8, v13, v19, v8 op_sel:[1,1,0] op_sel_hi:[1,1,0]
	v_fma_mix_f32 v11, v14, v19, v11 op_sel:[0,1,0] op_sel_hi:[1,1,0]
	v_fma_mix_f32 v12, v14, v19, v12 op_sel:[1,1,0] op_sel_hi:[1,1,0]
	v_fma_mix_f32 v7, v15, v20, v7 op_sel_hi:[1,1,0]
	v_fma_mix_f32 v8, v15, v20, v8 op_sel:[1,0,0] op_sel_hi:[1,1,0]
	v_fma_mix_f32 v11, v16, v20, v11 op_sel_hi:[1,1,0]
	v_fma_mix_f32 v12, v16, v20, v12 op_sel:[1,0,0] op_sel_hi:[1,1,0]
	v_fma_mix_f32 v7, v17, v20, v7 op_sel:[0,1,0] op_sel_hi:[1,1,0]
	v_fma_mix_f32 v8, v17, v20, v8 op_sel:[1,1,0] op_sel_hi:[1,1,0]
	v_fma_mix_f32 v11, v18, v20, v11 op_sel:[0,1,0] op_sel_hi:[1,1,0]
	v_fma_mix_f32 v12, v18, v20, v12 op_sel:[1,1,0] op_sel_hi:[1,1,0]
	s_waitcnt vmcnt(3)
	v_fma_mix_f32 v7, v25, v51, v7 op_sel_hi:[1,1,0]
	v_fma_mix_f32 v8, v25, v51, v8 op_sel:[1,0,0] op_sel_hi:[1,1,0]
	v_fma_mix_f32 v11, v26, v51, v11 op_sel_hi:[1,1,0]
	v_fma_mix_f32 v12, v26, v51, v12 op_sel:[1,0,0] op_sel_hi:[1,1,0]
	v_fma_mix_f32 v7, v27, v51, v7 op_sel:[0,1,0] op_sel_hi:[1,1,0]
	v_fma_mix_f32 v8, v27, v51, v8 op_sel:[1,1,0] op_sel_hi:[1,1,0]
	v_fma_mix_f32 v11, v28, v51, v11 op_sel:[0,1,0] op_sel_hi:[1,1,0]
	v_fma_mix_f32 v12, v28, v51, v12 op_sel:[1,1,0] op_sel_hi:[1,1,0]
	v_fma_mix_f32 v7, v29, v52, v7 op_sel_hi:[1,1,0]
	v_fma_mix_f32 v8, v29, v52, v8 op_sel:[1,0,0] op_sel_hi:[1,1,0]
	v_fma_mix_f32 v11, v30, v52, v11 op_sel_hi:[1,1,0]
	v_fma_mix_f32 v12, v30, v52, v12 op_sel:[1,0,0] op_sel_hi:[1,1,0]
	v_fma_mix_f32 v7, v31, v52, v7 op_sel:[0,1,0] op_sel_hi:[1,1,0]
	v_fma_mix_f32 v8, v31, v52, v8 op_sel:[1,1,0] op_sel_hi:[1,1,0]
	v_fma_mix_f32 v11, v32, v52, v11 op_sel:[0,1,0] op_sel_hi:[1,1,0]
	v_fma_mix_f32 v12, v32, v52, v12 op_sel:[1,1,0] op_sel_hi:[1,1,0]
	;; [unrolled: 17-line block ×3, first 2 shown]
	s_waitcnt vmcnt(1)
	v_fma_mix_f32 v7, v41, v49, v7 op_sel_hi:[1,1,0]
	v_fma_mix_f32 v8, v41, v49, v8 op_sel:[1,0,0] op_sel_hi:[1,1,0]
	v_fma_mix_f32 v11, v42, v49, v11 op_sel_hi:[1,1,0]
	v_fma_mix_f32 v12, v42, v49, v12 op_sel:[1,0,0] op_sel_hi:[1,1,0]
	v_fma_mix_f32 v7, v43, v49, v7 op_sel:[0,1,0] op_sel_hi:[1,1,0]
	;; [unrolled: 1-line block ×5, first 2 shown]
	s_waitcnt vmcnt(0)
	v_fma_mix_f32 v7, v45, v50, v7 op_sel_hi:[1,1,0]
	v_fma_mix_f32 v13, v45, v50, v8 op_sel:[1,0,0] op_sel_hi:[1,1,0]
	v_fma_mix_f32 v11, v46, v50, v11 op_sel_hi:[1,1,0]
	v_fma_mix_f32 v12, v46, v50, v12 op_sel:[1,0,0] op_sel_hi:[1,1,0]
	v_fma_mix_f32 v8, v47, v50, v7 op_sel:[0,1,0] op_sel_hi:[1,1,0]
	;; [unrolled: 1-line block ×5, first 2 shown]
	s_andn2_b32 exec_lo, exec_lo, s3
	s_cbranch_execnz .LBB95_33
; %bb.34:
	s_or_b32 exec_lo, exec_lo, s3
.LBB95_35:
	s_or_b32 exec_lo, exec_lo, s0
.LBB95_36:
	s_or_b32 exec_lo, exec_lo, s1
.LBB95_37:
	v_mbcnt_lo_u32_b32 v0, -1, 0
	s_mov_b32 s3, -1
	v_xor_b32_e32 v1, 2, v0
	v_cmp_gt_i32_e32 vcc_lo, 32, v1
	v_cndmask_b32_e32 v1, v0, v1, vcc_lo
	v_lshlrev_b32_e32 v1, 2, v1
	ds_bpermute_b32 v2, v1, v8
	ds_bpermute_b32 v3, v1, v24
	;; [unrolled: 1-line block ×4, first 2 shown]
	v_xor_b32_e32 v1, 1, v0
	v_cmp_gt_i32_e32 vcc_lo, 32, v1
	v_cndmask_b32_e32 v0, v0, v1, vcc_lo
	v_cmp_eq_u32_e32 vcc_lo, 3, v21
	v_lshlrev_b32_e32 v9, 2, v0
	s_waitcnt lgkmcnt(3)
	v_add_f32_e32 v0, v8, v2
	s_waitcnt lgkmcnt(2)
	v_add_f32_e32 v1, v24, v3
	;; [unrolled: 2-line block ×4, first 2 shown]
	ds_bpermute_b32 v5, v9, v0
	ds_bpermute_b32 v6, v9, v1
	;; [unrolled: 1-line block ×4, first 2 shown]
	s_and_b32 exec_lo, exec_lo, vcc_lo
	s_cbranch_execz .LBB95_10
; %bb.38:
	s_load_dwordx2 s[0:1], s[4:5], 0x50
	s_waitcnt lgkmcnt(0)
	v_add_f32_e32 v0, v0, v5
	v_add_f32_e32 v1, v1, v6
	;; [unrolled: 1-line block ×4, first 2 shown]
	v_cmp_eq_f32_e64 s4, s2, 0
	v_mul_f32_e32 v0, s16, v0
	v_mul_f32_e32 v1, s16, v1
	;; [unrolled: 1-line block ×4, first 2 shown]
	v_lshlrev_b32_e32 v4, 2, v4
	s_and_b32 vcc_lo, exec_lo, s4
	s_cbranch_vccz .LBB95_40
; %bb.39:
	v_ashrrev_i32_e32 v5, 31, v4
	s_mov_b32 s3, 0
	v_lshlrev_b64 v[5:6], 2, v[4:5]
	v_add_co_u32 v5, vcc_lo, s0, v5
	v_add_co_ci_u32_e64 v6, null, s1, v6, vcc_lo
	global_store_dwordx4 v[5:6], v[0:3], off
.LBB95_40:
	s_andn2_b32 vcc_lo, exec_lo, s3
	s_cbranch_vccnz .LBB95_10
; %bb.41:
	v_ashrrev_i32_e32 v5, 31, v4
	v_lshlrev_b64 v[4:5], 2, v[4:5]
	v_add_co_u32 v8, vcc_lo, s0, v4
	v_add_co_ci_u32_e64 v9, null, s1, v5, vcc_lo
	global_load_dwordx4 v[4:7], v[8:9], off
	s_waitcnt vmcnt(0)
	v_fmac_f32_e32 v0, s2, v4
	v_fmac_f32_e32 v1, s2, v5
	;; [unrolled: 1-line block ×4, first 2 shown]
	global_store_dwordx4 v[8:9], v[0:3], off
	s_endpgm
	.section	.rodata,"a",@progbits
	.p2align	6, 0x0
	.amdhsa_kernel _ZN9rocsparseL18bsrxmvn_4x4_kernelILj128ELj4EfliDF16_DF16_fEEvT3_20rocsparse_direction_NS_24const_host_device_scalarIT1_EES1_PKS1_PKT2_SA_S7_PKT4_PKT5_S5_PT6_21rocsparse_index_base_b
		.amdhsa_group_segment_fixed_size 0
		.amdhsa_private_segment_fixed_size 0
		.amdhsa_kernarg_size 96
		.amdhsa_user_sgpr_count 6
		.amdhsa_user_sgpr_private_segment_buffer 1
		.amdhsa_user_sgpr_dispatch_ptr 0
		.amdhsa_user_sgpr_queue_ptr 0
		.amdhsa_user_sgpr_kernarg_segment_ptr 1
		.amdhsa_user_sgpr_dispatch_id 0
		.amdhsa_user_sgpr_flat_scratch_init 0
		.amdhsa_user_sgpr_private_segment_size 0
		.amdhsa_wavefront_size32 1
		.amdhsa_uses_dynamic_stack 0
		.amdhsa_system_sgpr_private_segment_wavefront_offset 0
		.amdhsa_system_sgpr_workgroup_id_x 1
		.amdhsa_system_sgpr_workgroup_id_y 0
		.amdhsa_system_sgpr_workgroup_id_z 0
		.amdhsa_system_sgpr_workgroup_info 0
		.amdhsa_system_vgpr_workitem_id 0
		.amdhsa_next_free_vgpr 61
		.amdhsa_next_free_sgpr 20
		.amdhsa_reserve_vcc 1
		.amdhsa_reserve_flat_scratch 0
		.amdhsa_float_round_mode_32 0
		.amdhsa_float_round_mode_16_64 0
		.amdhsa_float_denorm_mode_32 3
		.amdhsa_float_denorm_mode_16_64 3
		.amdhsa_dx10_clamp 1
		.amdhsa_ieee_mode 1
		.amdhsa_fp16_overflow 0
		.amdhsa_workgroup_processor_mode 1
		.amdhsa_memory_ordered 1
		.amdhsa_forward_progress 1
		.amdhsa_shared_vgpr_count 0
		.amdhsa_exception_fp_ieee_invalid_op 0
		.amdhsa_exception_fp_denorm_src 0
		.amdhsa_exception_fp_ieee_div_zero 0
		.amdhsa_exception_fp_ieee_overflow 0
		.amdhsa_exception_fp_ieee_underflow 0
		.amdhsa_exception_fp_ieee_inexact 0
		.amdhsa_exception_int_div_zero 0
	.end_amdhsa_kernel
	.section	.text._ZN9rocsparseL18bsrxmvn_4x4_kernelILj128ELj4EfliDF16_DF16_fEEvT3_20rocsparse_direction_NS_24const_host_device_scalarIT1_EES1_PKS1_PKT2_SA_S7_PKT4_PKT5_S5_PT6_21rocsparse_index_base_b,"axG",@progbits,_ZN9rocsparseL18bsrxmvn_4x4_kernelILj128ELj4EfliDF16_DF16_fEEvT3_20rocsparse_direction_NS_24const_host_device_scalarIT1_EES1_PKS1_PKT2_SA_S7_PKT4_PKT5_S5_PT6_21rocsparse_index_base_b,comdat
.Lfunc_end95:
	.size	_ZN9rocsparseL18bsrxmvn_4x4_kernelILj128ELj4EfliDF16_DF16_fEEvT3_20rocsparse_direction_NS_24const_host_device_scalarIT1_EES1_PKS1_PKT2_SA_S7_PKT4_PKT5_S5_PT6_21rocsparse_index_base_b, .Lfunc_end95-_ZN9rocsparseL18bsrxmvn_4x4_kernelILj128ELj4EfliDF16_DF16_fEEvT3_20rocsparse_direction_NS_24const_host_device_scalarIT1_EES1_PKS1_PKT2_SA_S7_PKT4_PKT5_S5_PT6_21rocsparse_index_base_b
                                        ; -- End function
	.set _ZN9rocsparseL18bsrxmvn_4x4_kernelILj128ELj4EfliDF16_DF16_fEEvT3_20rocsparse_direction_NS_24const_host_device_scalarIT1_EES1_PKS1_PKT2_SA_S7_PKT4_PKT5_S5_PT6_21rocsparse_index_base_b.num_vgpr, 61
	.set _ZN9rocsparseL18bsrxmvn_4x4_kernelILj128ELj4EfliDF16_DF16_fEEvT3_20rocsparse_direction_NS_24const_host_device_scalarIT1_EES1_PKS1_PKT2_SA_S7_PKT4_PKT5_S5_PT6_21rocsparse_index_base_b.num_agpr, 0
	.set _ZN9rocsparseL18bsrxmvn_4x4_kernelILj128ELj4EfliDF16_DF16_fEEvT3_20rocsparse_direction_NS_24const_host_device_scalarIT1_EES1_PKS1_PKT2_SA_S7_PKT4_PKT5_S5_PT6_21rocsparse_index_base_b.numbered_sgpr, 20
	.set _ZN9rocsparseL18bsrxmvn_4x4_kernelILj128ELj4EfliDF16_DF16_fEEvT3_20rocsparse_direction_NS_24const_host_device_scalarIT1_EES1_PKS1_PKT2_SA_S7_PKT4_PKT5_S5_PT6_21rocsparse_index_base_b.num_named_barrier, 0
	.set _ZN9rocsparseL18bsrxmvn_4x4_kernelILj128ELj4EfliDF16_DF16_fEEvT3_20rocsparse_direction_NS_24const_host_device_scalarIT1_EES1_PKS1_PKT2_SA_S7_PKT4_PKT5_S5_PT6_21rocsparse_index_base_b.private_seg_size, 0
	.set _ZN9rocsparseL18bsrxmvn_4x4_kernelILj128ELj4EfliDF16_DF16_fEEvT3_20rocsparse_direction_NS_24const_host_device_scalarIT1_EES1_PKS1_PKT2_SA_S7_PKT4_PKT5_S5_PT6_21rocsparse_index_base_b.uses_vcc, 1
	.set _ZN9rocsparseL18bsrxmvn_4x4_kernelILj128ELj4EfliDF16_DF16_fEEvT3_20rocsparse_direction_NS_24const_host_device_scalarIT1_EES1_PKS1_PKT2_SA_S7_PKT4_PKT5_S5_PT6_21rocsparse_index_base_b.uses_flat_scratch, 0
	.set _ZN9rocsparseL18bsrxmvn_4x4_kernelILj128ELj4EfliDF16_DF16_fEEvT3_20rocsparse_direction_NS_24const_host_device_scalarIT1_EES1_PKS1_PKT2_SA_S7_PKT4_PKT5_S5_PT6_21rocsparse_index_base_b.has_dyn_sized_stack, 0
	.set _ZN9rocsparseL18bsrxmvn_4x4_kernelILj128ELj4EfliDF16_DF16_fEEvT3_20rocsparse_direction_NS_24const_host_device_scalarIT1_EES1_PKS1_PKT2_SA_S7_PKT4_PKT5_S5_PT6_21rocsparse_index_base_b.has_recursion, 0
	.set _ZN9rocsparseL18bsrxmvn_4x4_kernelILj128ELj4EfliDF16_DF16_fEEvT3_20rocsparse_direction_NS_24const_host_device_scalarIT1_EES1_PKS1_PKT2_SA_S7_PKT4_PKT5_S5_PT6_21rocsparse_index_base_b.has_indirect_call, 0
	.section	.AMDGPU.csdata,"",@progbits
; Kernel info:
; codeLenInByte = 3872
; TotalNumSgprs: 22
; NumVgprs: 61
; ScratchSize: 0
; MemoryBound: 0
; FloatMode: 240
; IeeeMode: 1
; LDSByteSize: 0 bytes/workgroup (compile time only)
; SGPRBlocks: 0
; VGPRBlocks: 7
; NumSGPRsForWavesPerEU: 22
; NumVGPRsForWavesPerEU: 61
; Occupancy: 16
; WaveLimiterHint : 1
; COMPUTE_PGM_RSRC2:SCRATCH_EN: 0
; COMPUTE_PGM_RSRC2:USER_SGPR: 6
; COMPUTE_PGM_RSRC2:TRAP_HANDLER: 0
; COMPUTE_PGM_RSRC2:TGID_X_EN: 1
; COMPUTE_PGM_RSRC2:TGID_Y_EN: 0
; COMPUTE_PGM_RSRC2:TGID_Z_EN: 0
; COMPUTE_PGM_RSRC2:TIDIG_COMP_CNT: 0
	.section	.text._ZN9rocsparseL18bsrxmvn_4x4_kernelILj128ELj8EfliDF16_DF16_fEEvT3_20rocsparse_direction_NS_24const_host_device_scalarIT1_EES1_PKS1_PKT2_SA_S7_PKT4_PKT5_S5_PT6_21rocsparse_index_base_b,"axG",@progbits,_ZN9rocsparseL18bsrxmvn_4x4_kernelILj128ELj8EfliDF16_DF16_fEEvT3_20rocsparse_direction_NS_24const_host_device_scalarIT1_EES1_PKS1_PKT2_SA_S7_PKT4_PKT5_S5_PT6_21rocsparse_index_base_b,comdat
	.globl	_ZN9rocsparseL18bsrxmvn_4x4_kernelILj128ELj8EfliDF16_DF16_fEEvT3_20rocsparse_direction_NS_24const_host_device_scalarIT1_EES1_PKS1_PKT2_SA_S7_PKT4_PKT5_S5_PT6_21rocsparse_index_base_b ; -- Begin function _ZN9rocsparseL18bsrxmvn_4x4_kernelILj128ELj8EfliDF16_DF16_fEEvT3_20rocsparse_direction_NS_24const_host_device_scalarIT1_EES1_PKS1_PKT2_SA_S7_PKT4_PKT5_S5_PT6_21rocsparse_index_base_b
	.p2align	8
	.type	_ZN9rocsparseL18bsrxmvn_4x4_kernelILj128ELj8EfliDF16_DF16_fEEvT3_20rocsparse_direction_NS_24const_host_device_scalarIT1_EES1_PKS1_PKT2_SA_S7_PKT4_PKT5_S5_PT6_21rocsparse_index_base_b,@function
_ZN9rocsparseL18bsrxmvn_4x4_kernelILj128ELj8EfliDF16_DF16_fEEvT3_20rocsparse_direction_NS_24const_host_device_scalarIT1_EES1_PKS1_PKT2_SA_S7_PKT4_PKT5_S5_PT6_21rocsparse_index_base_b: ; @_ZN9rocsparseL18bsrxmvn_4x4_kernelILj128ELj8EfliDF16_DF16_fEEvT3_20rocsparse_direction_NS_24const_host_device_scalarIT1_EES1_PKS1_PKT2_SA_S7_PKT4_PKT5_S5_PT6_21rocsparse_index_base_b
; %bb.0:
	s_clause 0x2
	s_load_dwordx2 s[18:19], s[4:5], 0x58
	s_load_dwordx2 s[16:17], s[4:5], 0x8
	;; [unrolled: 1-line block ×3, first 2 shown]
	s_waitcnt lgkmcnt(0)
	s_bitcmp1_b32 s19, 0
	s_cselect_b32 s0, -1, 0
	s_and_b32 vcc_lo, exec_lo, s0
	s_xor_b32 s0, s0, -1
	s_cbranch_vccnz .LBB96_2
; %bb.1:
	s_load_dword s16, s[16:17], 0x0
.LBB96_2:
	s_andn2_b32 vcc_lo, exec_lo, s0
	s_cbranch_vccnz .LBB96_4
; %bb.3:
	s_load_dword s2, s[2:3], 0x0
.LBB96_4:
	s_waitcnt lgkmcnt(0)
	v_cmp_neq_f32_e64 s0, s16, 0
	v_cmp_neq_f32_e64 s1, s2, 1.0
	s_mov_b32 s3, 0
	s_or_b32 s0, s0, s1
	s_andn2_b32 vcc_lo, exec_lo, s0
	s_cbranch_vccnz .LBB96_10
; %bb.5:
	s_clause 0x1
	s_load_dwordx2 s[8:9], s[4:5], 0x18
	s_load_dwordx2 s[0:1], s[4:5], 0x0
	v_lshrrev_b32_e32 v1, 3, v0
	v_lshl_or_b32 v4, s6, 4, v1
	s_waitcnt lgkmcnt(0)
	s_cmp_lg_u64 s[8:9], 0
	s_cbranch_scc0 .LBB96_11
; %bb.6:
	s_load_dword s3, s[4:5], 0x10
	s_mov_b32 s6, 0
                                        ; implicit-def: $vgpr1
	s_waitcnt lgkmcnt(0)
	v_cmp_gt_i32_e32 vcc_lo, s3, v4
	s_mov_b32 s3, 0
	s_and_saveexec_b32 s7, vcc_lo
	s_xor_b32 s7, exec_lo, s7
	s_cbranch_execz .LBB96_8
; %bb.7:
	v_ashrrev_i32_e32 v5, 31, v4
	s_mov_b32 s3, exec_lo
	v_lshlrev_b64 v[1:2], 2, v[4:5]
	v_add_co_u32 v1, vcc_lo, s8, v1
	v_add_co_ci_u32_e64 v2, null, s9, v2, vcc_lo
	global_load_dword v1, v[1:2], off
	s_waitcnt vmcnt(0)
	v_subrev_nc_u32_e32 v1, s18, v1
.LBB96_8:
	s_or_b32 exec_lo, exec_lo, s7
	s_and_b32 vcc_lo, exec_lo, s6
	s_cbranch_vccz .LBB96_12
.LBB96_9:
	v_cmp_gt_i32_e32 vcc_lo, s0, v4
	s_andn2_b32 s0, s3, exec_lo
	s_and_b32 s3, vcc_lo, exec_lo
	s_or_b32 s3, s0, s3
	s_and_saveexec_b32 s0, s3
	s_cbranch_execnz .LBB96_13
.LBB96_10:
	s_endpgm
.LBB96_11:
                                        ; implicit-def: $vgpr1
	s_cbranch_execnz .LBB96_9
.LBB96_12:
	v_mov_b32_e32 v4, v1
	s_and_saveexec_b32 s0, s3
	s_cbranch_execz .LBB96_10
.LBB96_13:
	s_load_dwordx8 s[8:15], s[4:5], 0x20
	v_ashrrev_i32_e32 v5, 31, v4
	v_and_b32_e32 v21, 7, v0
	s_load_dwordx2 s[6:7], s[4:5], 0x40
	v_mov_b32_e32 v22, 0
	v_lshlrev_b64 v[1:2], 3, v[4:5]
	s_waitcnt lgkmcnt(0)
	v_add_co_u32 v5, vcc_lo, s8, v1
	v_add_co_ci_u32_e64 v6, null, s9, v2, vcc_lo
	v_add_co_u32 v1, vcc_lo, s10, v1
	v_add_co_ci_u32_e64 v2, null, s11, v2, vcc_lo
	v_add_co_u32 v3, vcc_lo, v5, 8
	global_load_dwordx2 v[9:10], v[5:6], off
	v_add_co_ci_u32_e64 v7, null, 0, v6, vcc_lo
	s_cmp_eq_u64 s[10:11], 0
	s_cselect_b32 vcc_lo, -1, 0
	s_cmp_eq_u32 s1, 1
	v_cndmask_b32_e32 v2, v2, v7, vcc_lo
	v_cndmask_b32_e32 v1, v1, v3, vcc_lo
	global_load_dwordx2 v[2:3], v[1:2], off
	s_waitcnt vmcnt(1)
	v_sub_co_u32 v0, vcc_lo, v9, s18
	v_subrev_co_ci_u32_e64 v1, null, 0, v10, vcc_lo
	v_add_co_u32 v0, vcc_lo, v0, v21
	v_add_co_ci_u32_e64 v1, null, 0, v1, vcc_lo
	v_lshlrev_b64 v[5:6], 5, v[0:1]
	s_waitcnt vmcnt(0)
	v_sub_co_u32 v2, vcc_lo, v2, s18
	v_subrev_co_ci_u32_e64 v3, null, 0, v3, vcc_lo
	v_add_co_u32 v5, vcc_lo, s14, v5
	v_cmp_lt_i64_e64 s0, v[0:1], v[2:3]
	v_add_co_ci_u32_e64 v6, null, s15, v6, vcc_lo
	s_cbranch_scc1 .LBB96_25
; %bb.14:
	v_mov_b32_e32 v23, 0
	v_mov_b32_e32 v24, 0
	;; [unrolled: 1-line block ×3, first 2 shown]
	s_and_saveexec_b32 s1, s0
	s_cbranch_execz .LBB96_24
; %bb.15:
	v_or_b32_e32 v7, 8, v21
	v_not_b32_e32 v12, v9
	v_not_b32_e32 v11, v10
	v_sub_co_u32 v7, s3, v7, s18
	v_sub_co_ci_u32_e64 v8, null, 0, 0, s3
	v_sub_co_u32 v13, s3, s18, v21
	v_add_co_u32 v7, vcc_lo, v7, v9
	v_add_co_ci_u32_e64 v8, null, v8, v10, vcc_lo
	v_sub_co_ci_u32_e64 v14, null, 0, 0, s3
	s_mov_b32 s3, exec_lo
	v_cmp_gt_i64_e32 vcc_lo, v[7:8], v[2:3]
	v_cndmask_b32_e32 v16, v3, v8, vcc_lo
	v_cndmask_b32_e32 v7, v2, v7, vcc_lo
	v_add_co_u32 v8, vcc_lo, v13, v12
	v_add_co_ci_u32_e64 v11, null, v14, v11, vcc_lo
	v_mov_b32_e32 v14, v6
	v_add_co_u32 v15, vcc_lo, v8, v7
	v_mov_b32_e32 v8, 0
	v_add_co_ci_u32_e64 v16, null, v11, v16, vcc_lo
	v_mov_b32_e32 v12, v1
	v_and_b32_e32 v7, 24, v15
	v_mov_b32_e32 v24, v8
	v_mov_b32_e32 v23, v8
	;; [unrolled: 1-line block ×5, first 2 shown]
	v_cmpx_ne_u64_e32 24, v[7:8]
	s_cbranch_execz .LBB96_19
; %bb.16:
	v_lshrrev_b32_e32 v7, 3, v15
	v_mov_b32_e32 v14, v6
	v_mov_b32_e32 v12, v1
	;; [unrolled: 1-line block ×4, first 2 shown]
	v_add_nc_u32_e32 v17, 1, v7
	v_lshlrev_b64 v[7:8], 2, v[0:1]
	v_mov_b32_e32 v11, v0
	v_mov_b32_e32 v23, 0
	;; [unrolled: 1-line block ×3, first 2 shown]
	v_and_b32_e32 v19, 3, v17
	v_add_co_u32 v17, vcc_lo, s12, v7
	v_add_co_ci_u32_e64 v18, null, s13, v8, vcc_lo
	v_sub_co_u32 v19, s8, 0, v19
	v_sub_co_ci_u32_e64 v20, null, 0, 0, s8
	v_mov_b32_e32 v8, 0
	s_mov_b32 s8, 0
.LBB96_17:                              ; =>This Inner Loop Header: Depth=1
	global_load_dword v7, v[17:18], off
	s_clause 0x1
	global_load_dwordx4 v[25:28], v[13:14], off
	global_load_dwordx4 v[29:32], v[13:14], off offset:16
	s_waitcnt vmcnt(2)
	v_subrev_nc_u32_e32 v7, s18, v7
	v_lshlrev_b32_e32 v33, 2, v7
	v_ashrrev_i32_e32 v34, 31, v33
	v_lshlrev_b64 v[33:34], 1, v[33:34]
	v_add_co_u32 v33, vcc_lo, s6, v33
	v_add_co_ci_u32_e64 v34, null, s7, v34, vcc_lo
	v_add_co_u32 v13, vcc_lo, 0x100, v13
	v_add_co_ci_u32_e64 v14, null, 0, v14, vcc_lo
	global_load_dwordx2 v[33:34], v[33:34], off
	v_add_co_u32 v11, vcc_lo, v11, 8
	v_add_co_ci_u32_e64 v12, null, 0, v12, vcc_lo
	v_add_co_u32 v17, vcc_lo, v17, 32
	v_add_co_ci_u32_e64 v18, null, 0, v18, vcc_lo
	;; [unrolled: 2-line block ×3, first 2 shown]
	v_cmp_eq_u64_e32 vcc_lo, 0, v[19:20]
	s_or_b32 s8, vcc_lo, s8
	s_waitcnt vmcnt(0)
	v_fma_mix_f32 v7, v25, v33, v8 op_sel_hi:[1,1,0]
	v_fma_mix_f32 v8, v27, v33, v24 op_sel_hi:[1,1,0]
	v_fma_mix_f32 v23, v29, v33, v23 op_sel_hi:[1,1,0]
	v_fma_mix_f32 v22, v31, v33, v22 op_sel_hi:[1,1,0]
	v_fma_mix_f32 v7, v25, v33, v7 op_sel:[1,1,0] op_sel_hi:[1,1,0]
	v_fma_mix_f32 v8, v27, v33, v8 op_sel:[1,1,0] op_sel_hi:[1,1,0]
	;; [unrolled: 1-line block ×4, first 2 shown]
	v_fma_mix_f32 v7, v26, v34, v7 op_sel_hi:[1,1,0]
	v_fma_mix_f32 v24, v28, v34, v8 op_sel_hi:[1,1,0]
	;; [unrolled: 1-line block ×4, first 2 shown]
	v_fma_mix_f32 v8, v26, v34, v7 op_sel:[1,1,0] op_sel_hi:[1,1,0]
	v_fma_mix_f32 v24, v28, v34, v24 op_sel:[1,1,0] op_sel_hi:[1,1,0]
	;; [unrolled: 1-line block ×4, first 2 shown]
	s_andn2_b32 exec_lo, exec_lo, s8
	s_cbranch_execnz .LBB96_17
; %bb.18:
	s_or_b32 exec_lo, exec_lo, s8
.LBB96_19:
	s_or_b32 exec_lo, exec_lo, s3
	s_mov_b32 s3, exec_lo
	v_cmpx_lt_u64_e32 23, v[15:16]
	s_cbranch_execz .LBB96_23
; %bb.20:
	v_lshlrev_b64 v[15:16], 2, v[11:12]
	s_mov_b32 s8, 0
	v_add_co_u32 v7, vcc_lo, s12, v15
	v_add_co_ci_u32_e64 v16, null, s13, v16, vcc_lo
	v_add_co_u32 v15, vcc_lo, v7, 64
	v_add_co_ci_u32_e64 v16, null, 0, v16, vcc_lo
.LBB96_21:                              ; =>This Inner Loop Header: Depth=1
	s_clause 0x3
	global_load_dword v7, v[15:16], off offset:-64
	global_load_dword v53, v[15:16], off offset:-32
	global_load_dword v54, v[15:16], off
	global_load_dword v55, v[15:16], off offset:32
	s_clause 0x7
	global_load_dwordx4 v[17:20], v[13:14], off
	global_load_dwordx4 v[25:28], v[13:14], off offset:16
	global_load_dwordx4 v[29:32], v[13:14], off offset:256
	;; [unrolled: 1-line block ×7, first 2 shown]
	s_waitcnt vmcnt(11)
	v_subrev_nc_u32_e32 v7, s18, v7
	s_waitcnt vmcnt(10)
	v_subrev_nc_u32_e32 v56, s18, v53
	;; [unrolled: 2-line block ×4, first 2 shown]
	v_lshlrev_b32_e32 v53, 2, v7
	v_lshlrev_b32_e32 v55, 2, v56
	;; [unrolled: 1-line block ×4, first 2 shown]
	v_ashrrev_i32_e32 v54, 31, v53
	v_ashrrev_i32_e32 v56, 31, v55
	;; [unrolled: 1-line block ×4, first 2 shown]
	v_lshlrev_b64 v[53:54], 1, v[53:54]
	v_lshlrev_b64 v[55:56], 1, v[55:56]
	;; [unrolled: 1-line block ×4, first 2 shown]
	v_add_co_u32 v53, vcc_lo, s6, v53
	v_add_co_ci_u32_e64 v54, null, s7, v54, vcc_lo
	v_add_co_u32 v55, vcc_lo, s6, v55
	v_add_co_ci_u32_e64 v56, null, s7, v56, vcc_lo
	global_load_dwordx2 v[53:54], v[53:54], off
	v_add_co_u32 v57, vcc_lo, s6, v57
	global_load_dwordx2 v[55:56], v[55:56], off
	v_add_co_ci_u32_e64 v58, null, s7, v58, vcc_lo
	v_add_co_u32 v59, vcc_lo, s6, v59
	v_add_co_ci_u32_e64 v60, null, s7, v60, vcc_lo
	global_load_dwordx2 v[57:58], v[57:58], off
	v_add_co_u32 v13, vcc_lo, 0x400, v13
	global_load_dwordx2 v[59:60], v[59:60], off
	v_add_co_ci_u32_e64 v14, null, 0, v14, vcc_lo
	v_add_co_u32 v11, vcc_lo, v11, 32
	v_add_co_ci_u32_e64 v12, null, 0, v12, vcc_lo
	v_add_co_u32 v15, vcc_lo, 0x80, v15
	v_add_co_ci_u32_e64 v16, null, 0, v16, vcc_lo
	v_cmp_ge_i64_e32 vcc_lo, v[11:12], v[2:3]
	s_or_b32 s8, vcc_lo, s8
	s_waitcnt vmcnt(3)
	v_fma_mix_f32 v7, v17, v53, v8 op_sel_hi:[1,1,0]
	v_fma_mix_f32 v8, v19, v53, v24 op_sel_hi:[1,1,0]
	v_fma_mix_f32 v23, v25, v53, v23 op_sel_hi:[1,1,0]
	v_fma_mix_f32 v22, v27, v53, v22 op_sel_hi:[1,1,0]
	v_fma_mix_f32 v7, v17, v53, v7 op_sel:[1,1,0] op_sel_hi:[1,1,0]
	v_fma_mix_f32 v8, v19, v53, v8 op_sel:[1,1,0] op_sel_hi:[1,1,0]
	v_fma_mix_f32 v17, v25, v53, v23 op_sel:[1,1,0] op_sel_hi:[1,1,0]
	v_fma_mix_f32 v19, v27, v53, v22 op_sel:[1,1,0] op_sel_hi:[1,1,0]
	v_fma_mix_f32 v7, v18, v54, v7 op_sel_hi:[1,1,0]
	v_fma_mix_f32 v8, v20, v54, v8 op_sel_hi:[1,1,0]
	v_fma_mix_f32 v17, v26, v54, v17 op_sel_hi:[1,1,0]
	v_fma_mix_f32 v19, v28, v54, v19 op_sel_hi:[1,1,0]
	v_fma_mix_f32 v7, v18, v54, v7 op_sel:[1,1,0] op_sel_hi:[1,1,0]
	v_fma_mix_f32 v8, v20, v54, v8 op_sel:[1,1,0] op_sel_hi:[1,1,0]
	v_fma_mix_f32 v17, v26, v54, v17 op_sel:[1,1,0] op_sel_hi:[1,1,0]
	v_fma_mix_f32 v18, v28, v54, v19 op_sel:[1,1,0] op_sel_hi:[1,1,0]
	s_waitcnt vmcnt(2)
	v_fma_mix_f32 v7, v29, v55, v7 op_sel_hi:[1,1,0]
	v_fma_mix_f32 v8, v31, v55, v8 op_sel_hi:[1,1,0]
	v_fma_mix_f32 v17, v33, v55, v17 op_sel_hi:[1,1,0]
	v_fma_mix_f32 v18, v35, v55, v18 op_sel_hi:[1,1,0]
	v_fma_mix_f32 v7, v29, v55, v7 op_sel:[1,1,0] op_sel_hi:[1,1,0]
	v_fma_mix_f32 v8, v31, v55, v8 op_sel:[1,1,0] op_sel_hi:[1,1,0]
	v_fma_mix_f32 v17, v33, v55, v17 op_sel:[1,1,0] op_sel_hi:[1,1,0]
	v_fma_mix_f32 v18, v35, v55, v18 op_sel:[1,1,0] op_sel_hi:[1,1,0]
	v_fma_mix_f32 v7, v30, v56, v7 op_sel_hi:[1,1,0]
	v_fma_mix_f32 v8, v32, v56, v8 op_sel_hi:[1,1,0]
	v_fma_mix_f32 v17, v34, v56, v17 op_sel_hi:[1,1,0]
	v_fma_mix_f32 v18, v36, v56, v18 op_sel_hi:[1,1,0]
	v_fma_mix_f32 v7, v30, v56, v7 op_sel:[1,1,0] op_sel_hi:[1,1,0]
	v_fma_mix_f32 v8, v32, v56, v8 op_sel:[1,1,0] op_sel_hi:[1,1,0]
	v_fma_mix_f32 v17, v34, v56, v17 op_sel:[1,1,0] op_sel_hi:[1,1,0]
	v_fma_mix_f32 v18, v36, v56, v18 op_sel:[1,1,0] op_sel_hi:[1,1,0]
	;; [unrolled: 17-line block ×4, first 2 shown]
	s_andn2_b32 exec_lo, exec_lo, s8
	s_cbranch_execnz .LBB96_21
; %bb.22:
	s_or_b32 exec_lo, exec_lo, s8
.LBB96_23:
	s_or_b32 exec_lo, exec_lo, s3
.LBB96_24:
	s_or_b32 exec_lo, exec_lo, s1
	s_cbranch_execz .LBB96_26
	s_branch .LBB96_37
.LBB96_25:
                                        ; implicit-def: $vgpr22
                                        ; implicit-def: $vgpr23
                                        ; implicit-def: $vgpr24
                                        ; implicit-def: $vgpr8
.LBB96_26:
	v_mov_b32_e32 v22, 0
	v_mov_b32_e32 v23, 0
	;; [unrolled: 1-line block ×4, first 2 shown]
	s_and_saveexec_b32 s1, s0
	s_cbranch_execz .LBB96_36
; %bb.27:
	v_or_b32_e32 v7, 8, v21
	v_sub_co_u32 v7, s0, v7, s18
	v_sub_co_ci_u32_e64 v8, null, 0, 0, s0
	v_sub_co_u32 v11, s0, s18, v21
	v_add_co_u32 v7, vcc_lo, v7, v9
	v_add_co_ci_u32_e64 v8, null, v8, v10, vcc_lo
	v_not_b32_e32 v9, v9
	v_not_b32_e32 v10, v10
	v_sub_co_ci_u32_e64 v12, null, 0, 0, s0
	v_cmp_gt_i64_e32 vcc_lo, v[7:8], v[2:3]
	s_mov_b32 s0, exec_lo
	v_cndmask_b32_e32 v13, v3, v8, vcc_lo
	v_cndmask_b32_e32 v7, v2, v7, vcc_lo
	v_add_co_u32 v8, vcc_lo, v11, v9
	v_add_co_ci_u32_e64 v10, null, v12, v10, vcc_lo
	v_add_co_u32 v9, vcc_lo, v8, v7
	v_mov_b32_e32 v8, 0
	v_add_co_ci_u32_e64 v10, null, v10, v13, vcc_lo
	v_and_b32_e32 v7, 24, v9
	v_mov_b32_e32 v24, v8
	v_mov_b32_e32 v23, v8
	;; [unrolled: 1-line block ×3, first 2 shown]
	v_cmpx_ne_u64_e32 24, v[7:8]
	s_cbranch_execz .LBB96_31
; %bb.28:
	v_lshrrev_b32_e32 v7, 3, v9
	v_mov_b32_e32 v22, 0
	v_mov_b32_e32 v23, 0
	;; [unrolled: 1-line block ×3, first 2 shown]
	v_add_nc_u32_e32 v11, 1, v7
	v_lshlrev_b64 v[7:8], 2, v[0:1]
	v_and_b32_e32 v13, 3, v11
	v_add_co_u32 v11, vcc_lo, s12, v7
	v_add_co_ci_u32_e64 v12, null, s13, v8, vcc_lo
	v_sub_co_u32 v13, s3, 0, v13
	v_sub_co_ci_u32_e64 v14, null, 0, 0, s3
	v_mov_b32_e32 v8, 0
	s_mov_b32 s3, 0
.LBB96_29:                              ; =>This Inner Loop Header: Depth=1
	global_load_dword v7, v[11:12], off
	global_load_dwordx4 v[15:18], v[5:6], off
	s_waitcnt vmcnt(1)
	v_subrev_nc_u32_e32 v7, s18, v7
	v_lshlrev_b32_e32 v19, 2, v7
	v_ashrrev_i32_e32 v20, 31, v19
	v_lshlrev_b64 v[19:20], 1, v[19:20]
	v_add_co_u32 v19, vcc_lo, s6, v19
	v_add_co_ci_u32_e64 v20, null, s7, v20, vcc_lo
	global_load_dwordx2 v[19:20], v[19:20], off
	global_load_dwordx4 v[25:28], v[5:6], off offset:16
	v_add_co_u32 v5, vcc_lo, 0x100, v5
	v_add_co_ci_u32_e64 v6, null, 0, v6, vcc_lo
	v_add_co_u32 v0, vcc_lo, v0, 8
	v_add_co_ci_u32_e64 v1, null, 0, v1, vcc_lo
	;; [unrolled: 2-line block ×4, first 2 shown]
	v_cmp_eq_u64_e32 vcc_lo, 0, v[13:14]
	s_or_b32 s3, vcc_lo, s3
	s_waitcnt vmcnt(1)
	v_fma_mix_f32 v7, v15, v19, v8 op_sel_hi:[1,1,0]
	v_fma_mix_f32 v8, v15, v19, v24 op_sel:[1,0,0] op_sel_hi:[1,1,0]
	v_fma_mix_f32 v15, v16, v19, v23 op_sel_hi:[1,1,0]
	v_fma_mix_f32 v16, v16, v19, v22 op_sel:[1,0,0] op_sel_hi:[1,1,0]
	v_fma_mix_f32 v7, v17, v19, v7 op_sel:[0,1,0] op_sel_hi:[1,1,0]
	;; [unrolled: 1-line block ×5, first 2 shown]
	s_waitcnt vmcnt(0)
	v_fma_mix_f32 v7, v25, v20, v7 op_sel_hi:[1,1,0]
	v_fma_mix_f32 v17, v25, v20, v8 op_sel:[1,0,0] op_sel_hi:[1,1,0]
	v_fma_mix_f32 v15, v26, v20, v15 op_sel_hi:[1,1,0]
	v_fma_mix_f32 v16, v26, v20, v16 op_sel:[1,0,0] op_sel_hi:[1,1,0]
	v_fma_mix_f32 v8, v27, v20, v7 op_sel:[0,1,0] op_sel_hi:[1,1,0]
	;; [unrolled: 1-line block ×5, first 2 shown]
	s_andn2_b32 exec_lo, exec_lo, s3
	s_cbranch_execnz .LBB96_29
; %bb.30:
	s_or_b32 exec_lo, exec_lo, s3
.LBB96_31:
	s_or_b32 exec_lo, exec_lo, s0
	s_mov_b32 s0, exec_lo
	v_cmpx_lt_u64_e32 23, v[9:10]
	s_cbranch_execz .LBB96_35
; %bb.32:
	v_lshlrev_b64 v[9:10], 2, v[0:1]
	s_mov_b32 s3, 0
	v_add_co_u32 v7, vcc_lo, s12, v9
	v_add_co_ci_u32_e64 v10, null, s13, v10, vcc_lo
	v_add_co_u32 v9, vcc_lo, v7, 64
	v_add_co_ci_u32_e64 v10, null, 0, v10, vcc_lo
.LBB96_33:                              ; =>This Inner Loop Header: Depth=1
	s_clause 0x3
	global_load_dword v7, v[9:10], off offset:-64
	global_load_dword v19, v[9:10], off offset:-32
	global_load_dword v20, v[9:10], off
	global_load_dword v45, v[9:10], off offset:32
	s_clause 0x6
	global_load_dwordx4 v[11:14], v[5:6], off
	global_load_dwordx4 v[15:18], v[5:6], off offset:16
	global_load_dwordx4 v[25:28], v[5:6], off offset:256
	;; [unrolled: 1-line block ×6, first 2 shown]
	s_waitcnt vmcnt(10)
	v_subrev_nc_u32_e32 v7, s18, v7
	s_waitcnt vmcnt(9)
	v_subrev_nc_u32_e32 v46, s18, v19
	s_waitcnt vmcnt(8)
	v_subrev_nc_u32_e32 v20, s18, v20
	s_waitcnt vmcnt(7)
	v_subrev_nc_u32_e32 v48, s18, v45
	v_lshlrev_b32_e32 v19, 2, v7
	v_lshlrev_b32_e32 v45, 2, v46
	;; [unrolled: 1-line block ×4, first 2 shown]
	v_ashrrev_i32_e32 v20, 31, v19
	v_ashrrev_i32_e32 v46, 31, v45
	;; [unrolled: 1-line block ×4, first 2 shown]
	v_lshlrev_b64 v[19:20], 1, v[19:20]
	v_lshlrev_b64 v[45:46], 1, v[45:46]
	v_add_co_u32 v19, vcc_lo, s6, v19
	v_add_co_ci_u32_e64 v20, null, s7, v20, vcc_lo
	v_add_co_u32 v45, vcc_lo, s6, v45
	v_add_co_ci_u32_e64 v46, null, s7, v46, vcc_lo
	s_clause 0x1
	global_load_dwordx2 v[19:20], v[19:20], off
	global_load_dwordx2 v[51:52], v[45:46], off
	v_lshlrev_b64 v[45:46], 1, v[47:48]
	v_add_co_u32 v45, vcc_lo, s6, v45
	v_add_co_ci_u32_e64 v46, null, s7, v46, vcc_lo
	global_load_dwordx2 v[53:54], v[45:46], off
	v_lshlrev_b64 v[45:46], 1, v[49:50]
	v_add_co_u32 v45, vcc_lo, s6, v45
	v_add_co_ci_u32_e64 v46, null, s7, v46, vcc_lo
	global_load_dwordx2 v[49:50], v[45:46], off
	global_load_dwordx4 v[45:48], v[5:6], off offset:784
	v_add_co_u32 v5, vcc_lo, 0x400, v5
	v_add_co_ci_u32_e64 v6, null, 0, v6, vcc_lo
	v_add_co_u32 v0, vcc_lo, v0, 32
	v_add_co_ci_u32_e64 v1, null, 0, v1, vcc_lo
	v_add_co_u32 v9, vcc_lo, 0x80, v9
	v_add_co_ci_u32_e64 v10, null, 0, v10, vcc_lo
	v_cmp_ge_i64_e32 vcc_lo, v[0:1], v[2:3]
	s_or_b32 s3, vcc_lo, s3
	s_waitcnt vmcnt(4)
	v_fma_mix_f32 v7, v11, v19, v8 op_sel_hi:[1,1,0]
	v_fma_mix_f32 v8, v11, v19, v24 op_sel:[1,0,0] op_sel_hi:[1,1,0]
	v_fma_mix_f32 v11, v12, v19, v23 op_sel_hi:[1,1,0]
	v_fma_mix_f32 v12, v12, v19, v22 op_sel:[1,0,0] op_sel_hi:[1,1,0]
	v_fma_mix_f32 v7, v13, v19, v7 op_sel:[0,1,0] op_sel_hi:[1,1,0]
	v_fma_mix_f32 v8, v13, v19, v8 op_sel:[1,1,0] op_sel_hi:[1,1,0]
	v_fma_mix_f32 v11, v14, v19, v11 op_sel:[0,1,0] op_sel_hi:[1,1,0]
	v_fma_mix_f32 v12, v14, v19, v12 op_sel:[1,1,0] op_sel_hi:[1,1,0]
	v_fma_mix_f32 v7, v15, v20, v7 op_sel_hi:[1,1,0]
	v_fma_mix_f32 v8, v15, v20, v8 op_sel:[1,0,0] op_sel_hi:[1,1,0]
	v_fma_mix_f32 v11, v16, v20, v11 op_sel_hi:[1,1,0]
	v_fma_mix_f32 v12, v16, v20, v12 op_sel:[1,0,0] op_sel_hi:[1,1,0]
	v_fma_mix_f32 v7, v17, v20, v7 op_sel:[0,1,0] op_sel_hi:[1,1,0]
	v_fma_mix_f32 v8, v17, v20, v8 op_sel:[1,1,0] op_sel_hi:[1,1,0]
	v_fma_mix_f32 v11, v18, v20, v11 op_sel:[0,1,0] op_sel_hi:[1,1,0]
	v_fma_mix_f32 v12, v18, v20, v12 op_sel:[1,1,0] op_sel_hi:[1,1,0]
	s_waitcnt vmcnt(3)
	v_fma_mix_f32 v7, v25, v51, v7 op_sel_hi:[1,1,0]
	v_fma_mix_f32 v8, v25, v51, v8 op_sel:[1,0,0] op_sel_hi:[1,1,0]
	v_fma_mix_f32 v11, v26, v51, v11 op_sel_hi:[1,1,0]
	v_fma_mix_f32 v12, v26, v51, v12 op_sel:[1,0,0] op_sel_hi:[1,1,0]
	v_fma_mix_f32 v7, v27, v51, v7 op_sel:[0,1,0] op_sel_hi:[1,1,0]
	v_fma_mix_f32 v8, v27, v51, v8 op_sel:[1,1,0] op_sel_hi:[1,1,0]
	v_fma_mix_f32 v11, v28, v51, v11 op_sel:[0,1,0] op_sel_hi:[1,1,0]
	v_fma_mix_f32 v12, v28, v51, v12 op_sel:[1,1,0] op_sel_hi:[1,1,0]
	v_fma_mix_f32 v7, v29, v52, v7 op_sel_hi:[1,1,0]
	v_fma_mix_f32 v8, v29, v52, v8 op_sel:[1,0,0] op_sel_hi:[1,1,0]
	v_fma_mix_f32 v11, v30, v52, v11 op_sel_hi:[1,1,0]
	v_fma_mix_f32 v12, v30, v52, v12 op_sel:[1,0,0] op_sel_hi:[1,1,0]
	v_fma_mix_f32 v7, v31, v52, v7 op_sel:[0,1,0] op_sel_hi:[1,1,0]
	v_fma_mix_f32 v8, v31, v52, v8 op_sel:[1,1,0] op_sel_hi:[1,1,0]
	v_fma_mix_f32 v11, v32, v52, v11 op_sel:[0,1,0] op_sel_hi:[1,1,0]
	v_fma_mix_f32 v12, v32, v52, v12 op_sel:[1,1,0] op_sel_hi:[1,1,0]
	;; [unrolled: 17-line block ×3, first 2 shown]
	s_waitcnt vmcnt(1)
	v_fma_mix_f32 v7, v41, v49, v7 op_sel_hi:[1,1,0]
	v_fma_mix_f32 v8, v41, v49, v8 op_sel:[1,0,0] op_sel_hi:[1,1,0]
	v_fma_mix_f32 v11, v42, v49, v11 op_sel_hi:[1,1,0]
	v_fma_mix_f32 v12, v42, v49, v12 op_sel:[1,0,0] op_sel_hi:[1,1,0]
	v_fma_mix_f32 v7, v43, v49, v7 op_sel:[0,1,0] op_sel_hi:[1,1,0]
	v_fma_mix_f32 v8, v43, v49, v8 op_sel:[1,1,0] op_sel_hi:[1,1,0]
	v_fma_mix_f32 v11, v44, v49, v11 op_sel:[0,1,0] op_sel_hi:[1,1,0]
	v_fma_mix_f32 v12, v44, v49, v12 op_sel:[1,1,0] op_sel_hi:[1,1,0]
	s_waitcnt vmcnt(0)
	v_fma_mix_f32 v7, v45, v50, v7 op_sel_hi:[1,1,0]
	v_fma_mix_f32 v13, v45, v50, v8 op_sel:[1,0,0] op_sel_hi:[1,1,0]
	v_fma_mix_f32 v11, v46, v50, v11 op_sel_hi:[1,1,0]
	v_fma_mix_f32 v12, v46, v50, v12 op_sel:[1,0,0] op_sel_hi:[1,1,0]
	v_fma_mix_f32 v8, v47, v50, v7 op_sel:[0,1,0] op_sel_hi:[1,1,0]
	;; [unrolled: 1-line block ×5, first 2 shown]
	s_andn2_b32 exec_lo, exec_lo, s3
	s_cbranch_execnz .LBB96_33
; %bb.34:
	s_or_b32 exec_lo, exec_lo, s3
.LBB96_35:
	s_or_b32 exec_lo, exec_lo, s0
.LBB96_36:
	s_or_b32 exec_lo, exec_lo, s1
.LBB96_37:
	v_mbcnt_lo_u32_b32 v0, -1, 0
	s_mov_b32 s3, -1
	v_xor_b32_e32 v1, 4, v0
	v_xor_b32_e32 v6, 2, v0
	;; [unrolled: 1-line block ×3, first 2 shown]
	v_cmp_gt_i32_e32 vcc_lo, 32, v1
	v_cndmask_b32_e32 v1, v0, v1, vcc_lo
	v_cmp_gt_i32_e32 vcc_lo, 32, v6
	v_lshlrev_b32_e32 v1, 2, v1
	v_cndmask_b32_e32 v6, v0, v6, vcc_lo
	v_cmp_gt_i32_e32 vcc_lo, 32, v10
	ds_bpermute_b32 v2, v1, v8
	ds_bpermute_b32 v3, v1, v24
	;; [unrolled: 1-line block ×4, first 2 shown]
	v_lshlrev_b32_e32 v6, 2, v6
	v_cndmask_b32_e32 v0, v0, v10, vcc_lo
	v_cmp_eq_u32_e32 vcc_lo, 7, v21
	v_lshlrev_b32_e32 v10, 2, v0
	s_waitcnt lgkmcnt(3)
	v_add_f32_e32 v2, v8, v2
	s_waitcnt lgkmcnt(2)
	v_add_f32_e32 v3, v24, v3
	;; [unrolled: 2-line block ×4, first 2 shown]
	ds_bpermute_b32 v1, v6, v2
	ds_bpermute_b32 v8, v6, v3
	;; [unrolled: 1-line block ×4, first 2 shown]
	s_waitcnt lgkmcnt(3)
	v_add_f32_e32 v0, v2, v1
	s_waitcnt lgkmcnt(2)
	v_add_f32_e32 v1, v3, v8
	;; [unrolled: 2-line block ×4, first 2 shown]
	ds_bpermute_b32 v5, v10, v0
	ds_bpermute_b32 v6, v10, v1
	;; [unrolled: 1-line block ×4, first 2 shown]
	s_and_b32 exec_lo, exec_lo, vcc_lo
	s_cbranch_execz .LBB96_10
; %bb.38:
	s_load_dwordx2 s[0:1], s[4:5], 0x50
	s_waitcnt lgkmcnt(0)
	v_add_f32_e32 v0, v0, v5
	v_add_f32_e32 v1, v1, v6
	;; [unrolled: 1-line block ×4, first 2 shown]
	v_cmp_eq_f32_e64 s4, s2, 0
	v_mul_f32_e32 v0, s16, v0
	v_mul_f32_e32 v1, s16, v1
	;; [unrolled: 1-line block ×4, first 2 shown]
	v_lshlrev_b32_e32 v4, 2, v4
	s_and_b32 vcc_lo, exec_lo, s4
	s_cbranch_vccz .LBB96_40
; %bb.39:
	v_ashrrev_i32_e32 v5, 31, v4
	s_mov_b32 s3, 0
	v_lshlrev_b64 v[5:6], 2, v[4:5]
	v_add_co_u32 v5, vcc_lo, s0, v5
	v_add_co_ci_u32_e64 v6, null, s1, v6, vcc_lo
	global_store_dwordx4 v[5:6], v[0:3], off
.LBB96_40:
	s_andn2_b32 vcc_lo, exec_lo, s3
	s_cbranch_vccnz .LBB96_10
; %bb.41:
	v_ashrrev_i32_e32 v5, 31, v4
	v_lshlrev_b64 v[4:5], 2, v[4:5]
	v_add_co_u32 v8, vcc_lo, s0, v4
	v_add_co_ci_u32_e64 v9, null, s1, v5, vcc_lo
	global_load_dwordx4 v[4:7], v[8:9], off
	s_waitcnt vmcnt(0)
	v_fmac_f32_e32 v0, s2, v4
	v_fmac_f32_e32 v1, s2, v5
	;; [unrolled: 1-line block ×4, first 2 shown]
	global_store_dwordx4 v[8:9], v[0:3], off
	s_endpgm
	.section	.rodata,"a",@progbits
	.p2align	6, 0x0
	.amdhsa_kernel _ZN9rocsparseL18bsrxmvn_4x4_kernelILj128ELj8EfliDF16_DF16_fEEvT3_20rocsparse_direction_NS_24const_host_device_scalarIT1_EES1_PKS1_PKT2_SA_S7_PKT4_PKT5_S5_PT6_21rocsparse_index_base_b
		.amdhsa_group_segment_fixed_size 0
		.amdhsa_private_segment_fixed_size 0
		.amdhsa_kernarg_size 96
		.amdhsa_user_sgpr_count 6
		.amdhsa_user_sgpr_private_segment_buffer 1
		.amdhsa_user_sgpr_dispatch_ptr 0
		.amdhsa_user_sgpr_queue_ptr 0
		.amdhsa_user_sgpr_kernarg_segment_ptr 1
		.amdhsa_user_sgpr_dispatch_id 0
		.amdhsa_user_sgpr_flat_scratch_init 0
		.amdhsa_user_sgpr_private_segment_size 0
		.amdhsa_wavefront_size32 1
		.amdhsa_uses_dynamic_stack 0
		.amdhsa_system_sgpr_private_segment_wavefront_offset 0
		.amdhsa_system_sgpr_workgroup_id_x 1
		.amdhsa_system_sgpr_workgroup_id_y 0
		.amdhsa_system_sgpr_workgroup_id_z 0
		.amdhsa_system_sgpr_workgroup_info 0
		.amdhsa_system_vgpr_workitem_id 0
		.amdhsa_next_free_vgpr 61
		.amdhsa_next_free_sgpr 20
		.amdhsa_reserve_vcc 1
		.amdhsa_reserve_flat_scratch 0
		.amdhsa_float_round_mode_32 0
		.amdhsa_float_round_mode_16_64 0
		.amdhsa_float_denorm_mode_32 3
		.amdhsa_float_denorm_mode_16_64 3
		.amdhsa_dx10_clamp 1
		.amdhsa_ieee_mode 1
		.amdhsa_fp16_overflow 0
		.amdhsa_workgroup_processor_mode 1
		.amdhsa_memory_ordered 1
		.amdhsa_forward_progress 1
		.amdhsa_shared_vgpr_count 0
		.amdhsa_exception_fp_ieee_invalid_op 0
		.amdhsa_exception_fp_denorm_src 0
		.amdhsa_exception_fp_ieee_div_zero 0
		.amdhsa_exception_fp_ieee_overflow 0
		.amdhsa_exception_fp_ieee_underflow 0
		.amdhsa_exception_fp_ieee_inexact 0
		.amdhsa_exception_int_div_zero 0
	.end_amdhsa_kernel
	.section	.text._ZN9rocsparseL18bsrxmvn_4x4_kernelILj128ELj8EfliDF16_DF16_fEEvT3_20rocsparse_direction_NS_24const_host_device_scalarIT1_EES1_PKS1_PKT2_SA_S7_PKT4_PKT5_S5_PT6_21rocsparse_index_base_b,"axG",@progbits,_ZN9rocsparseL18bsrxmvn_4x4_kernelILj128ELj8EfliDF16_DF16_fEEvT3_20rocsparse_direction_NS_24const_host_device_scalarIT1_EES1_PKS1_PKT2_SA_S7_PKT4_PKT5_S5_PT6_21rocsparse_index_base_b,comdat
.Lfunc_end96:
	.size	_ZN9rocsparseL18bsrxmvn_4x4_kernelILj128ELj8EfliDF16_DF16_fEEvT3_20rocsparse_direction_NS_24const_host_device_scalarIT1_EES1_PKS1_PKT2_SA_S7_PKT4_PKT5_S5_PT6_21rocsparse_index_base_b, .Lfunc_end96-_ZN9rocsparseL18bsrxmvn_4x4_kernelILj128ELj8EfliDF16_DF16_fEEvT3_20rocsparse_direction_NS_24const_host_device_scalarIT1_EES1_PKS1_PKT2_SA_S7_PKT4_PKT5_S5_PT6_21rocsparse_index_base_b
                                        ; -- End function
	.set _ZN9rocsparseL18bsrxmvn_4x4_kernelILj128ELj8EfliDF16_DF16_fEEvT3_20rocsparse_direction_NS_24const_host_device_scalarIT1_EES1_PKS1_PKT2_SA_S7_PKT4_PKT5_S5_PT6_21rocsparse_index_base_b.num_vgpr, 61
	.set _ZN9rocsparseL18bsrxmvn_4x4_kernelILj128ELj8EfliDF16_DF16_fEEvT3_20rocsparse_direction_NS_24const_host_device_scalarIT1_EES1_PKS1_PKT2_SA_S7_PKT4_PKT5_S5_PT6_21rocsparse_index_base_b.num_agpr, 0
	.set _ZN9rocsparseL18bsrxmvn_4x4_kernelILj128ELj8EfliDF16_DF16_fEEvT3_20rocsparse_direction_NS_24const_host_device_scalarIT1_EES1_PKS1_PKT2_SA_S7_PKT4_PKT5_S5_PT6_21rocsparse_index_base_b.numbered_sgpr, 20
	.set _ZN9rocsparseL18bsrxmvn_4x4_kernelILj128ELj8EfliDF16_DF16_fEEvT3_20rocsparse_direction_NS_24const_host_device_scalarIT1_EES1_PKS1_PKT2_SA_S7_PKT4_PKT5_S5_PT6_21rocsparse_index_base_b.num_named_barrier, 0
	.set _ZN9rocsparseL18bsrxmvn_4x4_kernelILj128ELj8EfliDF16_DF16_fEEvT3_20rocsparse_direction_NS_24const_host_device_scalarIT1_EES1_PKS1_PKT2_SA_S7_PKT4_PKT5_S5_PT6_21rocsparse_index_base_b.private_seg_size, 0
	.set _ZN9rocsparseL18bsrxmvn_4x4_kernelILj128ELj8EfliDF16_DF16_fEEvT3_20rocsparse_direction_NS_24const_host_device_scalarIT1_EES1_PKS1_PKT2_SA_S7_PKT4_PKT5_S5_PT6_21rocsparse_index_base_b.uses_vcc, 1
	.set _ZN9rocsparseL18bsrxmvn_4x4_kernelILj128ELj8EfliDF16_DF16_fEEvT3_20rocsparse_direction_NS_24const_host_device_scalarIT1_EES1_PKS1_PKT2_SA_S7_PKT4_PKT5_S5_PT6_21rocsparse_index_base_b.uses_flat_scratch, 0
	.set _ZN9rocsparseL18bsrxmvn_4x4_kernelILj128ELj8EfliDF16_DF16_fEEvT3_20rocsparse_direction_NS_24const_host_device_scalarIT1_EES1_PKS1_PKT2_SA_S7_PKT4_PKT5_S5_PT6_21rocsparse_index_base_b.has_dyn_sized_stack, 0
	.set _ZN9rocsparseL18bsrxmvn_4x4_kernelILj128ELj8EfliDF16_DF16_fEEvT3_20rocsparse_direction_NS_24const_host_device_scalarIT1_EES1_PKS1_PKT2_SA_S7_PKT4_PKT5_S5_PT6_21rocsparse_index_base_b.has_recursion, 0
	.set _ZN9rocsparseL18bsrxmvn_4x4_kernelILj128ELj8EfliDF16_DF16_fEEvT3_20rocsparse_direction_NS_24const_host_device_scalarIT1_EES1_PKS1_PKT2_SA_S7_PKT4_PKT5_S5_PT6_21rocsparse_index_base_b.has_indirect_call, 0
	.section	.AMDGPU.csdata,"",@progbits
; Kernel info:
; codeLenInByte = 3960
; TotalNumSgprs: 22
; NumVgprs: 61
; ScratchSize: 0
; MemoryBound: 0
; FloatMode: 240
; IeeeMode: 1
; LDSByteSize: 0 bytes/workgroup (compile time only)
; SGPRBlocks: 0
; VGPRBlocks: 7
; NumSGPRsForWavesPerEU: 22
; NumVGPRsForWavesPerEU: 61
; Occupancy: 16
; WaveLimiterHint : 1
; COMPUTE_PGM_RSRC2:SCRATCH_EN: 0
; COMPUTE_PGM_RSRC2:USER_SGPR: 6
; COMPUTE_PGM_RSRC2:TRAP_HANDLER: 0
; COMPUTE_PGM_RSRC2:TGID_X_EN: 1
; COMPUTE_PGM_RSRC2:TGID_Y_EN: 0
; COMPUTE_PGM_RSRC2:TGID_Z_EN: 0
; COMPUTE_PGM_RSRC2:TIDIG_COMP_CNT: 0
	.section	.text._ZN9rocsparseL18bsrxmvn_4x4_kernelILj128ELj16EfliDF16_DF16_fEEvT3_20rocsparse_direction_NS_24const_host_device_scalarIT1_EES1_PKS1_PKT2_SA_S7_PKT4_PKT5_S5_PT6_21rocsparse_index_base_b,"axG",@progbits,_ZN9rocsparseL18bsrxmvn_4x4_kernelILj128ELj16EfliDF16_DF16_fEEvT3_20rocsparse_direction_NS_24const_host_device_scalarIT1_EES1_PKS1_PKT2_SA_S7_PKT4_PKT5_S5_PT6_21rocsparse_index_base_b,comdat
	.globl	_ZN9rocsparseL18bsrxmvn_4x4_kernelILj128ELj16EfliDF16_DF16_fEEvT3_20rocsparse_direction_NS_24const_host_device_scalarIT1_EES1_PKS1_PKT2_SA_S7_PKT4_PKT5_S5_PT6_21rocsparse_index_base_b ; -- Begin function _ZN9rocsparseL18bsrxmvn_4x4_kernelILj128ELj16EfliDF16_DF16_fEEvT3_20rocsparse_direction_NS_24const_host_device_scalarIT1_EES1_PKS1_PKT2_SA_S7_PKT4_PKT5_S5_PT6_21rocsparse_index_base_b
	.p2align	8
	.type	_ZN9rocsparseL18bsrxmvn_4x4_kernelILj128ELj16EfliDF16_DF16_fEEvT3_20rocsparse_direction_NS_24const_host_device_scalarIT1_EES1_PKS1_PKT2_SA_S7_PKT4_PKT5_S5_PT6_21rocsparse_index_base_b,@function
_ZN9rocsparseL18bsrxmvn_4x4_kernelILj128ELj16EfliDF16_DF16_fEEvT3_20rocsparse_direction_NS_24const_host_device_scalarIT1_EES1_PKS1_PKT2_SA_S7_PKT4_PKT5_S5_PT6_21rocsparse_index_base_b: ; @_ZN9rocsparseL18bsrxmvn_4x4_kernelILj128ELj16EfliDF16_DF16_fEEvT3_20rocsparse_direction_NS_24const_host_device_scalarIT1_EES1_PKS1_PKT2_SA_S7_PKT4_PKT5_S5_PT6_21rocsparse_index_base_b
; %bb.0:
	s_clause 0x2
	s_load_dwordx2 s[18:19], s[4:5], 0x58
	s_load_dwordx2 s[16:17], s[4:5], 0x8
	s_load_dwordx2 s[2:3], s[4:5], 0x48
	s_waitcnt lgkmcnt(0)
	s_bitcmp1_b32 s19, 0
	s_cselect_b32 s0, -1, 0
	s_and_b32 vcc_lo, exec_lo, s0
	s_xor_b32 s0, s0, -1
	s_cbranch_vccnz .LBB97_2
; %bb.1:
	s_load_dword s16, s[16:17], 0x0
.LBB97_2:
	s_andn2_b32 vcc_lo, exec_lo, s0
	s_cbranch_vccnz .LBB97_4
; %bb.3:
	s_load_dword s2, s[2:3], 0x0
.LBB97_4:
	s_waitcnt lgkmcnt(0)
	v_cmp_neq_f32_e64 s0, s16, 0
	v_cmp_neq_f32_e64 s1, s2, 1.0
	s_mov_b32 s3, 0
	s_or_b32 s0, s0, s1
	s_andn2_b32 vcc_lo, exec_lo, s0
	s_cbranch_vccnz .LBB97_10
; %bb.5:
	s_clause 0x1
	s_load_dwordx2 s[8:9], s[4:5], 0x18
	s_load_dwordx2 s[0:1], s[4:5], 0x0
	v_lshrrev_b32_e32 v1, 4, v0
	v_lshl_or_b32 v4, s6, 3, v1
	s_waitcnt lgkmcnt(0)
	s_cmp_lg_u64 s[8:9], 0
	s_cbranch_scc0 .LBB97_11
; %bb.6:
	s_load_dword s3, s[4:5], 0x10
	s_mov_b32 s6, 0
                                        ; implicit-def: $vgpr1
	s_waitcnt lgkmcnt(0)
	v_cmp_gt_i32_e32 vcc_lo, s3, v4
	s_mov_b32 s3, 0
	s_and_saveexec_b32 s7, vcc_lo
	s_xor_b32 s7, exec_lo, s7
	s_cbranch_execz .LBB97_8
; %bb.7:
	v_ashrrev_i32_e32 v5, 31, v4
	s_mov_b32 s3, exec_lo
	v_lshlrev_b64 v[1:2], 2, v[4:5]
	v_add_co_u32 v1, vcc_lo, s8, v1
	v_add_co_ci_u32_e64 v2, null, s9, v2, vcc_lo
	global_load_dword v1, v[1:2], off
	s_waitcnt vmcnt(0)
	v_subrev_nc_u32_e32 v1, s18, v1
.LBB97_8:
	s_or_b32 exec_lo, exec_lo, s7
	s_and_b32 vcc_lo, exec_lo, s6
	s_cbranch_vccz .LBB97_12
.LBB97_9:
	v_cmp_gt_i32_e32 vcc_lo, s0, v4
	s_andn2_b32 s0, s3, exec_lo
	s_and_b32 s3, vcc_lo, exec_lo
	s_or_b32 s3, s0, s3
	s_and_saveexec_b32 s0, s3
	s_cbranch_execnz .LBB97_13
.LBB97_10:
	s_endpgm
.LBB97_11:
                                        ; implicit-def: $vgpr1
	s_cbranch_execnz .LBB97_9
.LBB97_12:
	v_mov_b32_e32 v4, v1
	s_and_saveexec_b32 s0, s3
	s_cbranch_execz .LBB97_10
.LBB97_13:
	s_load_dwordx8 s[8:15], s[4:5], 0x20
	v_ashrrev_i32_e32 v5, 31, v4
	v_and_b32_e32 v21, 15, v0
	s_load_dwordx2 s[6:7], s[4:5], 0x40
	v_mov_b32_e32 v22, 0
	v_lshlrev_b64 v[1:2], 3, v[4:5]
	s_waitcnt lgkmcnt(0)
	v_add_co_u32 v5, vcc_lo, s8, v1
	v_add_co_ci_u32_e64 v6, null, s9, v2, vcc_lo
	v_add_co_u32 v1, vcc_lo, s10, v1
	v_add_co_ci_u32_e64 v2, null, s11, v2, vcc_lo
	v_add_co_u32 v3, vcc_lo, v5, 8
	global_load_dwordx2 v[9:10], v[5:6], off
	v_add_co_ci_u32_e64 v7, null, 0, v6, vcc_lo
	s_cmp_eq_u64 s[10:11], 0
	s_cselect_b32 vcc_lo, -1, 0
	s_cmp_eq_u32 s1, 1
	v_cndmask_b32_e32 v2, v2, v7, vcc_lo
	v_cndmask_b32_e32 v1, v1, v3, vcc_lo
	global_load_dwordx2 v[2:3], v[1:2], off
	s_waitcnt vmcnt(1)
	v_sub_co_u32 v0, vcc_lo, v9, s18
	v_subrev_co_ci_u32_e64 v1, null, 0, v10, vcc_lo
	v_add_co_u32 v0, vcc_lo, v0, v21
	v_add_co_ci_u32_e64 v1, null, 0, v1, vcc_lo
	v_lshlrev_b64 v[5:6], 5, v[0:1]
	s_waitcnt vmcnt(0)
	v_sub_co_u32 v2, vcc_lo, v2, s18
	v_subrev_co_ci_u32_e64 v3, null, 0, v3, vcc_lo
	v_add_co_u32 v5, vcc_lo, s14, v5
	v_cmp_lt_i64_e64 s0, v[0:1], v[2:3]
	v_add_co_ci_u32_e64 v6, null, s15, v6, vcc_lo
	s_cbranch_scc1 .LBB97_25
; %bb.14:
	v_mov_b32_e32 v23, 0
	v_mov_b32_e32 v24, 0
	;; [unrolled: 1-line block ×3, first 2 shown]
	s_and_saveexec_b32 s1, s0
	s_cbranch_execz .LBB97_24
; %bb.15:
	v_or_b32_e32 v7, 16, v21
	v_not_b32_e32 v12, v9
	v_not_b32_e32 v11, v10
	v_sub_co_u32 v7, s3, v7, s18
	v_sub_co_ci_u32_e64 v8, null, 0, 0, s3
	v_sub_co_u32 v13, s3, s18, v21
	v_add_co_u32 v7, vcc_lo, v7, v9
	v_add_co_ci_u32_e64 v8, null, v8, v10, vcc_lo
	v_sub_co_ci_u32_e64 v14, null, 0, 0, s3
	s_mov_b32 s3, exec_lo
	v_cmp_gt_i64_e32 vcc_lo, v[7:8], v[2:3]
	v_cndmask_b32_e32 v16, v3, v8, vcc_lo
	v_cndmask_b32_e32 v7, v2, v7, vcc_lo
	v_add_co_u32 v8, vcc_lo, v13, v12
	v_add_co_ci_u32_e64 v11, null, v14, v11, vcc_lo
	v_mov_b32_e32 v14, v6
	v_add_co_u32 v15, vcc_lo, v8, v7
	v_mov_b32_e32 v8, 0
	v_add_co_ci_u32_e64 v16, null, v11, v16, vcc_lo
	v_mov_b32_e32 v12, v1
	v_and_b32_e32 v7, 48, v15
	v_mov_b32_e32 v24, v8
	v_mov_b32_e32 v23, v8
	;; [unrolled: 1-line block ×5, first 2 shown]
	v_cmpx_ne_u64_e32 48, v[7:8]
	s_cbranch_execz .LBB97_19
; %bb.16:
	v_lshrrev_b32_e32 v7, 4, v15
	v_mov_b32_e32 v14, v6
	v_mov_b32_e32 v12, v1
	;; [unrolled: 1-line block ×4, first 2 shown]
	v_add_nc_u32_e32 v17, 1, v7
	v_lshlrev_b64 v[7:8], 2, v[0:1]
	v_mov_b32_e32 v11, v0
	v_mov_b32_e32 v23, 0
	;; [unrolled: 1-line block ×3, first 2 shown]
	v_and_b32_e32 v19, 3, v17
	v_add_co_u32 v17, vcc_lo, s12, v7
	v_add_co_ci_u32_e64 v18, null, s13, v8, vcc_lo
	v_sub_co_u32 v19, s8, 0, v19
	v_sub_co_ci_u32_e64 v20, null, 0, 0, s8
	v_mov_b32_e32 v8, 0
	s_mov_b32 s8, 0
.LBB97_17:                              ; =>This Inner Loop Header: Depth=1
	global_load_dword v7, v[17:18], off
	s_clause 0x1
	global_load_dwordx4 v[25:28], v[13:14], off
	global_load_dwordx4 v[29:32], v[13:14], off offset:16
	s_waitcnt vmcnt(2)
	v_subrev_nc_u32_e32 v7, s18, v7
	v_lshlrev_b32_e32 v33, 2, v7
	v_ashrrev_i32_e32 v34, 31, v33
	v_lshlrev_b64 v[33:34], 1, v[33:34]
	v_add_co_u32 v33, vcc_lo, s6, v33
	v_add_co_ci_u32_e64 v34, null, s7, v34, vcc_lo
	v_add_co_u32 v13, vcc_lo, 0x200, v13
	v_add_co_ci_u32_e64 v14, null, 0, v14, vcc_lo
	global_load_dwordx2 v[33:34], v[33:34], off
	v_add_co_u32 v11, vcc_lo, v11, 16
	v_add_co_ci_u32_e64 v12, null, 0, v12, vcc_lo
	v_add_co_u32 v17, vcc_lo, v17, 64
	v_add_co_ci_u32_e64 v18, null, 0, v18, vcc_lo
	;; [unrolled: 2-line block ×3, first 2 shown]
	v_cmp_eq_u64_e32 vcc_lo, 0, v[19:20]
	s_or_b32 s8, vcc_lo, s8
	s_waitcnt vmcnt(0)
	v_fma_mix_f32 v7, v25, v33, v8 op_sel_hi:[1,1,0]
	v_fma_mix_f32 v8, v27, v33, v24 op_sel_hi:[1,1,0]
	;; [unrolled: 1-line block ×4, first 2 shown]
	v_fma_mix_f32 v7, v25, v33, v7 op_sel:[1,1,0] op_sel_hi:[1,1,0]
	v_fma_mix_f32 v8, v27, v33, v8 op_sel:[1,1,0] op_sel_hi:[1,1,0]
	;; [unrolled: 1-line block ×4, first 2 shown]
	v_fma_mix_f32 v7, v26, v34, v7 op_sel_hi:[1,1,0]
	v_fma_mix_f32 v24, v28, v34, v8 op_sel_hi:[1,1,0]
	v_fma_mix_f32 v23, v30, v34, v23 op_sel_hi:[1,1,0]
	v_fma_mix_f32 v22, v32, v34, v22 op_sel_hi:[1,1,0]
	v_fma_mix_f32 v8, v26, v34, v7 op_sel:[1,1,0] op_sel_hi:[1,1,0]
	v_fma_mix_f32 v24, v28, v34, v24 op_sel:[1,1,0] op_sel_hi:[1,1,0]
	;; [unrolled: 1-line block ×4, first 2 shown]
	s_andn2_b32 exec_lo, exec_lo, s8
	s_cbranch_execnz .LBB97_17
; %bb.18:
	s_or_b32 exec_lo, exec_lo, s8
.LBB97_19:
	s_or_b32 exec_lo, exec_lo, s3
	s_mov_b32 s3, exec_lo
	v_cmpx_lt_u64_e32 47, v[15:16]
	s_cbranch_execz .LBB97_23
; %bb.20:
	v_lshlrev_b64 v[15:16], 2, v[11:12]
	s_mov_b32 s8, 0
	v_add_co_u32 v7, vcc_lo, s12, v15
	v_add_co_ci_u32_e64 v16, null, s13, v16, vcc_lo
	v_add_co_u32 v15, vcc_lo, 0x80, v7
	v_add_co_ci_u32_e64 v16, null, 0, v16, vcc_lo
.LBB97_21:                              ; =>This Inner Loop Header: Depth=1
	s_clause 0x3
	global_load_dword v7, v[15:16], off offset:-128
	global_load_dword v53, v[15:16], off offset:-64
	global_load_dword v54, v[15:16], off
	global_load_dword v55, v[15:16], off offset:64
	s_clause 0x7
	global_load_dwordx4 v[17:20], v[13:14], off
	global_load_dwordx4 v[25:28], v[13:14], off offset:16
	global_load_dwordx4 v[29:32], v[13:14], off offset:512
	;; [unrolled: 1-line block ×7, first 2 shown]
	s_waitcnt vmcnt(11)
	v_subrev_nc_u32_e32 v7, s18, v7
	s_waitcnt vmcnt(10)
	v_subrev_nc_u32_e32 v56, s18, v53
	;; [unrolled: 2-line block ×4, first 2 shown]
	v_lshlrev_b32_e32 v53, 2, v7
	v_lshlrev_b32_e32 v55, 2, v56
	;; [unrolled: 1-line block ×4, first 2 shown]
	v_ashrrev_i32_e32 v54, 31, v53
	v_ashrrev_i32_e32 v56, 31, v55
	;; [unrolled: 1-line block ×4, first 2 shown]
	v_lshlrev_b64 v[53:54], 1, v[53:54]
	v_lshlrev_b64 v[55:56], 1, v[55:56]
	;; [unrolled: 1-line block ×4, first 2 shown]
	v_add_co_u32 v53, vcc_lo, s6, v53
	v_add_co_ci_u32_e64 v54, null, s7, v54, vcc_lo
	v_add_co_u32 v55, vcc_lo, s6, v55
	v_add_co_ci_u32_e64 v56, null, s7, v56, vcc_lo
	global_load_dwordx2 v[53:54], v[53:54], off
	v_add_co_u32 v57, vcc_lo, s6, v57
	global_load_dwordx2 v[55:56], v[55:56], off
	v_add_co_ci_u32_e64 v58, null, s7, v58, vcc_lo
	v_add_co_u32 v59, vcc_lo, s6, v59
	v_add_co_ci_u32_e64 v60, null, s7, v60, vcc_lo
	global_load_dwordx2 v[57:58], v[57:58], off
	v_add_co_u32 v13, vcc_lo, 0x800, v13
	global_load_dwordx2 v[59:60], v[59:60], off
	v_add_co_ci_u32_e64 v14, null, 0, v14, vcc_lo
	v_add_co_u32 v11, vcc_lo, v11, 64
	v_add_co_ci_u32_e64 v12, null, 0, v12, vcc_lo
	v_add_co_u32 v15, vcc_lo, 0x100, v15
	v_add_co_ci_u32_e64 v16, null, 0, v16, vcc_lo
	v_cmp_ge_i64_e32 vcc_lo, v[11:12], v[2:3]
	s_or_b32 s8, vcc_lo, s8
	s_waitcnt vmcnt(3)
	v_fma_mix_f32 v7, v17, v53, v8 op_sel_hi:[1,1,0]
	v_fma_mix_f32 v8, v19, v53, v24 op_sel_hi:[1,1,0]
	v_fma_mix_f32 v23, v25, v53, v23 op_sel_hi:[1,1,0]
	v_fma_mix_f32 v22, v27, v53, v22 op_sel_hi:[1,1,0]
	v_fma_mix_f32 v7, v17, v53, v7 op_sel:[1,1,0] op_sel_hi:[1,1,0]
	v_fma_mix_f32 v8, v19, v53, v8 op_sel:[1,1,0] op_sel_hi:[1,1,0]
	v_fma_mix_f32 v17, v25, v53, v23 op_sel:[1,1,0] op_sel_hi:[1,1,0]
	v_fma_mix_f32 v19, v27, v53, v22 op_sel:[1,1,0] op_sel_hi:[1,1,0]
	v_fma_mix_f32 v7, v18, v54, v7 op_sel_hi:[1,1,0]
	v_fma_mix_f32 v8, v20, v54, v8 op_sel_hi:[1,1,0]
	v_fma_mix_f32 v17, v26, v54, v17 op_sel_hi:[1,1,0]
	v_fma_mix_f32 v19, v28, v54, v19 op_sel_hi:[1,1,0]
	v_fma_mix_f32 v7, v18, v54, v7 op_sel:[1,1,0] op_sel_hi:[1,1,0]
	v_fma_mix_f32 v8, v20, v54, v8 op_sel:[1,1,0] op_sel_hi:[1,1,0]
	v_fma_mix_f32 v17, v26, v54, v17 op_sel:[1,1,0] op_sel_hi:[1,1,0]
	v_fma_mix_f32 v18, v28, v54, v19 op_sel:[1,1,0] op_sel_hi:[1,1,0]
	s_waitcnt vmcnt(2)
	v_fma_mix_f32 v7, v29, v55, v7 op_sel_hi:[1,1,0]
	v_fma_mix_f32 v8, v31, v55, v8 op_sel_hi:[1,1,0]
	v_fma_mix_f32 v17, v33, v55, v17 op_sel_hi:[1,1,0]
	v_fma_mix_f32 v18, v35, v55, v18 op_sel_hi:[1,1,0]
	v_fma_mix_f32 v7, v29, v55, v7 op_sel:[1,1,0] op_sel_hi:[1,1,0]
	v_fma_mix_f32 v8, v31, v55, v8 op_sel:[1,1,0] op_sel_hi:[1,1,0]
	v_fma_mix_f32 v17, v33, v55, v17 op_sel:[1,1,0] op_sel_hi:[1,1,0]
	v_fma_mix_f32 v18, v35, v55, v18 op_sel:[1,1,0] op_sel_hi:[1,1,0]
	v_fma_mix_f32 v7, v30, v56, v7 op_sel_hi:[1,1,0]
	v_fma_mix_f32 v8, v32, v56, v8 op_sel_hi:[1,1,0]
	v_fma_mix_f32 v17, v34, v56, v17 op_sel_hi:[1,1,0]
	v_fma_mix_f32 v18, v36, v56, v18 op_sel_hi:[1,1,0]
	v_fma_mix_f32 v7, v30, v56, v7 op_sel:[1,1,0] op_sel_hi:[1,1,0]
	v_fma_mix_f32 v8, v32, v56, v8 op_sel:[1,1,0] op_sel_hi:[1,1,0]
	v_fma_mix_f32 v17, v34, v56, v17 op_sel:[1,1,0] op_sel_hi:[1,1,0]
	v_fma_mix_f32 v18, v36, v56, v18 op_sel:[1,1,0] op_sel_hi:[1,1,0]
	;; [unrolled: 17-line block ×4, first 2 shown]
	s_andn2_b32 exec_lo, exec_lo, s8
	s_cbranch_execnz .LBB97_21
; %bb.22:
	s_or_b32 exec_lo, exec_lo, s8
.LBB97_23:
	s_or_b32 exec_lo, exec_lo, s3
.LBB97_24:
	s_or_b32 exec_lo, exec_lo, s1
	s_cbranch_execz .LBB97_26
	s_branch .LBB97_37
.LBB97_25:
                                        ; implicit-def: $vgpr22
                                        ; implicit-def: $vgpr23
                                        ; implicit-def: $vgpr24
                                        ; implicit-def: $vgpr8
.LBB97_26:
	v_mov_b32_e32 v22, 0
	v_mov_b32_e32 v23, 0
	v_mov_b32_e32 v24, 0
	v_mov_b32_e32 v8, 0
	s_and_saveexec_b32 s1, s0
	s_cbranch_execz .LBB97_36
; %bb.27:
	v_or_b32_e32 v7, 16, v21
	v_sub_co_u32 v7, s0, v7, s18
	v_sub_co_ci_u32_e64 v8, null, 0, 0, s0
	v_sub_co_u32 v11, s0, s18, v21
	v_add_co_u32 v7, vcc_lo, v7, v9
	v_add_co_ci_u32_e64 v8, null, v8, v10, vcc_lo
	v_not_b32_e32 v9, v9
	v_not_b32_e32 v10, v10
	v_sub_co_ci_u32_e64 v12, null, 0, 0, s0
	v_cmp_gt_i64_e32 vcc_lo, v[7:8], v[2:3]
	s_mov_b32 s0, exec_lo
	v_cndmask_b32_e32 v13, v3, v8, vcc_lo
	v_cndmask_b32_e32 v7, v2, v7, vcc_lo
	v_add_co_u32 v8, vcc_lo, v11, v9
	v_add_co_ci_u32_e64 v10, null, v12, v10, vcc_lo
	v_add_co_u32 v9, vcc_lo, v8, v7
	v_mov_b32_e32 v8, 0
	v_add_co_ci_u32_e64 v10, null, v10, v13, vcc_lo
	v_and_b32_e32 v7, 48, v9
	v_mov_b32_e32 v24, v8
	v_mov_b32_e32 v23, v8
	;; [unrolled: 1-line block ×3, first 2 shown]
	v_cmpx_ne_u64_e32 48, v[7:8]
	s_cbranch_execz .LBB97_31
; %bb.28:
	v_lshrrev_b32_e32 v7, 4, v9
	v_mov_b32_e32 v22, 0
	v_mov_b32_e32 v23, 0
	;; [unrolled: 1-line block ×3, first 2 shown]
	v_add_nc_u32_e32 v11, 1, v7
	v_lshlrev_b64 v[7:8], 2, v[0:1]
	v_and_b32_e32 v13, 3, v11
	v_add_co_u32 v11, vcc_lo, s12, v7
	v_add_co_ci_u32_e64 v12, null, s13, v8, vcc_lo
	v_sub_co_u32 v13, s3, 0, v13
	v_sub_co_ci_u32_e64 v14, null, 0, 0, s3
	v_mov_b32_e32 v8, 0
	s_mov_b32 s3, 0
.LBB97_29:                              ; =>This Inner Loop Header: Depth=1
	global_load_dword v7, v[11:12], off
	global_load_dwordx4 v[15:18], v[5:6], off
	s_waitcnt vmcnt(1)
	v_subrev_nc_u32_e32 v7, s18, v7
	v_lshlrev_b32_e32 v19, 2, v7
	v_ashrrev_i32_e32 v20, 31, v19
	v_lshlrev_b64 v[19:20], 1, v[19:20]
	v_add_co_u32 v19, vcc_lo, s6, v19
	v_add_co_ci_u32_e64 v20, null, s7, v20, vcc_lo
	global_load_dwordx2 v[19:20], v[19:20], off
	global_load_dwordx4 v[25:28], v[5:6], off offset:16
	v_add_co_u32 v5, vcc_lo, 0x200, v5
	v_add_co_ci_u32_e64 v6, null, 0, v6, vcc_lo
	v_add_co_u32 v0, vcc_lo, v0, 16
	v_add_co_ci_u32_e64 v1, null, 0, v1, vcc_lo
	;; [unrolled: 2-line block ×4, first 2 shown]
	v_cmp_eq_u64_e32 vcc_lo, 0, v[13:14]
	s_or_b32 s3, vcc_lo, s3
	s_waitcnt vmcnt(1)
	v_fma_mix_f32 v7, v15, v19, v8 op_sel_hi:[1,1,0]
	v_fma_mix_f32 v8, v15, v19, v24 op_sel:[1,0,0] op_sel_hi:[1,1,0]
	v_fma_mix_f32 v15, v16, v19, v23 op_sel_hi:[1,1,0]
	v_fma_mix_f32 v16, v16, v19, v22 op_sel:[1,0,0] op_sel_hi:[1,1,0]
	v_fma_mix_f32 v7, v17, v19, v7 op_sel:[0,1,0] op_sel_hi:[1,1,0]
	;; [unrolled: 1-line block ×5, first 2 shown]
	s_waitcnt vmcnt(0)
	v_fma_mix_f32 v7, v25, v20, v7 op_sel_hi:[1,1,0]
	v_fma_mix_f32 v17, v25, v20, v8 op_sel:[1,0,0] op_sel_hi:[1,1,0]
	v_fma_mix_f32 v15, v26, v20, v15 op_sel_hi:[1,1,0]
	v_fma_mix_f32 v16, v26, v20, v16 op_sel:[1,0,0] op_sel_hi:[1,1,0]
	v_fma_mix_f32 v8, v27, v20, v7 op_sel:[0,1,0] op_sel_hi:[1,1,0]
	;; [unrolled: 1-line block ×5, first 2 shown]
	s_andn2_b32 exec_lo, exec_lo, s3
	s_cbranch_execnz .LBB97_29
; %bb.30:
	s_or_b32 exec_lo, exec_lo, s3
.LBB97_31:
	s_or_b32 exec_lo, exec_lo, s0
	s_mov_b32 s0, exec_lo
	v_cmpx_lt_u64_e32 47, v[9:10]
	s_cbranch_execz .LBB97_35
; %bb.32:
	v_lshlrev_b64 v[9:10], 2, v[0:1]
	s_mov_b32 s3, 0
	v_add_co_u32 v7, vcc_lo, s12, v9
	v_add_co_ci_u32_e64 v10, null, s13, v10, vcc_lo
	v_add_co_u32 v9, vcc_lo, 0x80, v7
	v_add_co_ci_u32_e64 v10, null, 0, v10, vcc_lo
.LBB97_33:                              ; =>This Inner Loop Header: Depth=1
	s_clause 0x3
	global_load_dword v7, v[9:10], off offset:-128
	global_load_dword v19, v[9:10], off offset:-64
	global_load_dword v20, v[9:10], off
	global_load_dword v45, v[9:10], off offset:64
	s_clause 0x6
	global_load_dwordx4 v[11:14], v[5:6], off
	global_load_dwordx4 v[15:18], v[5:6], off offset:16
	global_load_dwordx4 v[25:28], v[5:6], off offset:512
	;; [unrolled: 1-line block ×6, first 2 shown]
	s_waitcnt vmcnt(10)
	v_subrev_nc_u32_e32 v7, s18, v7
	s_waitcnt vmcnt(9)
	v_subrev_nc_u32_e32 v46, s18, v19
	;; [unrolled: 2-line block ×4, first 2 shown]
	v_lshlrev_b32_e32 v19, 2, v7
	v_lshlrev_b32_e32 v45, 2, v46
	;; [unrolled: 1-line block ×4, first 2 shown]
	v_ashrrev_i32_e32 v20, 31, v19
	v_ashrrev_i32_e32 v46, 31, v45
	;; [unrolled: 1-line block ×4, first 2 shown]
	v_lshlrev_b64 v[19:20], 1, v[19:20]
	v_lshlrev_b64 v[45:46], 1, v[45:46]
	v_add_co_u32 v19, vcc_lo, s6, v19
	v_add_co_ci_u32_e64 v20, null, s7, v20, vcc_lo
	v_add_co_u32 v45, vcc_lo, s6, v45
	v_add_co_ci_u32_e64 v46, null, s7, v46, vcc_lo
	s_clause 0x1
	global_load_dwordx2 v[19:20], v[19:20], off
	global_load_dwordx2 v[51:52], v[45:46], off
	v_lshlrev_b64 v[45:46], 1, v[47:48]
	v_add_co_u32 v45, vcc_lo, s6, v45
	v_add_co_ci_u32_e64 v46, null, s7, v46, vcc_lo
	global_load_dwordx2 v[53:54], v[45:46], off
	v_lshlrev_b64 v[45:46], 1, v[49:50]
	v_add_co_u32 v45, vcc_lo, s6, v45
	v_add_co_ci_u32_e64 v46, null, s7, v46, vcc_lo
	global_load_dwordx2 v[49:50], v[45:46], off
	global_load_dwordx4 v[45:48], v[5:6], off offset:1552
	v_add_co_u32 v5, vcc_lo, 0x800, v5
	v_add_co_ci_u32_e64 v6, null, 0, v6, vcc_lo
	v_add_co_u32 v0, vcc_lo, v0, 64
	v_add_co_ci_u32_e64 v1, null, 0, v1, vcc_lo
	;; [unrolled: 2-line block ×3, first 2 shown]
	v_cmp_ge_i64_e32 vcc_lo, v[0:1], v[2:3]
	s_or_b32 s3, vcc_lo, s3
	s_waitcnt vmcnt(4)
	v_fma_mix_f32 v7, v11, v19, v8 op_sel_hi:[1,1,0]
	v_fma_mix_f32 v8, v11, v19, v24 op_sel:[1,0,0] op_sel_hi:[1,1,0]
	v_fma_mix_f32 v11, v12, v19, v23 op_sel_hi:[1,1,0]
	v_fma_mix_f32 v12, v12, v19, v22 op_sel:[1,0,0] op_sel_hi:[1,1,0]
	v_fma_mix_f32 v7, v13, v19, v7 op_sel:[0,1,0] op_sel_hi:[1,1,0]
	v_fma_mix_f32 v8, v13, v19, v8 op_sel:[1,1,0] op_sel_hi:[1,1,0]
	v_fma_mix_f32 v11, v14, v19, v11 op_sel:[0,1,0] op_sel_hi:[1,1,0]
	v_fma_mix_f32 v12, v14, v19, v12 op_sel:[1,1,0] op_sel_hi:[1,1,0]
	v_fma_mix_f32 v7, v15, v20, v7 op_sel_hi:[1,1,0]
	v_fma_mix_f32 v8, v15, v20, v8 op_sel:[1,0,0] op_sel_hi:[1,1,0]
	v_fma_mix_f32 v11, v16, v20, v11 op_sel_hi:[1,1,0]
	v_fma_mix_f32 v12, v16, v20, v12 op_sel:[1,0,0] op_sel_hi:[1,1,0]
	v_fma_mix_f32 v7, v17, v20, v7 op_sel:[0,1,0] op_sel_hi:[1,1,0]
	v_fma_mix_f32 v8, v17, v20, v8 op_sel:[1,1,0] op_sel_hi:[1,1,0]
	v_fma_mix_f32 v11, v18, v20, v11 op_sel:[0,1,0] op_sel_hi:[1,1,0]
	v_fma_mix_f32 v12, v18, v20, v12 op_sel:[1,1,0] op_sel_hi:[1,1,0]
	s_waitcnt vmcnt(3)
	v_fma_mix_f32 v7, v25, v51, v7 op_sel_hi:[1,1,0]
	v_fma_mix_f32 v8, v25, v51, v8 op_sel:[1,0,0] op_sel_hi:[1,1,0]
	v_fma_mix_f32 v11, v26, v51, v11 op_sel_hi:[1,1,0]
	v_fma_mix_f32 v12, v26, v51, v12 op_sel:[1,0,0] op_sel_hi:[1,1,0]
	v_fma_mix_f32 v7, v27, v51, v7 op_sel:[0,1,0] op_sel_hi:[1,1,0]
	v_fma_mix_f32 v8, v27, v51, v8 op_sel:[1,1,0] op_sel_hi:[1,1,0]
	v_fma_mix_f32 v11, v28, v51, v11 op_sel:[0,1,0] op_sel_hi:[1,1,0]
	v_fma_mix_f32 v12, v28, v51, v12 op_sel:[1,1,0] op_sel_hi:[1,1,0]
	v_fma_mix_f32 v7, v29, v52, v7 op_sel_hi:[1,1,0]
	v_fma_mix_f32 v8, v29, v52, v8 op_sel:[1,0,0] op_sel_hi:[1,1,0]
	v_fma_mix_f32 v11, v30, v52, v11 op_sel_hi:[1,1,0]
	v_fma_mix_f32 v12, v30, v52, v12 op_sel:[1,0,0] op_sel_hi:[1,1,0]
	v_fma_mix_f32 v7, v31, v52, v7 op_sel:[0,1,0] op_sel_hi:[1,1,0]
	v_fma_mix_f32 v8, v31, v52, v8 op_sel:[1,1,0] op_sel_hi:[1,1,0]
	v_fma_mix_f32 v11, v32, v52, v11 op_sel:[0,1,0] op_sel_hi:[1,1,0]
	v_fma_mix_f32 v12, v32, v52, v12 op_sel:[1,1,0] op_sel_hi:[1,1,0]
	;; [unrolled: 17-line block ×3, first 2 shown]
	s_waitcnt vmcnt(1)
	v_fma_mix_f32 v7, v41, v49, v7 op_sel_hi:[1,1,0]
	v_fma_mix_f32 v8, v41, v49, v8 op_sel:[1,0,0] op_sel_hi:[1,1,0]
	v_fma_mix_f32 v11, v42, v49, v11 op_sel_hi:[1,1,0]
	v_fma_mix_f32 v12, v42, v49, v12 op_sel:[1,0,0] op_sel_hi:[1,1,0]
	v_fma_mix_f32 v7, v43, v49, v7 op_sel:[0,1,0] op_sel_hi:[1,1,0]
	;; [unrolled: 1-line block ×5, first 2 shown]
	s_waitcnt vmcnt(0)
	v_fma_mix_f32 v7, v45, v50, v7 op_sel_hi:[1,1,0]
	v_fma_mix_f32 v13, v45, v50, v8 op_sel:[1,0,0] op_sel_hi:[1,1,0]
	v_fma_mix_f32 v11, v46, v50, v11 op_sel_hi:[1,1,0]
	v_fma_mix_f32 v12, v46, v50, v12 op_sel:[1,0,0] op_sel_hi:[1,1,0]
	v_fma_mix_f32 v8, v47, v50, v7 op_sel:[0,1,0] op_sel_hi:[1,1,0]
	v_fma_mix_f32 v24, v47, v50, v13 op_sel:[1,1,0] op_sel_hi:[1,1,0]
	v_fma_mix_f32 v23, v48, v50, v11 op_sel:[0,1,0] op_sel_hi:[1,1,0]
	v_fma_mix_f32 v22, v48, v50, v12 op_sel:[1,1,0] op_sel_hi:[1,1,0]
	s_andn2_b32 exec_lo, exec_lo, s3
	s_cbranch_execnz .LBB97_33
; %bb.34:
	s_or_b32 exec_lo, exec_lo, s3
.LBB97_35:
	s_or_b32 exec_lo, exec_lo, s0
.LBB97_36:
	s_or_b32 exec_lo, exec_lo, s1
.LBB97_37:
	v_mbcnt_lo_u32_b32 v0, -1, 0
	s_mov_b32 s3, -1
	v_xor_b32_e32 v1, 8, v0
	v_xor_b32_e32 v6, 4, v0
	;; [unrolled: 1-line block ×3, first 2 shown]
	v_cmp_gt_i32_e32 vcc_lo, 32, v1
	v_cndmask_b32_e32 v1, v0, v1, vcc_lo
	v_cmp_gt_i32_e32 vcc_lo, 32, v6
	v_lshlrev_b32_e32 v1, 2, v1
	v_cndmask_b32_e32 v6, v0, v6, vcc_lo
	v_cmp_gt_i32_e32 vcc_lo, 32, v10
	ds_bpermute_b32 v2, v1, v8
	ds_bpermute_b32 v3, v1, v24
	;; [unrolled: 1-line block ×4, first 2 shown]
	v_lshlrev_b32_e32 v6, 2, v6
	v_cndmask_b32_e32 v10, v0, v10, vcc_lo
	v_lshlrev_b32_e32 v10, 2, v10
	s_waitcnt lgkmcnt(3)
	v_add_f32_e32 v2, v8, v2
	s_waitcnt lgkmcnt(2)
	v_add_f32_e32 v3, v24, v3
	;; [unrolled: 2-line block ×4, first 2 shown]
	ds_bpermute_b32 v7, v6, v2
	ds_bpermute_b32 v8, v6, v3
	;; [unrolled: 1-line block ×4, first 2 shown]
	s_waitcnt lgkmcnt(3)
	v_add_f32_e32 v2, v2, v7
	s_waitcnt lgkmcnt(2)
	v_add_f32_e32 v3, v3, v8
	;; [unrolled: 2-line block ×4, first 2 shown]
	ds_bpermute_b32 v1, v10, v2
	ds_bpermute_b32 v7, v10, v3
	;; [unrolled: 1-line block ×4, first 2 shown]
	v_xor_b32_e32 v10, 1, v0
	v_cmp_gt_i32_e32 vcc_lo, 32, v10
	v_cndmask_b32_e32 v0, v0, v10, vcc_lo
	v_cmp_eq_u32_e32 vcc_lo, 15, v21
	v_lshlrev_b32_e32 v10, 2, v0
	s_waitcnt lgkmcnt(3)
	v_add_f32_e32 v0, v2, v1
	s_waitcnt lgkmcnt(2)
	v_add_f32_e32 v1, v3, v7
	s_waitcnt lgkmcnt(1)
	v_add_f32_e32 v2, v5, v8
	s_waitcnt lgkmcnt(0)
	v_add_f32_e32 v3, v6, v9
	ds_bpermute_b32 v5, v10, v0
	ds_bpermute_b32 v6, v10, v1
	;; [unrolled: 1-line block ×4, first 2 shown]
	s_and_b32 exec_lo, exec_lo, vcc_lo
	s_cbranch_execz .LBB97_10
; %bb.38:
	s_load_dwordx2 s[0:1], s[4:5], 0x50
	s_waitcnt lgkmcnt(0)
	v_add_f32_e32 v0, v0, v5
	v_add_f32_e32 v1, v1, v6
	;; [unrolled: 1-line block ×4, first 2 shown]
	v_cmp_eq_f32_e64 s4, s2, 0
	v_mul_f32_e32 v0, s16, v0
	v_mul_f32_e32 v1, s16, v1
	;; [unrolled: 1-line block ×4, first 2 shown]
	v_lshlrev_b32_e32 v4, 2, v4
	s_and_b32 vcc_lo, exec_lo, s4
	s_cbranch_vccz .LBB97_40
; %bb.39:
	v_ashrrev_i32_e32 v5, 31, v4
	s_mov_b32 s3, 0
	v_lshlrev_b64 v[5:6], 2, v[4:5]
	v_add_co_u32 v5, vcc_lo, s0, v5
	v_add_co_ci_u32_e64 v6, null, s1, v6, vcc_lo
	global_store_dwordx4 v[5:6], v[0:3], off
.LBB97_40:
	s_andn2_b32 vcc_lo, exec_lo, s3
	s_cbranch_vccnz .LBB97_10
; %bb.41:
	v_ashrrev_i32_e32 v5, 31, v4
	v_lshlrev_b64 v[4:5], 2, v[4:5]
	v_add_co_u32 v8, vcc_lo, s0, v4
	v_add_co_ci_u32_e64 v9, null, s1, v5, vcc_lo
	global_load_dwordx4 v[4:7], v[8:9], off
	s_waitcnt vmcnt(0)
	v_fmac_f32_e32 v0, s2, v4
	v_fmac_f32_e32 v1, s2, v5
	;; [unrolled: 1-line block ×4, first 2 shown]
	global_store_dwordx4 v[8:9], v[0:3], off
	s_endpgm
	.section	.rodata,"a",@progbits
	.p2align	6, 0x0
	.amdhsa_kernel _ZN9rocsparseL18bsrxmvn_4x4_kernelILj128ELj16EfliDF16_DF16_fEEvT3_20rocsparse_direction_NS_24const_host_device_scalarIT1_EES1_PKS1_PKT2_SA_S7_PKT4_PKT5_S5_PT6_21rocsparse_index_base_b
		.amdhsa_group_segment_fixed_size 0
		.amdhsa_private_segment_fixed_size 0
		.amdhsa_kernarg_size 96
		.amdhsa_user_sgpr_count 6
		.amdhsa_user_sgpr_private_segment_buffer 1
		.amdhsa_user_sgpr_dispatch_ptr 0
		.amdhsa_user_sgpr_queue_ptr 0
		.amdhsa_user_sgpr_kernarg_segment_ptr 1
		.amdhsa_user_sgpr_dispatch_id 0
		.amdhsa_user_sgpr_flat_scratch_init 0
		.amdhsa_user_sgpr_private_segment_size 0
		.amdhsa_wavefront_size32 1
		.amdhsa_uses_dynamic_stack 0
		.amdhsa_system_sgpr_private_segment_wavefront_offset 0
		.amdhsa_system_sgpr_workgroup_id_x 1
		.amdhsa_system_sgpr_workgroup_id_y 0
		.amdhsa_system_sgpr_workgroup_id_z 0
		.amdhsa_system_sgpr_workgroup_info 0
		.amdhsa_system_vgpr_workitem_id 0
		.amdhsa_next_free_vgpr 61
		.amdhsa_next_free_sgpr 20
		.amdhsa_reserve_vcc 1
		.amdhsa_reserve_flat_scratch 0
		.amdhsa_float_round_mode_32 0
		.amdhsa_float_round_mode_16_64 0
		.amdhsa_float_denorm_mode_32 3
		.amdhsa_float_denorm_mode_16_64 3
		.amdhsa_dx10_clamp 1
		.amdhsa_ieee_mode 1
		.amdhsa_fp16_overflow 0
		.amdhsa_workgroup_processor_mode 1
		.amdhsa_memory_ordered 1
		.amdhsa_forward_progress 1
		.amdhsa_shared_vgpr_count 0
		.amdhsa_exception_fp_ieee_invalid_op 0
		.amdhsa_exception_fp_denorm_src 0
		.amdhsa_exception_fp_ieee_div_zero 0
		.amdhsa_exception_fp_ieee_overflow 0
		.amdhsa_exception_fp_ieee_underflow 0
		.amdhsa_exception_fp_ieee_inexact 0
		.amdhsa_exception_int_div_zero 0
	.end_amdhsa_kernel
	.section	.text._ZN9rocsparseL18bsrxmvn_4x4_kernelILj128ELj16EfliDF16_DF16_fEEvT3_20rocsparse_direction_NS_24const_host_device_scalarIT1_EES1_PKS1_PKT2_SA_S7_PKT4_PKT5_S5_PT6_21rocsparse_index_base_b,"axG",@progbits,_ZN9rocsparseL18bsrxmvn_4x4_kernelILj128ELj16EfliDF16_DF16_fEEvT3_20rocsparse_direction_NS_24const_host_device_scalarIT1_EES1_PKS1_PKT2_SA_S7_PKT4_PKT5_S5_PT6_21rocsparse_index_base_b,comdat
.Lfunc_end97:
	.size	_ZN9rocsparseL18bsrxmvn_4x4_kernelILj128ELj16EfliDF16_DF16_fEEvT3_20rocsparse_direction_NS_24const_host_device_scalarIT1_EES1_PKS1_PKT2_SA_S7_PKT4_PKT5_S5_PT6_21rocsparse_index_base_b, .Lfunc_end97-_ZN9rocsparseL18bsrxmvn_4x4_kernelILj128ELj16EfliDF16_DF16_fEEvT3_20rocsparse_direction_NS_24const_host_device_scalarIT1_EES1_PKS1_PKT2_SA_S7_PKT4_PKT5_S5_PT6_21rocsparse_index_base_b
                                        ; -- End function
	.set _ZN9rocsparseL18bsrxmvn_4x4_kernelILj128ELj16EfliDF16_DF16_fEEvT3_20rocsparse_direction_NS_24const_host_device_scalarIT1_EES1_PKS1_PKT2_SA_S7_PKT4_PKT5_S5_PT6_21rocsparse_index_base_b.num_vgpr, 61
	.set _ZN9rocsparseL18bsrxmvn_4x4_kernelILj128ELj16EfliDF16_DF16_fEEvT3_20rocsparse_direction_NS_24const_host_device_scalarIT1_EES1_PKS1_PKT2_SA_S7_PKT4_PKT5_S5_PT6_21rocsparse_index_base_b.num_agpr, 0
	.set _ZN9rocsparseL18bsrxmvn_4x4_kernelILj128ELj16EfliDF16_DF16_fEEvT3_20rocsparse_direction_NS_24const_host_device_scalarIT1_EES1_PKS1_PKT2_SA_S7_PKT4_PKT5_S5_PT6_21rocsparse_index_base_b.numbered_sgpr, 20
	.set _ZN9rocsparseL18bsrxmvn_4x4_kernelILj128ELj16EfliDF16_DF16_fEEvT3_20rocsparse_direction_NS_24const_host_device_scalarIT1_EES1_PKS1_PKT2_SA_S7_PKT4_PKT5_S5_PT6_21rocsparse_index_base_b.num_named_barrier, 0
	.set _ZN9rocsparseL18bsrxmvn_4x4_kernelILj128ELj16EfliDF16_DF16_fEEvT3_20rocsparse_direction_NS_24const_host_device_scalarIT1_EES1_PKS1_PKT2_SA_S7_PKT4_PKT5_S5_PT6_21rocsparse_index_base_b.private_seg_size, 0
	.set _ZN9rocsparseL18bsrxmvn_4x4_kernelILj128ELj16EfliDF16_DF16_fEEvT3_20rocsparse_direction_NS_24const_host_device_scalarIT1_EES1_PKS1_PKT2_SA_S7_PKT4_PKT5_S5_PT6_21rocsparse_index_base_b.uses_vcc, 1
	.set _ZN9rocsparseL18bsrxmvn_4x4_kernelILj128ELj16EfliDF16_DF16_fEEvT3_20rocsparse_direction_NS_24const_host_device_scalarIT1_EES1_PKS1_PKT2_SA_S7_PKT4_PKT5_S5_PT6_21rocsparse_index_base_b.uses_flat_scratch, 0
	.set _ZN9rocsparseL18bsrxmvn_4x4_kernelILj128ELj16EfliDF16_DF16_fEEvT3_20rocsparse_direction_NS_24const_host_device_scalarIT1_EES1_PKS1_PKT2_SA_S7_PKT4_PKT5_S5_PT6_21rocsparse_index_base_b.has_dyn_sized_stack, 0
	.set _ZN9rocsparseL18bsrxmvn_4x4_kernelILj128ELj16EfliDF16_DF16_fEEvT3_20rocsparse_direction_NS_24const_host_device_scalarIT1_EES1_PKS1_PKT2_SA_S7_PKT4_PKT5_S5_PT6_21rocsparse_index_base_b.has_recursion, 0
	.set _ZN9rocsparseL18bsrxmvn_4x4_kernelILj128ELj16EfliDF16_DF16_fEEvT3_20rocsparse_direction_NS_24const_host_device_scalarIT1_EES1_PKS1_PKT2_SA_S7_PKT4_PKT5_S5_PT6_21rocsparse_index_base_b.has_indirect_call, 0
	.section	.AMDGPU.csdata,"",@progbits
; Kernel info:
; codeLenInByte = 4048
; TotalNumSgprs: 22
; NumVgprs: 61
; ScratchSize: 0
; MemoryBound: 0
; FloatMode: 240
; IeeeMode: 1
; LDSByteSize: 0 bytes/workgroup (compile time only)
; SGPRBlocks: 0
; VGPRBlocks: 7
; NumSGPRsForWavesPerEU: 22
; NumVGPRsForWavesPerEU: 61
; Occupancy: 16
; WaveLimiterHint : 1
; COMPUTE_PGM_RSRC2:SCRATCH_EN: 0
; COMPUTE_PGM_RSRC2:USER_SGPR: 6
; COMPUTE_PGM_RSRC2:TRAP_HANDLER: 0
; COMPUTE_PGM_RSRC2:TGID_X_EN: 1
; COMPUTE_PGM_RSRC2:TGID_Y_EN: 0
; COMPUTE_PGM_RSRC2:TGID_Z_EN: 0
; COMPUTE_PGM_RSRC2:TIDIG_COMP_CNT: 0
	.section	.text._ZN9rocsparseL18bsrxmvn_4x4_kernelILj128ELj32EfliDF16_DF16_fEEvT3_20rocsparse_direction_NS_24const_host_device_scalarIT1_EES1_PKS1_PKT2_SA_S7_PKT4_PKT5_S5_PT6_21rocsparse_index_base_b,"axG",@progbits,_ZN9rocsparseL18bsrxmvn_4x4_kernelILj128ELj32EfliDF16_DF16_fEEvT3_20rocsparse_direction_NS_24const_host_device_scalarIT1_EES1_PKS1_PKT2_SA_S7_PKT4_PKT5_S5_PT6_21rocsparse_index_base_b,comdat
	.globl	_ZN9rocsparseL18bsrxmvn_4x4_kernelILj128ELj32EfliDF16_DF16_fEEvT3_20rocsparse_direction_NS_24const_host_device_scalarIT1_EES1_PKS1_PKT2_SA_S7_PKT4_PKT5_S5_PT6_21rocsparse_index_base_b ; -- Begin function _ZN9rocsparseL18bsrxmvn_4x4_kernelILj128ELj32EfliDF16_DF16_fEEvT3_20rocsparse_direction_NS_24const_host_device_scalarIT1_EES1_PKS1_PKT2_SA_S7_PKT4_PKT5_S5_PT6_21rocsparse_index_base_b
	.p2align	8
	.type	_ZN9rocsparseL18bsrxmvn_4x4_kernelILj128ELj32EfliDF16_DF16_fEEvT3_20rocsparse_direction_NS_24const_host_device_scalarIT1_EES1_PKS1_PKT2_SA_S7_PKT4_PKT5_S5_PT6_21rocsparse_index_base_b,@function
_ZN9rocsparseL18bsrxmvn_4x4_kernelILj128ELj32EfliDF16_DF16_fEEvT3_20rocsparse_direction_NS_24const_host_device_scalarIT1_EES1_PKS1_PKT2_SA_S7_PKT4_PKT5_S5_PT6_21rocsparse_index_base_b: ; @_ZN9rocsparseL18bsrxmvn_4x4_kernelILj128ELj32EfliDF16_DF16_fEEvT3_20rocsparse_direction_NS_24const_host_device_scalarIT1_EES1_PKS1_PKT2_SA_S7_PKT4_PKT5_S5_PT6_21rocsparse_index_base_b
; %bb.0:
	s_clause 0x2
	s_load_dwordx2 s[18:19], s[4:5], 0x58
	s_load_dwordx2 s[16:17], s[4:5], 0x8
	;; [unrolled: 1-line block ×3, first 2 shown]
	s_waitcnt lgkmcnt(0)
	s_bitcmp1_b32 s19, 0
	s_cselect_b32 s0, -1, 0
	s_and_b32 vcc_lo, exec_lo, s0
	s_xor_b32 s0, s0, -1
	s_cbranch_vccnz .LBB98_2
; %bb.1:
	s_load_dword s16, s[16:17], 0x0
.LBB98_2:
	s_andn2_b32 vcc_lo, exec_lo, s0
	s_cbranch_vccnz .LBB98_4
; %bb.3:
	s_load_dword s2, s[2:3], 0x0
.LBB98_4:
	s_waitcnt lgkmcnt(0)
	v_cmp_neq_f32_e64 s0, s16, 0
	v_cmp_neq_f32_e64 s1, s2, 1.0
	s_mov_b32 s3, 0
	s_or_b32 s0, s0, s1
	s_andn2_b32 vcc_lo, exec_lo, s0
	s_cbranch_vccnz .LBB98_10
; %bb.5:
	s_clause 0x1
	s_load_dwordx2 s[8:9], s[4:5], 0x18
	s_load_dwordx2 s[0:1], s[4:5], 0x0
	v_lshrrev_b32_e32 v1, 5, v0
	v_lshl_or_b32 v4, s6, 2, v1
	s_waitcnt lgkmcnt(0)
	s_cmp_lg_u64 s[8:9], 0
	s_cbranch_scc0 .LBB98_11
; %bb.6:
	s_load_dword s3, s[4:5], 0x10
	s_mov_b32 s6, 0
                                        ; implicit-def: $vgpr1
	s_waitcnt lgkmcnt(0)
	v_cmp_gt_i32_e32 vcc_lo, s3, v4
	s_mov_b32 s3, 0
	s_and_saveexec_b32 s7, vcc_lo
	s_xor_b32 s7, exec_lo, s7
	s_cbranch_execz .LBB98_8
; %bb.7:
	v_ashrrev_i32_e32 v5, 31, v4
	s_mov_b32 s3, exec_lo
	v_lshlrev_b64 v[1:2], 2, v[4:5]
	v_add_co_u32 v1, vcc_lo, s8, v1
	v_add_co_ci_u32_e64 v2, null, s9, v2, vcc_lo
	global_load_dword v1, v[1:2], off
	s_waitcnt vmcnt(0)
	v_subrev_nc_u32_e32 v1, s18, v1
.LBB98_8:
	s_or_b32 exec_lo, exec_lo, s7
	s_and_b32 vcc_lo, exec_lo, s6
	s_cbranch_vccz .LBB98_12
.LBB98_9:
	v_cmp_gt_i32_e32 vcc_lo, s0, v4
	s_andn2_b32 s0, s3, exec_lo
	s_and_b32 s3, vcc_lo, exec_lo
	s_or_b32 s3, s0, s3
	s_and_saveexec_b32 s0, s3
	s_cbranch_execnz .LBB98_13
.LBB98_10:
	s_endpgm
.LBB98_11:
                                        ; implicit-def: $vgpr1
	s_cbranch_execnz .LBB98_9
.LBB98_12:
	v_mov_b32_e32 v4, v1
	s_and_saveexec_b32 s0, s3
	s_cbranch_execz .LBB98_10
.LBB98_13:
	s_load_dwordx8 s[8:15], s[4:5], 0x20
	v_ashrrev_i32_e32 v5, 31, v4
	v_and_b32_e32 v21, 31, v0
	s_load_dwordx2 s[6:7], s[4:5], 0x40
	v_mov_b32_e32 v22, 0
	v_lshlrev_b64 v[1:2], 3, v[4:5]
	s_waitcnt lgkmcnt(0)
	v_add_co_u32 v5, vcc_lo, s8, v1
	v_add_co_ci_u32_e64 v6, null, s9, v2, vcc_lo
	v_add_co_u32 v1, vcc_lo, s10, v1
	v_add_co_ci_u32_e64 v2, null, s11, v2, vcc_lo
	v_add_co_u32 v3, vcc_lo, v5, 8
	global_load_dwordx2 v[9:10], v[5:6], off
	v_add_co_ci_u32_e64 v7, null, 0, v6, vcc_lo
	s_cmp_eq_u64 s[10:11], 0
	s_cselect_b32 vcc_lo, -1, 0
	s_cmp_eq_u32 s1, 1
	v_cndmask_b32_e32 v2, v2, v7, vcc_lo
	v_cndmask_b32_e32 v1, v1, v3, vcc_lo
	global_load_dwordx2 v[2:3], v[1:2], off
	s_waitcnt vmcnt(1)
	v_sub_co_u32 v0, vcc_lo, v9, s18
	v_subrev_co_ci_u32_e64 v1, null, 0, v10, vcc_lo
	v_add_co_u32 v0, vcc_lo, v0, v21
	v_add_co_ci_u32_e64 v1, null, 0, v1, vcc_lo
	v_lshlrev_b64 v[5:6], 5, v[0:1]
	s_waitcnt vmcnt(0)
	v_sub_co_u32 v2, vcc_lo, v2, s18
	v_subrev_co_ci_u32_e64 v3, null, 0, v3, vcc_lo
	v_add_co_u32 v5, vcc_lo, s14, v5
	v_cmp_lt_i64_e64 s0, v[0:1], v[2:3]
	v_add_co_ci_u32_e64 v6, null, s15, v6, vcc_lo
	s_cbranch_scc1 .LBB98_25
; %bb.14:
	v_mov_b32_e32 v23, 0
	v_mov_b32_e32 v24, 0
	;; [unrolled: 1-line block ×3, first 2 shown]
	s_and_saveexec_b32 s1, s0
	s_cbranch_execz .LBB98_24
; %bb.15:
	v_or_b32_e32 v7, 32, v21
	v_not_b32_e32 v12, v9
	v_not_b32_e32 v11, v10
	v_sub_co_u32 v7, s3, v7, s18
	v_sub_co_ci_u32_e64 v8, null, 0, 0, s3
	v_sub_co_u32 v13, s3, s18, v21
	v_add_co_u32 v7, vcc_lo, v7, v9
	v_add_co_ci_u32_e64 v8, null, v8, v10, vcc_lo
	v_sub_co_ci_u32_e64 v14, null, 0, 0, s3
	s_mov_b32 s3, exec_lo
	v_cmp_gt_i64_e32 vcc_lo, v[7:8], v[2:3]
	v_cndmask_b32_e32 v16, v3, v8, vcc_lo
	v_cndmask_b32_e32 v7, v2, v7, vcc_lo
	v_add_co_u32 v8, vcc_lo, v13, v12
	v_add_co_ci_u32_e64 v11, null, v14, v11, vcc_lo
	v_mov_b32_e32 v14, v6
	v_add_co_u32 v15, vcc_lo, v8, v7
	v_mov_b32_e32 v8, 0
	v_add_co_ci_u32_e64 v16, null, v11, v16, vcc_lo
	v_mov_b32_e32 v12, v1
	v_and_b32_e32 v7, 0x60, v15
	v_mov_b32_e32 v24, v8
	v_mov_b32_e32 v23, v8
	;; [unrolled: 1-line block ×5, first 2 shown]
	v_cmpx_ne_u64_e32 0x60, v[7:8]
	s_cbranch_execz .LBB98_19
; %bb.16:
	v_lshrrev_b32_e32 v7, 5, v15
	v_mov_b32_e32 v14, v6
	v_mov_b32_e32 v12, v1
	;; [unrolled: 1-line block ×4, first 2 shown]
	v_add_nc_u32_e32 v17, 1, v7
	v_lshlrev_b64 v[7:8], 2, v[0:1]
	v_mov_b32_e32 v11, v0
	v_mov_b32_e32 v23, 0
	;; [unrolled: 1-line block ×3, first 2 shown]
	v_and_b32_e32 v19, 3, v17
	v_add_co_u32 v17, vcc_lo, s12, v7
	v_add_co_ci_u32_e64 v18, null, s13, v8, vcc_lo
	v_sub_co_u32 v19, s8, 0, v19
	v_sub_co_ci_u32_e64 v20, null, 0, 0, s8
	v_mov_b32_e32 v8, 0
	s_mov_b32 s8, 0
.LBB98_17:                              ; =>This Inner Loop Header: Depth=1
	global_load_dword v7, v[17:18], off
	s_clause 0x1
	global_load_dwordx4 v[25:28], v[13:14], off
	global_load_dwordx4 v[29:32], v[13:14], off offset:16
	s_waitcnt vmcnt(2)
	v_subrev_nc_u32_e32 v7, s18, v7
	v_lshlrev_b32_e32 v33, 2, v7
	v_ashrrev_i32_e32 v34, 31, v33
	v_lshlrev_b64 v[33:34], 1, v[33:34]
	v_add_co_u32 v33, vcc_lo, s6, v33
	v_add_co_ci_u32_e64 v34, null, s7, v34, vcc_lo
	v_add_co_u32 v13, vcc_lo, 0x400, v13
	v_add_co_ci_u32_e64 v14, null, 0, v14, vcc_lo
	global_load_dwordx2 v[33:34], v[33:34], off
	v_add_co_u32 v11, vcc_lo, v11, 32
	v_add_co_ci_u32_e64 v12, null, 0, v12, vcc_lo
	v_add_co_u32 v17, vcc_lo, 0x80, v17
	v_add_co_ci_u32_e64 v18, null, 0, v18, vcc_lo
	;; [unrolled: 2-line block ×3, first 2 shown]
	v_cmp_eq_u64_e32 vcc_lo, 0, v[19:20]
	s_or_b32 s8, vcc_lo, s8
	s_waitcnt vmcnt(0)
	v_fma_mix_f32 v7, v25, v33, v8 op_sel_hi:[1,1,0]
	v_fma_mix_f32 v8, v27, v33, v24 op_sel_hi:[1,1,0]
	;; [unrolled: 1-line block ×4, first 2 shown]
	v_fma_mix_f32 v7, v25, v33, v7 op_sel:[1,1,0] op_sel_hi:[1,1,0]
	v_fma_mix_f32 v8, v27, v33, v8 op_sel:[1,1,0] op_sel_hi:[1,1,0]
	;; [unrolled: 1-line block ×4, first 2 shown]
	v_fma_mix_f32 v7, v26, v34, v7 op_sel_hi:[1,1,0]
	v_fma_mix_f32 v24, v28, v34, v8 op_sel_hi:[1,1,0]
	;; [unrolled: 1-line block ×4, first 2 shown]
	v_fma_mix_f32 v8, v26, v34, v7 op_sel:[1,1,0] op_sel_hi:[1,1,0]
	v_fma_mix_f32 v24, v28, v34, v24 op_sel:[1,1,0] op_sel_hi:[1,1,0]
	;; [unrolled: 1-line block ×4, first 2 shown]
	s_andn2_b32 exec_lo, exec_lo, s8
	s_cbranch_execnz .LBB98_17
; %bb.18:
	s_or_b32 exec_lo, exec_lo, s8
.LBB98_19:
	s_or_b32 exec_lo, exec_lo, s3
	s_mov_b32 s3, exec_lo
	v_cmpx_lt_u64_e32 0x5f, v[15:16]
	s_cbranch_execz .LBB98_23
; %bb.20:
	v_lshlrev_b64 v[15:16], 2, v[11:12]
	s_mov_b32 s8, 0
	v_add_co_u32 v7, vcc_lo, s12, v15
	v_add_co_ci_u32_e64 v16, null, s13, v16, vcc_lo
	v_add_co_u32 v15, vcc_lo, 0x100, v7
	v_add_co_ci_u32_e64 v16, null, 0, v16, vcc_lo
.LBB98_21:                              ; =>This Inner Loop Header: Depth=1
	s_clause 0x3
	global_load_dword v7, v[15:16], off offset:-256
	global_load_dword v53, v[15:16], off offset:-128
	global_load_dword v54, v[15:16], off
	global_load_dword v55, v[15:16], off offset:128
	v_add_co_u32 v49, vcc_lo, 0x800, v13
	v_add_co_ci_u32_e64 v50, null, 0, v14, vcc_lo
	s_clause 0x7
	global_load_dwordx4 v[17:20], v[13:14], off
	global_load_dwordx4 v[25:28], v[13:14], off offset:16
	global_load_dwordx4 v[29:32], v[13:14], off offset:1024
	;; [unrolled: 1-line block ×3, first 2 shown]
	global_load_dwordx4 v[37:40], v[49:50], off
	global_load_dwordx4 v[41:44], v[49:50], off offset:16
	global_load_dwordx4 v[45:48], v[49:50], off offset:1024
	global_load_dwordx4 v[49:52], v[49:50], off offset:1040
	s_waitcnt vmcnt(11)
	v_subrev_nc_u32_e32 v7, s18, v7
	s_waitcnt vmcnt(10)
	v_subrev_nc_u32_e32 v56, s18, v53
	;; [unrolled: 2-line block ×4, first 2 shown]
	v_lshlrev_b32_e32 v53, 2, v7
	v_lshlrev_b32_e32 v55, 2, v56
	;; [unrolled: 1-line block ×4, first 2 shown]
	v_ashrrev_i32_e32 v54, 31, v53
	v_ashrrev_i32_e32 v56, 31, v55
	;; [unrolled: 1-line block ×4, first 2 shown]
	v_lshlrev_b64 v[53:54], 1, v[53:54]
	v_lshlrev_b64 v[55:56], 1, v[55:56]
	;; [unrolled: 1-line block ×4, first 2 shown]
	v_add_co_u32 v53, vcc_lo, s6, v53
	v_add_co_ci_u32_e64 v54, null, s7, v54, vcc_lo
	v_add_co_u32 v55, vcc_lo, s6, v55
	v_add_co_ci_u32_e64 v56, null, s7, v56, vcc_lo
	global_load_dwordx2 v[53:54], v[53:54], off
	v_add_co_u32 v57, vcc_lo, s6, v57
	global_load_dwordx2 v[55:56], v[55:56], off
	v_add_co_ci_u32_e64 v58, null, s7, v58, vcc_lo
	v_add_co_u32 v59, vcc_lo, s6, v59
	v_add_co_ci_u32_e64 v60, null, s7, v60, vcc_lo
	global_load_dwordx2 v[57:58], v[57:58], off
	v_add_co_u32 v11, vcc_lo, 0x80, v11
	global_load_dwordx2 v[59:60], v[59:60], off
	v_add_co_ci_u32_e64 v12, null, 0, v12, vcc_lo
	v_add_co_u32 v15, vcc_lo, 0x200, v15
	v_add_co_ci_u32_e64 v16, null, 0, v16, vcc_lo
	v_add_co_u32 v13, vcc_lo, 0x1000, v13
	v_add_co_ci_u32_e64 v14, null, 0, v14, vcc_lo
	v_cmp_ge_i64_e32 vcc_lo, v[11:12], v[2:3]
	s_or_b32 s8, vcc_lo, s8
	s_waitcnt vmcnt(3)
	v_fma_mix_f32 v7, v17, v53, v8 op_sel_hi:[1,1,0]
	v_fma_mix_f32 v8, v19, v53, v24 op_sel_hi:[1,1,0]
	v_fma_mix_f32 v23, v25, v53, v23 op_sel_hi:[1,1,0]
	v_fma_mix_f32 v22, v27, v53, v22 op_sel_hi:[1,1,0]
	v_fma_mix_f32 v7, v17, v53, v7 op_sel:[1,1,0] op_sel_hi:[1,1,0]
	v_fma_mix_f32 v8, v19, v53, v8 op_sel:[1,1,0] op_sel_hi:[1,1,0]
	v_fma_mix_f32 v17, v25, v53, v23 op_sel:[1,1,0] op_sel_hi:[1,1,0]
	v_fma_mix_f32 v19, v27, v53, v22 op_sel:[1,1,0] op_sel_hi:[1,1,0]
	v_fma_mix_f32 v7, v18, v54, v7 op_sel_hi:[1,1,0]
	v_fma_mix_f32 v8, v20, v54, v8 op_sel_hi:[1,1,0]
	v_fma_mix_f32 v17, v26, v54, v17 op_sel_hi:[1,1,0]
	v_fma_mix_f32 v19, v28, v54, v19 op_sel_hi:[1,1,0]
	v_fma_mix_f32 v7, v18, v54, v7 op_sel:[1,1,0] op_sel_hi:[1,1,0]
	v_fma_mix_f32 v8, v20, v54, v8 op_sel:[1,1,0] op_sel_hi:[1,1,0]
	v_fma_mix_f32 v17, v26, v54, v17 op_sel:[1,1,0] op_sel_hi:[1,1,0]
	v_fma_mix_f32 v18, v28, v54, v19 op_sel:[1,1,0] op_sel_hi:[1,1,0]
	s_waitcnt vmcnt(2)
	v_fma_mix_f32 v7, v29, v55, v7 op_sel_hi:[1,1,0]
	v_fma_mix_f32 v8, v31, v55, v8 op_sel_hi:[1,1,0]
	v_fma_mix_f32 v17, v33, v55, v17 op_sel_hi:[1,1,0]
	v_fma_mix_f32 v18, v35, v55, v18 op_sel_hi:[1,1,0]
	v_fma_mix_f32 v7, v29, v55, v7 op_sel:[1,1,0] op_sel_hi:[1,1,0]
	v_fma_mix_f32 v8, v31, v55, v8 op_sel:[1,1,0] op_sel_hi:[1,1,0]
	v_fma_mix_f32 v17, v33, v55, v17 op_sel:[1,1,0] op_sel_hi:[1,1,0]
	v_fma_mix_f32 v18, v35, v55, v18 op_sel:[1,1,0] op_sel_hi:[1,1,0]
	v_fma_mix_f32 v7, v30, v56, v7 op_sel_hi:[1,1,0]
	v_fma_mix_f32 v8, v32, v56, v8 op_sel_hi:[1,1,0]
	v_fma_mix_f32 v17, v34, v56, v17 op_sel_hi:[1,1,0]
	v_fma_mix_f32 v18, v36, v56, v18 op_sel_hi:[1,1,0]
	v_fma_mix_f32 v7, v30, v56, v7 op_sel:[1,1,0] op_sel_hi:[1,1,0]
	v_fma_mix_f32 v8, v32, v56, v8 op_sel:[1,1,0] op_sel_hi:[1,1,0]
	v_fma_mix_f32 v17, v34, v56, v17 op_sel:[1,1,0] op_sel_hi:[1,1,0]
	v_fma_mix_f32 v18, v36, v56, v18 op_sel:[1,1,0] op_sel_hi:[1,1,0]
	;; [unrolled: 17-line block ×4, first 2 shown]
	s_andn2_b32 exec_lo, exec_lo, s8
	s_cbranch_execnz .LBB98_21
; %bb.22:
	s_or_b32 exec_lo, exec_lo, s8
.LBB98_23:
	s_or_b32 exec_lo, exec_lo, s3
.LBB98_24:
	s_or_b32 exec_lo, exec_lo, s1
	s_cbranch_execz .LBB98_26
	s_branch .LBB98_37
.LBB98_25:
                                        ; implicit-def: $vgpr22
                                        ; implicit-def: $vgpr23
                                        ; implicit-def: $vgpr24
                                        ; implicit-def: $vgpr8
.LBB98_26:
	v_mov_b32_e32 v22, 0
	v_mov_b32_e32 v23, 0
	;; [unrolled: 1-line block ×4, first 2 shown]
	s_and_saveexec_b32 s1, s0
	s_cbranch_execz .LBB98_36
; %bb.27:
	v_or_b32_e32 v7, 32, v21
	v_sub_co_u32 v7, s0, v7, s18
	v_sub_co_ci_u32_e64 v8, null, 0, 0, s0
	v_sub_co_u32 v11, s0, s18, v21
	v_add_co_u32 v7, vcc_lo, v7, v9
	v_add_co_ci_u32_e64 v8, null, v8, v10, vcc_lo
	v_not_b32_e32 v9, v9
	v_not_b32_e32 v10, v10
	v_sub_co_ci_u32_e64 v12, null, 0, 0, s0
	v_cmp_gt_i64_e32 vcc_lo, v[7:8], v[2:3]
	s_mov_b32 s0, exec_lo
	v_cndmask_b32_e32 v13, v3, v8, vcc_lo
	v_cndmask_b32_e32 v7, v2, v7, vcc_lo
	v_add_co_u32 v8, vcc_lo, v11, v9
	v_add_co_ci_u32_e64 v10, null, v12, v10, vcc_lo
	v_add_co_u32 v9, vcc_lo, v8, v7
	v_mov_b32_e32 v8, 0
	v_add_co_ci_u32_e64 v10, null, v10, v13, vcc_lo
	v_and_b32_e32 v7, 0x60, v9
	v_mov_b32_e32 v24, v8
	v_mov_b32_e32 v23, v8
	;; [unrolled: 1-line block ×3, first 2 shown]
	v_cmpx_ne_u64_e32 0x60, v[7:8]
	s_cbranch_execz .LBB98_31
; %bb.28:
	v_lshrrev_b32_e32 v7, 5, v9
	v_mov_b32_e32 v22, 0
	v_mov_b32_e32 v23, 0
	;; [unrolled: 1-line block ×3, first 2 shown]
	v_add_nc_u32_e32 v11, 1, v7
	v_lshlrev_b64 v[7:8], 2, v[0:1]
	v_and_b32_e32 v13, 3, v11
	v_add_co_u32 v11, vcc_lo, s12, v7
	v_add_co_ci_u32_e64 v12, null, s13, v8, vcc_lo
	v_sub_co_u32 v13, s3, 0, v13
	v_sub_co_ci_u32_e64 v14, null, 0, 0, s3
	v_mov_b32_e32 v8, 0
	s_mov_b32 s3, 0
.LBB98_29:                              ; =>This Inner Loop Header: Depth=1
	global_load_dword v7, v[11:12], off
	global_load_dwordx4 v[15:18], v[5:6], off
	s_waitcnt vmcnt(1)
	v_subrev_nc_u32_e32 v7, s18, v7
	v_lshlrev_b32_e32 v19, 2, v7
	v_ashrrev_i32_e32 v20, 31, v19
	v_lshlrev_b64 v[19:20], 1, v[19:20]
	v_add_co_u32 v19, vcc_lo, s6, v19
	v_add_co_ci_u32_e64 v20, null, s7, v20, vcc_lo
	global_load_dwordx2 v[19:20], v[19:20], off
	global_load_dwordx4 v[25:28], v[5:6], off offset:16
	v_add_co_u32 v5, vcc_lo, 0x400, v5
	v_add_co_ci_u32_e64 v6, null, 0, v6, vcc_lo
	v_add_co_u32 v0, vcc_lo, v0, 32
	v_add_co_ci_u32_e64 v1, null, 0, v1, vcc_lo
	v_add_co_u32 v11, vcc_lo, 0x80, v11
	v_add_co_ci_u32_e64 v12, null, 0, v12, vcc_lo
	v_add_co_u32 v13, vcc_lo, v13, 1
	v_add_co_ci_u32_e64 v14, null, 0, v14, vcc_lo
	v_cmp_eq_u64_e32 vcc_lo, 0, v[13:14]
	s_or_b32 s3, vcc_lo, s3
	s_waitcnt vmcnt(1)
	v_fma_mix_f32 v7, v15, v19, v8 op_sel_hi:[1,1,0]
	v_fma_mix_f32 v8, v15, v19, v24 op_sel:[1,0,0] op_sel_hi:[1,1,0]
	v_fma_mix_f32 v15, v16, v19, v23 op_sel_hi:[1,1,0]
	v_fma_mix_f32 v16, v16, v19, v22 op_sel:[1,0,0] op_sel_hi:[1,1,0]
	v_fma_mix_f32 v7, v17, v19, v7 op_sel:[0,1,0] op_sel_hi:[1,1,0]
	;; [unrolled: 1-line block ×5, first 2 shown]
	s_waitcnt vmcnt(0)
	v_fma_mix_f32 v7, v25, v20, v7 op_sel_hi:[1,1,0]
	v_fma_mix_f32 v17, v25, v20, v8 op_sel:[1,0,0] op_sel_hi:[1,1,0]
	v_fma_mix_f32 v15, v26, v20, v15 op_sel_hi:[1,1,0]
	v_fma_mix_f32 v16, v26, v20, v16 op_sel:[1,0,0] op_sel_hi:[1,1,0]
	v_fma_mix_f32 v8, v27, v20, v7 op_sel:[0,1,0] op_sel_hi:[1,1,0]
	;; [unrolled: 1-line block ×5, first 2 shown]
	s_andn2_b32 exec_lo, exec_lo, s3
	s_cbranch_execnz .LBB98_29
; %bb.30:
	s_or_b32 exec_lo, exec_lo, s3
.LBB98_31:
	s_or_b32 exec_lo, exec_lo, s0
	s_mov_b32 s0, exec_lo
	v_cmpx_lt_u64_e32 0x5f, v[9:10]
	s_cbranch_execz .LBB98_35
; %bb.32:
	v_lshlrev_b64 v[9:10], 2, v[0:1]
	s_mov_b32 s3, 0
	v_add_co_u32 v7, vcc_lo, s12, v9
	v_add_co_ci_u32_e64 v10, null, s13, v10, vcc_lo
	v_add_co_u32 v9, vcc_lo, 0x100, v7
	v_add_co_ci_u32_e64 v10, null, 0, v10, vcc_lo
.LBB98_33:                              ; =>This Inner Loop Header: Depth=1
	s_clause 0x3
	global_load_dword v7, v[9:10], off offset:-256
	global_load_dword v45, v[9:10], off offset:-128
	global_load_dword v46, v[9:10], off
	global_load_dword v47, v[9:10], off offset:128
	v_add_co_u32 v19, vcc_lo, 0x800, v5
	v_add_co_ci_u32_e64 v20, null, 0, v6, vcc_lo
	s_clause 0x6
	global_load_dwordx4 v[11:14], v[5:6], off
	global_load_dwordx4 v[15:18], v[5:6], off offset:16
	global_load_dwordx4 v[25:28], v[5:6], off offset:1024
	;; [unrolled: 1-line block ×3, first 2 shown]
	global_load_dwordx4 v[33:36], v[19:20], off
	global_load_dwordx4 v[37:40], v[19:20], off offset:16
	global_load_dwordx4 v[41:44], v[19:20], off offset:1024
	s_waitcnt vmcnt(10)
	v_subrev_nc_u32_e32 v7, s18, v7
	s_waitcnt vmcnt(9)
	v_subrev_nc_u32_e32 v48, s18, v45
	s_waitcnt vmcnt(8)
	v_subrev_nc_u32_e32 v46, s18, v46
	s_waitcnt vmcnt(7)
	v_subrev_nc_u32_e32 v50, s18, v47
	v_lshlrev_b32_e32 v45, 2, v7
	v_lshlrev_b32_e32 v47, 2, v48
	;; [unrolled: 1-line block ×4, first 2 shown]
	v_ashrrev_i32_e32 v46, 31, v45
	v_ashrrev_i32_e32 v48, 31, v47
	;; [unrolled: 1-line block ×4, first 2 shown]
	v_lshlrev_b64 v[45:46], 1, v[45:46]
	v_add_co_u32 v45, vcc_lo, s6, v45
	v_add_co_ci_u32_e64 v46, null, s7, v46, vcc_lo
	global_load_dwordx2 v[53:54], v[45:46], off
	v_lshlrev_b64 v[45:46], 1, v[47:48]
	v_add_co_u32 v45, vcc_lo, s6, v45
	v_add_co_ci_u32_e64 v46, null, s7, v46, vcc_lo
	global_load_dwordx2 v[55:56], v[45:46], off
	;; [unrolled: 4-line block ×4, first 2 shown]
	global_load_dwordx4 v[45:48], v[19:20], off offset:1040
	v_add_co_u32 v0, vcc_lo, 0x80, v0
	v_add_co_ci_u32_e64 v1, null, 0, v1, vcc_lo
	v_add_co_u32 v9, vcc_lo, 0x200, v9
	v_add_co_ci_u32_e64 v10, null, 0, v10, vcc_lo
	;; [unrolled: 2-line block ×3, first 2 shown]
	v_cmp_ge_i64_e32 vcc_lo, v[0:1], v[2:3]
	s_or_b32 s3, vcc_lo, s3
	s_waitcnt vmcnt(4)
	v_fma_mix_f32 v7, v11, v53, v8 op_sel_hi:[1,1,0]
	v_fma_mix_f32 v8, v11, v53, v24 op_sel:[1,0,0] op_sel_hi:[1,1,0]
	v_fma_mix_f32 v11, v12, v53, v23 op_sel_hi:[1,1,0]
	v_fma_mix_f32 v12, v12, v53, v22 op_sel:[1,0,0] op_sel_hi:[1,1,0]
	v_fma_mix_f32 v7, v13, v53, v7 op_sel:[0,1,0] op_sel_hi:[1,1,0]
	v_fma_mix_f32 v8, v13, v53, v8 op_sel:[1,1,0] op_sel_hi:[1,1,0]
	v_fma_mix_f32 v11, v14, v53, v11 op_sel:[0,1,0] op_sel_hi:[1,1,0]
	v_fma_mix_f32 v12, v14, v53, v12 op_sel:[1,1,0] op_sel_hi:[1,1,0]
	v_fma_mix_f32 v7, v15, v54, v7 op_sel_hi:[1,1,0]
	v_fma_mix_f32 v8, v15, v54, v8 op_sel:[1,0,0] op_sel_hi:[1,1,0]
	v_fma_mix_f32 v11, v16, v54, v11 op_sel_hi:[1,1,0]
	v_fma_mix_f32 v12, v16, v54, v12 op_sel:[1,0,0] op_sel_hi:[1,1,0]
	v_fma_mix_f32 v7, v17, v54, v7 op_sel:[0,1,0] op_sel_hi:[1,1,0]
	v_fma_mix_f32 v8, v17, v54, v8 op_sel:[1,1,0] op_sel_hi:[1,1,0]
	v_fma_mix_f32 v11, v18, v54, v11 op_sel:[0,1,0] op_sel_hi:[1,1,0]
	v_fma_mix_f32 v12, v18, v54, v12 op_sel:[1,1,0] op_sel_hi:[1,1,0]
	s_waitcnt vmcnt(3)
	v_fma_mix_f32 v7, v25, v55, v7 op_sel_hi:[1,1,0]
	v_fma_mix_f32 v8, v25, v55, v8 op_sel:[1,0,0] op_sel_hi:[1,1,0]
	v_fma_mix_f32 v11, v26, v55, v11 op_sel_hi:[1,1,0]
	v_fma_mix_f32 v12, v26, v55, v12 op_sel:[1,0,0] op_sel_hi:[1,1,0]
	v_fma_mix_f32 v7, v27, v55, v7 op_sel:[0,1,0] op_sel_hi:[1,1,0]
	v_fma_mix_f32 v8, v27, v55, v8 op_sel:[1,1,0] op_sel_hi:[1,1,0]
	v_fma_mix_f32 v11, v28, v55, v11 op_sel:[0,1,0] op_sel_hi:[1,1,0]
	v_fma_mix_f32 v12, v28, v55, v12 op_sel:[1,1,0] op_sel_hi:[1,1,0]
	v_fma_mix_f32 v7, v29, v56, v7 op_sel_hi:[1,1,0]
	v_fma_mix_f32 v8, v29, v56, v8 op_sel:[1,0,0] op_sel_hi:[1,1,0]
	v_fma_mix_f32 v11, v30, v56, v11 op_sel_hi:[1,1,0]
	v_fma_mix_f32 v12, v30, v56, v12 op_sel:[1,0,0] op_sel_hi:[1,1,0]
	v_fma_mix_f32 v7, v31, v56, v7 op_sel:[0,1,0] op_sel_hi:[1,1,0]
	v_fma_mix_f32 v8, v31, v56, v8 op_sel:[1,1,0] op_sel_hi:[1,1,0]
	v_fma_mix_f32 v11, v32, v56, v11 op_sel:[0,1,0] op_sel_hi:[1,1,0]
	v_fma_mix_f32 v12, v32, v56, v12 op_sel:[1,1,0] op_sel_hi:[1,1,0]
	;; [unrolled: 17-line block ×3, first 2 shown]
	s_waitcnt vmcnt(1)
	v_fma_mix_f32 v7, v41, v51, v7 op_sel_hi:[1,1,0]
	v_fma_mix_f32 v8, v41, v51, v8 op_sel:[1,0,0] op_sel_hi:[1,1,0]
	v_fma_mix_f32 v11, v42, v51, v11 op_sel_hi:[1,1,0]
	v_fma_mix_f32 v12, v42, v51, v12 op_sel:[1,0,0] op_sel_hi:[1,1,0]
	v_fma_mix_f32 v7, v43, v51, v7 op_sel:[0,1,0] op_sel_hi:[1,1,0]
	;; [unrolled: 1-line block ×5, first 2 shown]
	s_waitcnt vmcnt(0)
	v_fma_mix_f32 v7, v45, v52, v7 op_sel_hi:[1,1,0]
	v_fma_mix_f32 v13, v45, v52, v8 op_sel:[1,0,0] op_sel_hi:[1,1,0]
	v_fma_mix_f32 v11, v46, v52, v11 op_sel_hi:[1,1,0]
	v_fma_mix_f32 v12, v46, v52, v12 op_sel:[1,0,0] op_sel_hi:[1,1,0]
	v_fma_mix_f32 v8, v47, v52, v7 op_sel:[0,1,0] op_sel_hi:[1,1,0]
	v_fma_mix_f32 v24, v47, v52, v13 op_sel:[1,1,0] op_sel_hi:[1,1,0]
	v_fma_mix_f32 v23, v48, v52, v11 op_sel:[0,1,0] op_sel_hi:[1,1,0]
	v_fma_mix_f32 v22, v48, v52, v12 op_sel:[1,1,0] op_sel_hi:[1,1,0]
	s_andn2_b32 exec_lo, exec_lo, s3
	s_cbranch_execnz .LBB98_33
; %bb.34:
	s_or_b32 exec_lo, exec_lo, s3
.LBB98_35:
	s_or_b32 exec_lo, exec_lo, s0
.LBB98_36:
	s_or_b32 exec_lo, exec_lo, s1
.LBB98_37:
	v_mbcnt_lo_u32_b32 v0, -1, 0
	s_mov_b32 s3, -1
	v_xor_b32_e32 v1, 16, v0
	v_xor_b32_e32 v6, 8, v0
	;; [unrolled: 1-line block ×3, first 2 shown]
	v_cmp_gt_i32_e32 vcc_lo, 32, v1
	v_cndmask_b32_e32 v1, v0, v1, vcc_lo
	v_cmp_gt_i32_e32 vcc_lo, 32, v6
	v_lshlrev_b32_e32 v1, 2, v1
	v_cndmask_b32_e32 v6, v0, v6, vcc_lo
	v_cmp_gt_i32_e32 vcc_lo, 32, v10
	ds_bpermute_b32 v2, v1, v8
	ds_bpermute_b32 v3, v1, v24
	;; [unrolled: 1-line block ×4, first 2 shown]
	v_lshlrev_b32_e32 v6, 2, v6
	v_cndmask_b32_e32 v10, v0, v10, vcc_lo
	v_lshlrev_b32_e32 v10, 2, v10
	s_waitcnt lgkmcnt(3)
	v_add_f32_e32 v2, v8, v2
	s_waitcnt lgkmcnt(2)
	v_add_f32_e32 v3, v24, v3
	;; [unrolled: 2-line block ×4, first 2 shown]
	ds_bpermute_b32 v7, v6, v2
	ds_bpermute_b32 v8, v6, v3
	;; [unrolled: 1-line block ×4, first 2 shown]
	s_waitcnt lgkmcnt(3)
	v_add_f32_e32 v2, v2, v7
	s_waitcnt lgkmcnt(2)
	v_add_f32_e32 v3, v3, v8
	;; [unrolled: 2-line block ×4, first 2 shown]
	ds_bpermute_b32 v6, v10, v2
	ds_bpermute_b32 v7, v10, v3
	;; [unrolled: 1-line block ×4, first 2 shown]
	v_xor_b32_e32 v10, 2, v0
	v_cmp_gt_i32_e32 vcc_lo, 32, v10
	v_cndmask_b32_e32 v10, v0, v10, vcc_lo
	v_lshlrev_b32_e32 v10, 2, v10
	s_waitcnt lgkmcnt(3)
	v_add_f32_e32 v2, v2, v6
	s_waitcnt lgkmcnt(2)
	v_add_f32_e32 v3, v3, v7
	;; [unrolled: 2-line block ×4, first 2 shown]
	ds_bpermute_b32 v1, v10, v2
	ds_bpermute_b32 v7, v10, v3
	;; [unrolled: 1-line block ×4, first 2 shown]
	v_xor_b32_e32 v10, 1, v0
	v_cmp_gt_i32_e32 vcc_lo, 32, v10
	v_cndmask_b32_e32 v0, v0, v10, vcc_lo
	v_cmp_eq_u32_e32 vcc_lo, 31, v21
	v_lshlrev_b32_e32 v10, 2, v0
	s_waitcnt lgkmcnt(3)
	v_add_f32_e32 v0, v2, v1
	s_waitcnt lgkmcnt(2)
	v_add_f32_e32 v1, v3, v7
	;; [unrolled: 2-line block ×4, first 2 shown]
	ds_bpermute_b32 v5, v10, v0
	ds_bpermute_b32 v6, v10, v1
	;; [unrolled: 1-line block ×4, first 2 shown]
	s_and_b32 exec_lo, exec_lo, vcc_lo
	s_cbranch_execz .LBB98_10
; %bb.38:
	s_load_dwordx2 s[0:1], s[4:5], 0x50
	s_waitcnt lgkmcnt(0)
	v_add_f32_e32 v0, v0, v5
	v_add_f32_e32 v1, v1, v6
	;; [unrolled: 1-line block ×4, first 2 shown]
	v_cmp_eq_f32_e64 s4, s2, 0
	v_mul_f32_e32 v0, s16, v0
	v_mul_f32_e32 v1, s16, v1
	;; [unrolled: 1-line block ×4, first 2 shown]
	v_lshlrev_b32_e32 v4, 2, v4
	s_and_b32 vcc_lo, exec_lo, s4
	s_cbranch_vccz .LBB98_40
; %bb.39:
	v_ashrrev_i32_e32 v5, 31, v4
	s_mov_b32 s3, 0
	v_lshlrev_b64 v[5:6], 2, v[4:5]
	v_add_co_u32 v5, vcc_lo, s0, v5
	v_add_co_ci_u32_e64 v6, null, s1, v6, vcc_lo
	global_store_dwordx4 v[5:6], v[0:3], off
.LBB98_40:
	s_andn2_b32 vcc_lo, exec_lo, s3
	s_cbranch_vccnz .LBB98_10
; %bb.41:
	v_ashrrev_i32_e32 v5, 31, v4
	v_lshlrev_b64 v[4:5], 2, v[4:5]
	v_add_co_u32 v8, vcc_lo, s0, v4
	v_add_co_ci_u32_e64 v9, null, s1, v5, vcc_lo
	global_load_dwordx4 v[4:7], v[8:9], off
	s_waitcnt vmcnt(0)
	v_fmac_f32_e32 v0, s2, v4
	v_fmac_f32_e32 v1, s2, v5
	;; [unrolled: 1-line block ×4, first 2 shown]
	global_store_dwordx4 v[8:9], v[0:3], off
	s_endpgm
	.section	.rodata,"a",@progbits
	.p2align	6, 0x0
	.amdhsa_kernel _ZN9rocsparseL18bsrxmvn_4x4_kernelILj128ELj32EfliDF16_DF16_fEEvT3_20rocsparse_direction_NS_24const_host_device_scalarIT1_EES1_PKS1_PKT2_SA_S7_PKT4_PKT5_S5_PT6_21rocsparse_index_base_b
		.amdhsa_group_segment_fixed_size 0
		.amdhsa_private_segment_fixed_size 0
		.amdhsa_kernarg_size 96
		.amdhsa_user_sgpr_count 6
		.amdhsa_user_sgpr_private_segment_buffer 1
		.amdhsa_user_sgpr_dispatch_ptr 0
		.amdhsa_user_sgpr_queue_ptr 0
		.amdhsa_user_sgpr_kernarg_segment_ptr 1
		.amdhsa_user_sgpr_dispatch_id 0
		.amdhsa_user_sgpr_flat_scratch_init 0
		.amdhsa_user_sgpr_private_segment_size 0
		.amdhsa_wavefront_size32 1
		.amdhsa_uses_dynamic_stack 0
		.amdhsa_system_sgpr_private_segment_wavefront_offset 0
		.amdhsa_system_sgpr_workgroup_id_x 1
		.amdhsa_system_sgpr_workgroup_id_y 0
		.amdhsa_system_sgpr_workgroup_id_z 0
		.amdhsa_system_sgpr_workgroup_info 0
		.amdhsa_system_vgpr_workitem_id 0
		.amdhsa_next_free_vgpr 61
		.amdhsa_next_free_sgpr 20
		.amdhsa_reserve_vcc 1
		.amdhsa_reserve_flat_scratch 0
		.amdhsa_float_round_mode_32 0
		.amdhsa_float_round_mode_16_64 0
		.amdhsa_float_denorm_mode_32 3
		.amdhsa_float_denorm_mode_16_64 3
		.amdhsa_dx10_clamp 1
		.amdhsa_ieee_mode 1
		.amdhsa_fp16_overflow 0
		.amdhsa_workgroup_processor_mode 1
		.amdhsa_memory_ordered 1
		.amdhsa_forward_progress 1
		.amdhsa_shared_vgpr_count 0
		.amdhsa_exception_fp_ieee_invalid_op 0
		.amdhsa_exception_fp_denorm_src 0
		.amdhsa_exception_fp_ieee_div_zero 0
		.amdhsa_exception_fp_ieee_overflow 0
		.amdhsa_exception_fp_ieee_underflow 0
		.amdhsa_exception_fp_ieee_inexact 0
		.amdhsa_exception_int_div_zero 0
	.end_amdhsa_kernel
	.section	.text._ZN9rocsparseL18bsrxmvn_4x4_kernelILj128ELj32EfliDF16_DF16_fEEvT3_20rocsparse_direction_NS_24const_host_device_scalarIT1_EES1_PKS1_PKT2_SA_S7_PKT4_PKT5_S5_PT6_21rocsparse_index_base_b,"axG",@progbits,_ZN9rocsparseL18bsrxmvn_4x4_kernelILj128ELj32EfliDF16_DF16_fEEvT3_20rocsparse_direction_NS_24const_host_device_scalarIT1_EES1_PKS1_PKT2_SA_S7_PKT4_PKT5_S5_PT6_21rocsparse_index_base_b,comdat
.Lfunc_end98:
	.size	_ZN9rocsparseL18bsrxmvn_4x4_kernelILj128ELj32EfliDF16_DF16_fEEvT3_20rocsparse_direction_NS_24const_host_device_scalarIT1_EES1_PKS1_PKT2_SA_S7_PKT4_PKT5_S5_PT6_21rocsparse_index_base_b, .Lfunc_end98-_ZN9rocsparseL18bsrxmvn_4x4_kernelILj128ELj32EfliDF16_DF16_fEEvT3_20rocsparse_direction_NS_24const_host_device_scalarIT1_EES1_PKS1_PKT2_SA_S7_PKT4_PKT5_S5_PT6_21rocsparse_index_base_b
                                        ; -- End function
	.set _ZN9rocsparseL18bsrxmvn_4x4_kernelILj128ELj32EfliDF16_DF16_fEEvT3_20rocsparse_direction_NS_24const_host_device_scalarIT1_EES1_PKS1_PKT2_SA_S7_PKT4_PKT5_S5_PT6_21rocsparse_index_base_b.num_vgpr, 61
	.set _ZN9rocsparseL18bsrxmvn_4x4_kernelILj128ELj32EfliDF16_DF16_fEEvT3_20rocsparse_direction_NS_24const_host_device_scalarIT1_EES1_PKS1_PKT2_SA_S7_PKT4_PKT5_S5_PT6_21rocsparse_index_base_b.num_agpr, 0
	.set _ZN9rocsparseL18bsrxmvn_4x4_kernelILj128ELj32EfliDF16_DF16_fEEvT3_20rocsparse_direction_NS_24const_host_device_scalarIT1_EES1_PKS1_PKT2_SA_S7_PKT4_PKT5_S5_PT6_21rocsparse_index_base_b.numbered_sgpr, 20
	.set _ZN9rocsparseL18bsrxmvn_4x4_kernelILj128ELj32EfliDF16_DF16_fEEvT3_20rocsparse_direction_NS_24const_host_device_scalarIT1_EES1_PKS1_PKT2_SA_S7_PKT4_PKT5_S5_PT6_21rocsparse_index_base_b.num_named_barrier, 0
	.set _ZN9rocsparseL18bsrxmvn_4x4_kernelILj128ELj32EfliDF16_DF16_fEEvT3_20rocsparse_direction_NS_24const_host_device_scalarIT1_EES1_PKS1_PKT2_SA_S7_PKT4_PKT5_S5_PT6_21rocsparse_index_base_b.private_seg_size, 0
	.set _ZN9rocsparseL18bsrxmvn_4x4_kernelILj128ELj32EfliDF16_DF16_fEEvT3_20rocsparse_direction_NS_24const_host_device_scalarIT1_EES1_PKS1_PKT2_SA_S7_PKT4_PKT5_S5_PT6_21rocsparse_index_base_b.uses_vcc, 1
	.set _ZN9rocsparseL18bsrxmvn_4x4_kernelILj128ELj32EfliDF16_DF16_fEEvT3_20rocsparse_direction_NS_24const_host_device_scalarIT1_EES1_PKS1_PKT2_SA_S7_PKT4_PKT5_S5_PT6_21rocsparse_index_base_b.uses_flat_scratch, 0
	.set _ZN9rocsparseL18bsrxmvn_4x4_kernelILj128ELj32EfliDF16_DF16_fEEvT3_20rocsparse_direction_NS_24const_host_device_scalarIT1_EES1_PKS1_PKT2_SA_S7_PKT4_PKT5_S5_PT6_21rocsparse_index_base_b.has_dyn_sized_stack, 0
	.set _ZN9rocsparseL18bsrxmvn_4x4_kernelILj128ELj32EfliDF16_DF16_fEEvT3_20rocsparse_direction_NS_24const_host_device_scalarIT1_EES1_PKS1_PKT2_SA_S7_PKT4_PKT5_S5_PT6_21rocsparse_index_base_b.has_recursion, 0
	.set _ZN9rocsparseL18bsrxmvn_4x4_kernelILj128ELj32EfliDF16_DF16_fEEvT3_20rocsparse_direction_NS_24const_host_device_scalarIT1_EES1_PKS1_PKT2_SA_S7_PKT4_PKT5_S5_PT6_21rocsparse_index_base_b.has_indirect_call, 0
	.section	.AMDGPU.csdata,"",@progbits
; Kernel info:
; codeLenInByte = 4204
; TotalNumSgprs: 22
; NumVgprs: 61
; ScratchSize: 0
; MemoryBound: 0
; FloatMode: 240
; IeeeMode: 1
; LDSByteSize: 0 bytes/workgroup (compile time only)
; SGPRBlocks: 0
; VGPRBlocks: 7
; NumSGPRsForWavesPerEU: 22
; NumVGPRsForWavesPerEU: 61
; Occupancy: 16
; WaveLimiterHint : 1
; COMPUTE_PGM_RSRC2:SCRATCH_EN: 0
; COMPUTE_PGM_RSRC2:USER_SGPR: 6
; COMPUTE_PGM_RSRC2:TRAP_HANDLER: 0
; COMPUTE_PGM_RSRC2:TGID_X_EN: 1
; COMPUTE_PGM_RSRC2:TGID_Y_EN: 0
; COMPUTE_PGM_RSRC2:TGID_Z_EN: 0
; COMPUTE_PGM_RSRC2:TIDIG_COMP_CNT: 0
	.section	.text._ZN9rocsparseL18bsrxmvn_4x4_kernelILj128ELj64EfliDF16_DF16_fEEvT3_20rocsparse_direction_NS_24const_host_device_scalarIT1_EES1_PKS1_PKT2_SA_S7_PKT4_PKT5_S5_PT6_21rocsparse_index_base_b,"axG",@progbits,_ZN9rocsparseL18bsrxmvn_4x4_kernelILj128ELj64EfliDF16_DF16_fEEvT3_20rocsparse_direction_NS_24const_host_device_scalarIT1_EES1_PKS1_PKT2_SA_S7_PKT4_PKT5_S5_PT6_21rocsparse_index_base_b,comdat
	.globl	_ZN9rocsparseL18bsrxmvn_4x4_kernelILj128ELj64EfliDF16_DF16_fEEvT3_20rocsparse_direction_NS_24const_host_device_scalarIT1_EES1_PKS1_PKT2_SA_S7_PKT4_PKT5_S5_PT6_21rocsparse_index_base_b ; -- Begin function _ZN9rocsparseL18bsrxmvn_4x4_kernelILj128ELj64EfliDF16_DF16_fEEvT3_20rocsparse_direction_NS_24const_host_device_scalarIT1_EES1_PKS1_PKT2_SA_S7_PKT4_PKT5_S5_PT6_21rocsparse_index_base_b
	.p2align	8
	.type	_ZN9rocsparseL18bsrxmvn_4x4_kernelILj128ELj64EfliDF16_DF16_fEEvT3_20rocsparse_direction_NS_24const_host_device_scalarIT1_EES1_PKS1_PKT2_SA_S7_PKT4_PKT5_S5_PT6_21rocsparse_index_base_b,@function
_ZN9rocsparseL18bsrxmvn_4x4_kernelILj128ELj64EfliDF16_DF16_fEEvT3_20rocsparse_direction_NS_24const_host_device_scalarIT1_EES1_PKS1_PKT2_SA_S7_PKT4_PKT5_S5_PT6_21rocsparse_index_base_b: ; @_ZN9rocsparseL18bsrxmvn_4x4_kernelILj128ELj64EfliDF16_DF16_fEEvT3_20rocsparse_direction_NS_24const_host_device_scalarIT1_EES1_PKS1_PKT2_SA_S7_PKT4_PKT5_S5_PT6_21rocsparse_index_base_b
; %bb.0:
	s_clause 0x2
	s_load_dwordx2 s[18:19], s[4:5], 0x58
	s_load_dwordx2 s[16:17], s[4:5], 0x8
	;; [unrolled: 1-line block ×3, first 2 shown]
	s_waitcnt lgkmcnt(0)
	s_bitcmp1_b32 s19, 0
	s_cselect_b32 s0, -1, 0
	s_and_b32 vcc_lo, exec_lo, s0
	s_xor_b32 s0, s0, -1
	s_cbranch_vccnz .LBB99_2
; %bb.1:
	s_load_dword s16, s[16:17], 0x0
.LBB99_2:
	s_andn2_b32 vcc_lo, exec_lo, s0
	s_cbranch_vccnz .LBB99_4
; %bb.3:
	s_load_dword s2, s[2:3], 0x0
.LBB99_4:
	s_waitcnt lgkmcnt(0)
	v_cmp_neq_f32_e64 s0, s16, 0
	v_cmp_neq_f32_e64 s1, s2, 1.0
	s_mov_b32 s3, 0
	s_or_b32 s0, s0, s1
	s_andn2_b32 vcc_lo, exec_lo, s0
	s_cbranch_vccnz .LBB99_10
; %bb.5:
	s_clause 0x1
	s_load_dwordx2 s[8:9], s[4:5], 0x18
	s_load_dwordx2 s[0:1], s[4:5], 0x0
	v_lshrrev_b32_e32 v1, 6, v0
	v_lshl_or_b32 v4, s6, 1, v1
	s_waitcnt lgkmcnt(0)
	s_cmp_lg_u64 s[8:9], 0
	s_cbranch_scc0 .LBB99_11
; %bb.6:
	s_load_dword s3, s[4:5], 0x10
	s_mov_b32 s6, 0
                                        ; implicit-def: $vgpr1
	s_waitcnt lgkmcnt(0)
	v_cmp_gt_i32_e32 vcc_lo, s3, v4
	s_mov_b32 s3, 0
	s_and_saveexec_b32 s7, vcc_lo
	s_xor_b32 s7, exec_lo, s7
	s_cbranch_execz .LBB99_8
; %bb.7:
	v_ashrrev_i32_e32 v5, 31, v4
	s_mov_b32 s3, exec_lo
	v_lshlrev_b64 v[1:2], 2, v[4:5]
	v_add_co_u32 v1, vcc_lo, s8, v1
	v_add_co_ci_u32_e64 v2, null, s9, v2, vcc_lo
	global_load_dword v1, v[1:2], off
	s_waitcnt vmcnt(0)
	v_subrev_nc_u32_e32 v1, s18, v1
.LBB99_8:
	s_or_b32 exec_lo, exec_lo, s7
	s_and_b32 vcc_lo, exec_lo, s6
	s_cbranch_vccz .LBB99_12
.LBB99_9:
	v_cmp_gt_i32_e32 vcc_lo, s0, v4
	s_andn2_b32 s0, s3, exec_lo
	s_and_b32 s3, vcc_lo, exec_lo
	s_or_b32 s3, s0, s3
	s_and_saveexec_b32 s0, s3
	s_cbranch_execnz .LBB99_13
.LBB99_10:
	s_endpgm
.LBB99_11:
                                        ; implicit-def: $vgpr1
	s_cbranch_execnz .LBB99_9
.LBB99_12:
	v_mov_b32_e32 v4, v1
	s_and_saveexec_b32 s0, s3
	s_cbranch_execz .LBB99_10
.LBB99_13:
	s_load_dwordx8 s[8:15], s[4:5], 0x20
	v_ashrrev_i32_e32 v5, 31, v4
	v_and_b32_e32 v21, 63, v0
	s_load_dwordx2 s[6:7], s[4:5], 0x40
	v_mov_b32_e32 v22, 0
	v_lshlrev_b64 v[1:2], 3, v[4:5]
	s_waitcnt lgkmcnt(0)
	v_add_co_u32 v5, vcc_lo, s8, v1
	v_add_co_ci_u32_e64 v6, null, s9, v2, vcc_lo
	v_add_co_u32 v1, vcc_lo, s10, v1
	v_add_co_ci_u32_e64 v2, null, s11, v2, vcc_lo
	v_add_co_u32 v3, vcc_lo, v5, 8
	global_load_dwordx2 v[9:10], v[5:6], off
	v_add_co_ci_u32_e64 v7, null, 0, v6, vcc_lo
	s_cmp_eq_u64 s[10:11], 0
	s_cselect_b32 vcc_lo, -1, 0
	s_cmp_eq_u32 s1, 1
	v_cndmask_b32_e32 v2, v2, v7, vcc_lo
	v_cndmask_b32_e32 v1, v1, v3, vcc_lo
	global_load_dwordx2 v[2:3], v[1:2], off
	s_waitcnt vmcnt(1)
	v_sub_co_u32 v0, vcc_lo, v9, s18
	v_subrev_co_ci_u32_e64 v1, null, 0, v10, vcc_lo
	v_add_co_u32 v0, vcc_lo, v0, v21
	v_add_co_ci_u32_e64 v1, null, 0, v1, vcc_lo
	v_lshlrev_b64 v[5:6], 5, v[0:1]
	s_waitcnt vmcnt(0)
	v_sub_co_u32 v2, vcc_lo, v2, s18
	v_subrev_co_ci_u32_e64 v3, null, 0, v3, vcc_lo
	v_add_co_u32 v5, vcc_lo, s14, v5
	v_cmp_lt_i64_e64 s0, v[0:1], v[2:3]
	v_add_co_ci_u32_e64 v6, null, s15, v6, vcc_lo
	s_cbranch_scc1 .LBB99_25
; %bb.14:
	v_mov_b32_e32 v23, 0
	v_mov_b32_e32 v24, 0
	;; [unrolled: 1-line block ×3, first 2 shown]
	s_and_saveexec_b32 s1, s0
	s_cbranch_execz .LBB99_24
; %bb.15:
	v_or_b32_e32 v7, 64, v21
	v_not_b32_e32 v12, v9
	v_not_b32_e32 v11, v10
	v_sub_co_u32 v7, s3, v7, s18
	v_sub_co_ci_u32_e64 v8, null, 0, 0, s3
	v_sub_co_u32 v13, s3, s18, v21
	v_add_co_u32 v7, vcc_lo, v7, v9
	v_add_co_ci_u32_e64 v8, null, v8, v10, vcc_lo
	v_sub_co_ci_u32_e64 v14, null, 0, 0, s3
	s_mov_b32 s3, exec_lo
	v_cmp_gt_i64_e32 vcc_lo, v[7:8], v[2:3]
	v_cndmask_b32_e32 v16, v3, v8, vcc_lo
	v_cndmask_b32_e32 v7, v2, v7, vcc_lo
	v_add_co_u32 v8, vcc_lo, v13, v12
	v_add_co_ci_u32_e64 v11, null, v14, v11, vcc_lo
	v_mov_b32_e32 v14, v6
	v_add_co_u32 v15, vcc_lo, v8, v7
	v_mov_b32_e32 v8, 0
	v_add_co_ci_u32_e64 v16, null, v11, v16, vcc_lo
	v_mov_b32_e32 v12, v1
	v_and_b32_e32 v7, 0xc0, v15
	v_mov_b32_e32 v24, v8
	v_mov_b32_e32 v23, v8
	;; [unrolled: 1-line block ×5, first 2 shown]
	v_cmpx_ne_u64_e32 0xc0, v[7:8]
	s_cbranch_execz .LBB99_19
; %bb.16:
	v_lshrrev_b32_e32 v7, 6, v15
	v_mov_b32_e32 v14, v6
	v_mov_b32_e32 v12, v1
	;; [unrolled: 1-line block ×4, first 2 shown]
	v_add_nc_u32_e32 v17, 1, v7
	v_lshlrev_b64 v[7:8], 2, v[0:1]
	v_mov_b32_e32 v11, v0
	v_mov_b32_e32 v23, 0
	;; [unrolled: 1-line block ×3, first 2 shown]
	v_and_b32_e32 v19, 3, v17
	v_add_co_u32 v17, vcc_lo, s12, v7
	v_add_co_ci_u32_e64 v18, null, s13, v8, vcc_lo
	v_sub_co_u32 v19, s8, 0, v19
	v_sub_co_ci_u32_e64 v20, null, 0, 0, s8
	v_mov_b32_e32 v8, 0
	s_mov_b32 s8, 0
.LBB99_17:                              ; =>This Inner Loop Header: Depth=1
	global_load_dword v7, v[17:18], off
	s_clause 0x1
	global_load_dwordx4 v[25:28], v[13:14], off
	global_load_dwordx4 v[29:32], v[13:14], off offset:16
	s_waitcnt vmcnt(2)
	v_subrev_nc_u32_e32 v7, s18, v7
	v_lshlrev_b32_e32 v33, 2, v7
	v_ashrrev_i32_e32 v34, 31, v33
	v_lshlrev_b64 v[33:34], 1, v[33:34]
	v_add_co_u32 v33, vcc_lo, s6, v33
	v_add_co_ci_u32_e64 v34, null, s7, v34, vcc_lo
	v_add_co_u32 v13, vcc_lo, 0x800, v13
	v_add_co_ci_u32_e64 v14, null, 0, v14, vcc_lo
	global_load_dwordx2 v[33:34], v[33:34], off
	v_add_co_u32 v11, vcc_lo, v11, 64
	v_add_co_ci_u32_e64 v12, null, 0, v12, vcc_lo
	v_add_co_u32 v17, vcc_lo, 0x100, v17
	v_add_co_ci_u32_e64 v18, null, 0, v18, vcc_lo
	;; [unrolled: 2-line block ×3, first 2 shown]
	v_cmp_eq_u64_e32 vcc_lo, 0, v[19:20]
	s_or_b32 s8, vcc_lo, s8
	s_waitcnt vmcnt(0)
	v_fma_mix_f32 v7, v25, v33, v8 op_sel_hi:[1,1,0]
	v_fma_mix_f32 v8, v27, v33, v24 op_sel_hi:[1,1,0]
	v_fma_mix_f32 v23, v29, v33, v23 op_sel_hi:[1,1,0]
	v_fma_mix_f32 v22, v31, v33, v22 op_sel_hi:[1,1,0]
	v_fma_mix_f32 v7, v25, v33, v7 op_sel:[1,1,0] op_sel_hi:[1,1,0]
	v_fma_mix_f32 v8, v27, v33, v8 op_sel:[1,1,0] op_sel_hi:[1,1,0]
	;; [unrolled: 1-line block ×4, first 2 shown]
	v_fma_mix_f32 v7, v26, v34, v7 op_sel_hi:[1,1,0]
	v_fma_mix_f32 v24, v28, v34, v8 op_sel_hi:[1,1,0]
	;; [unrolled: 1-line block ×4, first 2 shown]
	v_fma_mix_f32 v8, v26, v34, v7 op_sel:[1,1,0] op_sel_hi:[1,1,0]
	v_fma_mix_f32 v24, v28, v34, v24 op_sel:[1,1,0] op_sel_hi:[1,1,0]
	;; [unrolled: 1-line block ×4, first 2 shown]
	s_andn2_b32 exec_lo, exec_lo, s8
	s_cbranch_execnz .LBB99_17
; %bb.18:
	s_or_b32 exec_lo, exec_lo, s8
.LBB99_19:
	s_or_b32 exec_lo, exec_lo, s3
	s_mov_b32 s3, exec_lo
	v_cmpx_lt_u64_e32 0xbf, v[15:16]
	s_cbranch_execz .LBB99_23
; %bb.20:
	v_lshlrev_b64 v[15:16], 2, v[11:12]
	s_mov_b32 s8, 0
	v_add_co_u32 v7, vcc_lo, s12, v15
	v_add_co_ci_u32_e64 v16, null, s13, v16, vcc_lo
	v_add_co_u32 v15, vcc_lo, 0x200, v7
	v_add_co_ci_u32_e64 v16, null, 0, v16, vcc_lo
.LBB99_21:                              ; =>This Inner Loop Header: Depth=1
	s_clause 0x3
	global_load_dword v7, v[15:16], off offset:-512
	global_load_dword v53, v[15:16], off offset:-256
	global_load_dword v54, v[15:16], off
	global_load_dword v55, v[15:16], off offset:256
	s_clause 0x1
	global_load_dwordx4 v[17:20], v[13:14], off
	global_load_dwordx4 v[25:28], v[13:14], off offset:16
	v_add_co_u32 v29, vcc_lo, 0x800, v13
	v_add_co_ci_u32_e64 v30, null, 0, v14, vcc_lo
	v_add_co_u32 v37, vcc_lo, v13, 0x1000
	v_add_co_ci_u32_e64 v38, null, 0, v14, vcc_lo
	;; [unrolled: 2-line block ×4, first 2 shown]
	s_clause 0x5
	global_load_dwordx4 v[29:32], v[29:30], off offset:16
	global_load_dwordx4 v[33:36], v[37:38], off offset:-2048
	global_load_dwordx4 v[37:40], v[37:38], off
	global_load_dwordx4 v[41:44], v[41:42], off offset:16
	global_load_dwordx4 v[45:48], v[49:50], off
	global_load_dwordx4 v[49:52], v[49:50], off offset:16
	s_waitcnt vmcnt(11)
	v_subrev_nc_u32_e32 v7, s18, v7
	s_waitcnt vmcnt(10)
	v_subrev_nc_u32_e32 v56, s18, v53
	;; [unrolled: 2-line block ×4, first 2 shown]
	v_lshlrev_b32_e32 v53, 2, v7
	v_lshlrev_b32_e32 v55, 2, v56
	v_lshlrev_b32_e32 v57, 2, v54
	v_lshlrev_b32_e32 v59, 2, v58
	v_ashrrev_i32_e32 v54, 31, v53
	v_ashrrev_i32_e32 v56, 31, v55
	;; [unrolled: 1-line block ×4, first 2 shown]
	v_lshlrev_b64 v[53:54], 1, v[53:54]
	v_lshlrev_b64 v[55:56], 1, v[55:56]
	;; [unrolled: 1-line block ×4, first 2 shown]
	v_add_co_u32 v53, vcc_lo, s6, v53
	v_add_co_ci_u32_e64 v54, null, s7, v54, vcc_lo
	v_add_co_u32 v55, vcc_lo, s6, v55
	v_add_co_ci_u32_e64 v56, null, s7, v56, vcc_lo
	global_load_dwordx2 v[53:54], v[53:54], off
	v_add_co_u32 v57, vcc_lo, s6, v57
	global_load_dwordx2 v[55:56], v[55:56], off
	v_add_co_ci_u32_e64 v58, null, s7, v58, vcc_lo
	v_add_co_u32 v59, vcc_lo, s6, v59
	v_add_co_ci_u32_e64 v60, null, s7, v60, vcc_lo
	global_load_dwordx2 v[57:58], v[57:58], off
	v_add_co_u32 v11, vcc_lo, 0x100, v11
	global_load_dwordx2 v[59:60], v[59:60], off
	v_add_co_ci_u32_e64 v12, null, 0, v12, vcc_lo
	v_add_co_u32 v15, vcc_lo, 0x400, v15
	v_add_co_ci_u32_e64 v16, null, 0, v16, vcc_lo
	v_add_co_u32 v13, vcc_lo, 0x2000, v13
	v_add_co_ci_u32_e64 v14, null, 0, v14, vcc_lo
	v_cmp_ge_i64_e32 vcc_lo, v[11:12], v[2:3]
	s_or_b32 s8, vcc_lo, s8
	s_waitcnt vmcnt(3)
	v_fma_mix_f32 v7, v17, v53, v8 op_sel_hi:[1,1,0]
	v_fma_mix_f32 v8, v19, v53, v24 op_sel_hi:[1,1,0]
	v_fma_mix_f32 v23, v25, v53, v23 op_sel_hi:[1,1,0]
	v_fma_mix_f32 v22, v27, v53, v22 op_sel_hi:[1,1,0]
	v_fma_mix_f32 v7, v17, v53, v7 op_sel:[1,1,0] op_sel_hi:[1,1,0]
	v_fma_mix_f32 v8, v19, v53, v8 op_sel:[1,1,0] op_sel_hi:[1,1,0]
	v_fma_mix_f32 v17, v25, v53, v23 op_sel:[1,1,0] op_sel_hi:[1,1,0]
	v_fma_mix_f32 v19, v27, v53, v22 op_sel:[1,1,0] op_sel_hi:[1,1,0]
	v_fma_mix_f32 v7, v18, v54, v7 op_sel_hi:[1,1,0]
	v_fma_mix_f32 v8, v20, v54, v8 op_sel_hi:[1,1,0]
	v_fma_mix_f32 v17, v26, v54, v17 op_sel_hi:[1,1,0]
	v_fma_mix_f32 v19, v28, v54, v19 op_sel_hi:[1,1,0]
	v_fma_mix_f32 v7, v18, v54, v7 op_sel:[1,1,0] op_sel_hi:[1,1,0]
	v_fma_mix_f32 v8, v20, v54, v8 op_sel:[1,1,0] op_sel_hi:[1,1,0]
	v_fma_mix_f32 v17, v26, v54, v17 op_sel:[1,1,0] op_sel_hi:[1,1,0]
	v_fma_mix_f32 v18, v28, v54, v19 op_sel:[1,1,0] op_sel_hi:[1,1,0]
	s_waitcnt vmcnt(2)
	v_fma_mix_f32 v7, v33, v55, v7 op_sel_hi:[1,1,0]
	v_fma_mix_f32 v8, v35, v55, v8 op_sel_hi:[1,1,0]
	v_fma_mix_f32 v17, v29, v55, v17 op_sel_hi:[1,1,0]
	v_fma_mix_f32 v18, v31, v55, v18 op_sel_hi:[1,1,0]
	v_fma_mix_f32 v7, v33, v55, v7 op_sel:[1,1,0] op_sel_hi:[1,1,0]
	v_fma_mix_f32 v8, v35, v55, v8 op_sel:[1,1,0] op_sel_hi:[1,1,0]
	v_fma_mix_f32 v17, v29, v55, v17 op_sel:[1,1,0] op_sel_hi:[1,1,0]
	v_fma_mix_f32 v18, v31, v55, v18 op_sel:[1,1,0] op_sel_hi:[1,1,0]
	v_fma_mix_f32 v7, v34, v56, v7 op_sel_hi:[1,1,0]
	v_fma_mix_f32 v8, v36, v56, v8 op_sel_hi:[1,1,0]
	v_fma_mix_f32 v17, v30, v56, v17 op_sel_hi:[1,1,0]
	v_fma_mix_f32 v18, v32, v56, v18 op_sel_hi:[1,1,0]
	v_fma_mix_f32 v7, v34, v56, v7 op_sel:[1,1,0] op_sel_hi:[1,1,0]
	v_fma_mix_f32 v8, v36, v56, v8 op_sel:[1,1,0] op_sel_hi:[1,1,0]
	v_fma_mix_f32 v17, v30, v56, v17 op_sel:[1,1,0] op_sel_hi:[1,1,0]
	v_fma_mix_f32 v18, v32, v56, v18 op_sel:[1,1,0] op_sel_hi:[1,1,0]
	;; [unrolled: 17-line block ×4, first 2 shown]
	s_andn2_b32 exec_lo, exec_lo, s8
	s_cbranch_execnz .LBB99_21
; %bb.22:
	s_or_b32 exec_lo, exec_lo, s8
.LBB99_23:
	s_or_b32 exec_lo, exec_lo, s3
.LBB99_24:
	s_or_b32 exec_lo, exec_lo, s1
	s_cbranch_execz .LBB99_26
	s_branch .LBB99_37
.LBB99_25:
                                        ; implicit-def: $vgpr22
                                        ; implicit-def: $vgpr23
                                        ; implicit-def: $vgpr24
                                        ; implicit-def: $vgpr8
.LBB99_26:
	v_mov_b32_e32 v22, 0
	v_mov_b32_e32 v23, 0
	;; [unrolled: 1-line block ×4, first 2 shown]
	s_and_saveexec_b32 s1, s0
	s_cbranch_execz .LBB99_36
; %bb.27:
	v_or_b32_e32 v7, 64, v21
	v_sub_co_u32 v7, s0, v7, s18
	v_sub_co_ci_u32_e64 v8, null, 0, 0, s0
	v_sub_co_u32 v11, s0, s18, v21
	v_add_co_u32 v7, vcc_lo, v7, v9
	v_add_co_ci_u32_e64 v8, null, v8, v10, vcc_lo
	v_not_b32_e32 v9, v9
	v_not_b32_e32 v10, v10
	v_sub_co_ci_u32_e64 v12, null, 0, 0, s0
	v_cmp_gt_i64_e32 vcc_lo, v[7:8], v[2:3]
	s_mov_b32 s0, exec_lo
	v_cndmask_b32_e32 v13, v3, v8, vcc_lo
	v_cndmask_b32_e32 v7, v2, v7, vcc_lo
	v_add_co_u32 v8, vcc_lo, v11, v9
	v_add_co_ci_u32_e64 v10, null, v12, v10, vcc_lo
	v_add_co_u32 v9, vcc_lo, v8, v7
	v_mov_b32_e32 v8, 0
	v_add_co_ci_u32_e64 v10, null, v10, v13, vcc_lo
	v_and_b32_e32 v7, 0xc0, v9
	v_mov_b32_e32 v24, v8
	v_mov_b32_e32 v23, v8
	;; [unrolled: 1-line block ×3, first 2 shown]
	v_cmpx_ne_u64_e32 0xc0, v[7:8]
	s_cbranch_execz .LBB99_31
; %bb.28:
	v_lshrrev_b32_e32 v7, 6, v9
	v_mov_b32_e32 v22, 0
	v_mov_b32_e32 v23, 0
	;; [unrolled: 1-line block ×3, first 2 shown]
	v_add_nc_u32_e32 v11, 1, v7
	v_lshlrev_b64 v[7:8], 2, v[0:1]
	v_and_b32_e32 v13, 3, v11
	v_add_co_u32 v11, vcc_lo, s12, v7
	v_add_co_ci_u32_e64 v12, null, s13, v8, vcc_lo
	v_sub_co_u32 v13, s3, 0, v13
	v_sub_co_ci_u32_e64 v14, null, 0, 0, s3
	v_mov_b32_e32 v8, 0
	s_mov_b32 s3, 0
.LBB99_29:                              ; =>This Inner Loop Header: Depth=1
	global_load_dword v7, v[11:12], off
	global_load_dwordx4 v[15:18], v[5:6], off
	s_waitcnt vmcnt(1)
	v_subrev_nc_u32_e32 v7, s18, v7
	v_lshlrev_b32_e32 v19, 2, v7
	v_ashrrev_i32_e32 v20, 31, v19
	v_lshlrev_b64 v[19:20], 1, v[19:20]
	v_add_co_u32 v19, vcc_lo, s6, v19
	v_add_co_ci_u32_e64 v20, null, s7, v20, vcc_lo
	global_load_dwordx2 v[19:20], v[19:20], off
	global_load_dwordx4 v[25:28], v[5:6], off offset:16
	v_add_co_u32 v5, vcc_lo, 0x800, v5
	v_add_co_ci_u32_e64 v6, null, 0, v6, vcc_lo
	v_add_co_u32 v0, vcc_lo, v0, 64
	v_add_co_ci_u32_e64 v1, null, 0, v1, vcc_lo
	;; [unrolled: 2-line block ×4, first 2 shown]
	v_cmp_eq_u64_e32 vcc_lo, 0, v[13:14]
	s_or_b32 s3, vcc_lo, s3
	s_waitcnt vmcnt(1)
	v_fma_mix_f32 v7, v15, v19, v8 op_sel_hi:[1,1,0]
	v_fma_mix_f32 v8, v15, v19, v24 op_sel:[1,0,0] op_sel_hi:[1,1,0]
	v_fma_mix_f32 v15, v16, v19, v23 op_sel_hi:[1,1,0]
	v_fma_mix_f32 v16, v16, v19, v22 op_sel:[1,0,0] op_sel_hi:[1,1,0]
	v_fma_mix_f32 v7, v17, v19, v7 op_sel:[0,1,0] op_sel_hi:[1,1,0]
	;; [unrolled: 1-line block ×5, first 2 shown]
	s_waitcnt vmcnt(0)
	v_fma_mix_f32 v7, v25, v20, v7 op_sel_hi:[1,1,0]
	v_fma_mix_f32 v17, v25, v20, v8 op_sel:[1,0,0] op_sel_hi:[1,1,0]
	v_fma_mix_f32 v15, v26, v20, v15 op_sel_hi:[1,1,0]
	v_fma_mix_f32 v16, v26, v20, v16 op_sel:[1,0,0] op_sel_hi:[1,1,0]
	v_fma_mix_f32 v8, v27, v20, v7 op_sel:[0,1,0] op_sel_hi:[1,1,0]
	;; [unrolled: 1-line block ×5, first 2 shown]
	s_andn2_b32 exec_lo, exec_lo, s3
	s_cbranch_execnz .LBB99_29
; %bb.30:
	s_or_b32 exec_lo, exec_lo, s3
.LBB99_31:
	s_or_b32 exec_lo, exec_lo, s0
	s_mov_b32 s0, exec_lo
	v_cmpx_lt_u64_e32 0xbf, v[9:10]
	s_cbranch_execz .LBB99_35
; %bb.32:
	v_lshlrev_b64 v[9:10], 2, v[0:1]
	s_mov_b32 s3, 0
	v_add_co_u32 v7, vcc_lo, s12, v9
	v_add_co_ci_u32_e64 v10, null, s13, v10, vcc_lo
	v_add_co_u32 v9, vcc_lo, 0x200, v7
	v_add_co_ci_u32_e64 v10, null, 0, v10, vcc_lo
.LBB99_33:                              ; =>This Inner Loop Header: Depth=1
	s_clause 0x3
	global_load_dword v7, v[9:10], off offset:-512
	global_load_dword v47, v[9:10], off offset:-256
	global_load_dword v48, v[9:10], off
	global_load_dword v49, v[9:10], off offset:256
	s_clause 0x1
	global_load_dwordx4 v[11:14], v[5:6], off
	global_load_dwordx4 v[15:18], v[5:6], off offset:16
	v_add_co_u32 v19, vcc_lo, 0x800, v5
	v_add_co_ci_u32_e64 v20, null, 0, v6, vcc_lo
	v_add_co_u32 v33, vcc_lo, v5, 0x1000
	v_add_co_ci_u32_e64 v34, null, 0, v6, vcc_lo
	;; [unrolled: 2-line block ×4, first 2 shown]
	s_clause 0x4
	global_load_dwordx4 v[25:28], v[19:20], off offset:16
	global_load_dwordx4 v[29:32], v[33:34], off offset:-2048
	global_load_dwordx4 v[33:36], v[33:34], off
	global_load_dwordx4 v[37:40], v[37:38], off offset:16
	global_load_dwordx4 v[41:44], v[45:46], off
	s_waitcnt vmcnt(10)
	v_subrev_nc_u32_e32 v7, s18, v7
	s_waitcnt vmcnt(9)
	v_subrev_nc_u32_e32 v20, s18, v47
	;; [unrolled: 2-line block ×4, first 2 shown]
	v_lshlrev_b32_e32 v19, 2, v7
	v_lshlrev_b32_e32 v47, 2, v20
	;; [unrolled: 1-line block ×4, first 2 shown]
	v_ashrrev_i32_e32 v20, 31, v19
	v_ashrrev_i32_e32 v48, 31, v47
	;; [unrolled: 1-line block ×4, first 2 shown]
	v_lshlrev_b64 v[19:20], 1, v[19:20]
	v_lshlrev_b64 v[47:48], 1, v[47:48]
	v_add_co_u32 v19, vcc_lo, s6, v19
	v_add_co_ci_u32_e64 v20, null, s7, v20, vcc_lo
	v_add_co_u32 v47, vcc_lo, s6, v47
	v_add_co_ci_u32_e64 v48, null, s7, v48, vcc_lo
	s_clause 0x1
	global_load_dwordx2 v[19:20], v[19:20], off
	global_load_dwordx2 v[53:54], v[47:48], off
	v_lshlrev_b64 v[47:48], 1, v[49:50]
	v_add_co_u32 v47, vcc_lo, s6, v47
	v_add_co_ci_u32_e64 v48, null, s7, v48, vcc_lo
	global_load_dwordx2 v[49:50], v[47:48], off
	v_lshlrev_b64 v[47:48], 1, v[51:52]
	v_add_co_u32 v47, vcc_lo, s6, v47
	v_add_co_ci_u32_e64 v48, null, s7, v48, vcc_lo
	global_load_dwordx2 v[51:52], v[47:48], off
	global_load_dwordx4 v[45:48], v[45:46], off offset:16
	v_add_co_u32 v0, vcc_lo, 0x100, v0
	v_add_co_ci_u32_e64 v1, null, 0, v1, vcc_lo
	v_add_co_u32 v9, vcc_lo, 0x400, v9
	v_add_co_ci_u32_e64 v10, null, 0, v10, vcc_lo
	;; [unrolled: 2-line block ×3, first 2 shown]
	v_cmp_ge_i64_e32 vcc_lo, v[0:1], v[2:3]
	s_or_b32 s3, vcc_lo, s3
	s_waitcnt vmcnt(4)
	v_fma_mix_f32 v7, v11, v19, v8 op_sel_hi:[1,1,0]
	v_fma_mix_f32 v8, v11, v19, v24 op_sel:[1,0,0] op_sel_hi:[1,1,0]
	v_fma_mix_f32 v11, v12, v19, v23 op_sel_hi:[1,1,0]
	v_fma_mix_f32 v12, v12, v19, v22 op_sel:[1,0,0] op_sel_hi:[1,1,0]
	v_fma_mix_f32 v7, v13, v19, v7 op_sel:[0,1,0] op_sel_hi:[1,1,0]
	v_fma_mix_f32 v8, v13, v19, v8 op_sel:[1,1,0] op_sel_hi:[1,1,0]
	v_fma_mix_f32 v11, v14, v19, v11 op_sel:[0,1,0] op_sel_hi:[1,1,0]
	v_fma_mix_f32 v12, v14, v19, v12 op_sel:[1,1,0] op_sel_hi:[1,1,0]
	v_fma_mix_f32 v7, v15, v20, v7 op_sel_hi:[1,1,0]
	v_fma_mix_f32 v8, v15, v20, v8 op_sel:[1,0,0] op_sel_hi:[1,1,0]
	v_fma_mix_f32 v11, v16, v20, v11 op_sel_hi:[1,1,0]
	v_fma_mix_f32 v12, v16, v20, v12 op_sel:[1,0,0] op_sel_hi:[1,1,0]
	v_fma_mix_f32 v7, v17, v20, v7 op_sel:[0,1,0] op_sel_hi:[1,1,0]
	v_fma_mix_f32 v8, v17, v20, v8 op_sel:[1,1,0] op_sel_hi:[1,1,0]
	v_fma_mix_f32 v11, v18, v20, v11 op_sel:[0,1,0] op_sel_hi:[1,1,0]
	v_fma_mix_f32 v12, v18, v20, v12 op_sel:[1,1,0] op_sel_hi:[1,1,0]
	s_waitcnt vmcnt(3)
	v_fma_mix_f32 v7, v29, v53, v7 op_sel_hi:[1,1,0]
	v_fma_mix_f32 v8, v29, v53, v8 op_sel:[1,0,0] op_sel_hi:[1,1,0]
	v_fma_mix_f32 v11, v30, v53, v11 op_sel_hi:[1,1,0]
	v_fma_mix_f32 v12, v30, v53, v12 op_sel:[1,0,0] op_sel_hi:[1,1,0]
	v_fma_mix_f32 v7, v31, v53, v7 op_sel:[0,1,0] op_sel_hi:[1,1,0]
	v_fma_mix_f32 v8, v31, v53, v8 op_sel:[1,1,0] op_sel_hi:[1,1,0]
	v_fma_mix_f32 v11, v32, v53, v11 op_sel:[0,1,0] op_sel_hi:[1,1,0]
	v_fma_mix_f32 v12, v32, v53, v12 op_sel:[1,1,0] op_sel_hi:[1,1,0]
	v_fma_mix_f32 v7, v25, v54, v7 op_sel_hi:[1,1,0]
	v_fma_mix_f32 v8, v25, v54, v8 op_sel:[1,0,0] op_sel_hi:[1,1,0]
	v_fma_mix_f32 v11, v26, v54, v11 op_sel_hi:[1,1,0]
	v_fma_mix_f32 v12, v26, v54, v12 op_sel:[1,0,0] op_sel_hi:[1,1,0]
	v_fma_mix_f32 v7, v27, v54, v7 op_sel:[0,1,0] op_sel_hi:[1,1,0]
	v_fma_mix_f32 v8, v27, v54, v8 op_sel:[1,1,0] op_sel_hi:[1,1,0]
	v_fma_mix_f32 v11, v28, v54, v11 op_sel:[0,1,0] op_sel_hi:[1,1,0]
	v_fma_mix_f32 v12, v28, v54, v12 op_sel:[1,1,0] op_sel_hi:[1,1,0]
	;; [unrolled: 17-line block ×3, first 2 shown]
	s_waitcnt vmcnt(1)
	v_fma_mix_f32 v7, v41, v51, v7 op_sel_hi:[1,1,0]
	v_fma_mix_f32 v8, v41, v51, v8 op_sel:[1,0,0] op_sel_hi:[1,1,0]
	v_fma_mix_f32 v11, v42, v51, v11 op_sel_hi:[1,1,0]
	v_fma_mix_f32 v12, v42, v51, v12 op_sel:[1,0,0] op_sel_hi:[1,1,0]
	v_fma_mix_f32 v7, v43, v51, v7 op_sel:[0,1,0] op_sel_hi:[1,1,0]
	v_fma_mix_f32 v8, v43, v51, v8 op_sel:[1,1,0] op_sel_hi:[1,1,0]
	v_fma_mix_f32 v11, v44, v51, v11 op_sel:[0,1,0] op_sel_hi:[1,1,0]
	v_fma_mix_f32 v12, v44, v51, v12 op_sel:[1,1,0] op_sel_hi:[1,1,0]
	s_waitcnt vmcnt(0)
	v_fma_mix_f32 v7, v45, v52, v7 op_sel_hi:[1,1,0]
	v_fma_mix_f32 v13, v45, v52, v8 op_sel:[1,0,0] op_sel_hi:[1,1,0]
	v_fma_mix_f32 v11, v46, v52, v11 op_sel_hi:[1,1,0]
	v_fma_mix_f32 v12, v46, v52, v12 op_sel:[1,0,0] op_sel_hi:[1,1,0]
	v_fma_mix_f32 v8, v47, v52, v7 op_sel:[0,1,0] op_sel_hi:[1,1,0]
	;; [unrolled: 1-line block ×5, first 2 shown]
	s_andn2_b32 exec_lo, exec_lo, s3
	s_cbranch_execnz .LBB99_33
; %bb.34:
	s_or_b32 exec_lo, exec_lo, s3
.LBB99_35:
	s_or_b32 exec_lo, exec_lo, s0
.LBB99_36:
	s_or_b32 exec_lo, exec_lo, s1
.LBB99_37:
	v_mbcnt_lo_u32_b32 v0, -1, 0
	s_mov_b32 s3, -1
	v_or_b32_e32 v1, 32, v0
	v_xor_b32_e32 v6, 16, v0
	v_xor_b32_e32 v10, 8, v0
	v_cmp_gt_i32_e32 vcc_lo, 32, v1
	v_cndmask_b32_e32 v1, v0, v1, vcc_lo
	v_cmp_gt_i32_e32 vcc_lo, 32, v6
	v_lshlrev_b32_e32 v1, 2, v1
	v_cndmask_b32_e32 v6, v0, v6, vcc_lo
	v_cmp_gt_i32_e32 vcc_lo, 32, v10
	ds_bpermute_b32 v2, v1, v8
	ds_bpermute_b32 v3, v1, v24
	ds_bpermute_b32 v5, v1, v23
	ds_bpermute_b32 v1, v1, v22
	v_lshlrev_b32_e32 v6, 2, v6
	v_cndmask_b32_e32 v10, v0, v10, vcc_lo
	v_lshlrev_b32_e32 v10, 2, v10
	s_waitcnt lgkmcnt(3)
	v_add_f32_e32 v2, v8, v2
	s_waitcnt lgkmcnt(2)
	v_add_f32_e32 v3, v24, v3
	;; [unrolled: 2-line block ×4, first 2 shown]
	ds_bpermute_b32 v7, v6, v2
	ds_bpermute_b32 v8, v6, v3
	ds_bpermute_b32 v9, v6, v5
	ds_bpermute_b32 v6, v6, v1
	s_waitcnt lgkmcnt(3)
	v_add_f32_e32 v2, v2, v7
	s_waitcnt lgkmcnt(2)
	v_add_f32_e32 v3, v3, v8
	;; [unrolled: 2-line block ×4, first 2 shown]
	ds_bpermute_b32 v6, v10, v2
	ds_bpermute_b32 v7, v10, v3
	;; [unrolled: 1-line block ×4, first 2 shown]
	v_xor_b32_e32 v10, 4, v0
	v_cmp_gt_i32_e32 vcc_lo, 32, v10
	v_cndmask_b32_e32 v10, v0, v10, vcc_lo
	v_lshlrev_b32_e32 v10, 2, v10
	s_waitcnt lgkmcnt(3)
	v_add_f32_e32 v2, v2, v6
	s_waitcnt lgkmcnt(2)
	v_add_f32_e32 v3, v3, v7
	;; [unrolled: 2-line block ×4, first 2 shown]
	ds_bpermute_b32 v6, v10, v2
	ds_bpermute_b32 v7, v10, v3
	;; [unrolled: 1-line block ×4, first 2 shown]
	v_xor_b32_e32 v10, 2, v0
	v_cmp_gt_i32_e32 vcc_lo, 32, v10
	v_cndmask_b32_e32 v10, v0, v10, vcc_lo
	v_lshlrev_b32_e32 v10, 2, v10
	s_waitcnt lgkmcnt(3)
	v_add_f32_e32 v2, v2, v6
	s_waitcnt lgkmcnt(2)
	v_add_f32_e32 v3, v3, v7
	;; [unrolled: 2-line block ×4, first 2 shown]
	ds_bpermute_b32 v1, v10, v2
	ds_bpermute_b32 v7, v10, v3
	;; [unrolled: 1-line block ×4, first 2 shown]
	v_xor_b32_e32 v10, 1, v0
	v_cmp_gt_i32_e32 vcc_lo, 32, v10
	v_cndmask_b32_e32 v0, v0, v10, vcc_lo
	v_cmp_eq_u32_e32 vcc_lo, 63, v21
	v_lshlrev_b32_e32 v10, 2, v0
	s_waitcnt lgkmcnt(3)
	v_add_f32_e32 v0, v2, v1
	s_waitcnt lgkmcnt(2)
	v_add_f32_e32 v1, v3, v7
	;; [unrolled: 2-line block ×4, first 2 shown]
	ds_bpermute_b32 v5, v10, v0
	ds_bpermute_b32 v6, v10, v1
	ds_bpermute_b32 v7, v10, v2
	ds_bpermute_b32 v8, v10, v3
	s_and_b32 exec_lo, exec_lo, vcc_lo
	s_cbranch_execz .LBB99_10
; %bb.38:
	s_load_dwordx2 s[0:1], s[4:5], 0x50
	s_waitcnt lgkmcnt(0)
	v_add_f32_e32 v0, v0, v5
	v_add_f32_e32 v1, v1, v6
	;; [unrolled: 1-line block ×4, first 2 shown]
	v_cmp_eq_f32_e64 s4, s2, 0
	v_mul_f32_e32 v0, s16, v0
	v_mul_f32_e32 v1, s16, v1
	;; [unrolled: 1-line block ×4, first 2 shown]
	v_lshlrev_b32_e32 v4, 2, v4
	s_and_b32 vcc_lo, exec_lo, s4
	s_cbranch_vccz .LBB99_40
; %bb.39:
	v_ashrrev_i32_e32 v5, 31, v4
	s_mov_b32 s3, 0
	v_lshlrev_b64 v[5:6], 2, v[4:5]
	v_add_co_u32 v5, vcc_lo, s0, v5
	v_add_co_ci_u32_e64 v6, null, s1, v6, vcc_lo
	global_store_dwordx4 v[5:6], v[0:3], off
.LBB99_40:
	s_andn2_b32 vcc_lo, exec_lo, s3
	s_cbranch_vccnz .LBB99_10
; %bb.41:
	v_ashrrev_i32_e32 v5, 31, v4
	v_lshlrev_b64 v[4:5], 2, v[4:5]
	v_add_co_u32 v8, vcc_lo, s0, v4
	v_add_co_ci_u32_e64 v9, null, s1, v5, vcc_lo
	global_load_dwordx4 v[4:7], v[8:9], off
	s_waitcnt vmcnt(0)
	v_fmac_f32_e32 v0, s2, v4
	v_fmac_f32_e32 v1, s2, v5
	;; [unrolled: 1-line block ×4, first 2 shown]
	global_store_dwordx4 v[8:9], v[0:3], off
	s_endpgm
	.section	.rodata,"a",@progbits
	.p2align	6, 0x0
	.amdhsa_kernel _ZN9rocsparseL18bsrxmvn_4x4_kernelILj128ELj64EfliDF16_DF16_fEEvT3_20rocsparse_direction_NS_24const_host_device_scalarIT1_EES1_PKS1_PKT2_SA_S7_PKT4_PKT5_S5_PT6_21rocsparse_index_base_b
		.amdhsa_group_segment_fixed_size 0
		.amdhsa_private_segment_fixed_size 0
		.amdhsa_kernarg_size 96
		.amdhsa_user_sgpr_count 6
		.amdhsa_user_sgpr_private_segment_buffer 1
		.amdhsa_user_sgpr_dispatch_ptr 0
		.amdhsa_user_sgpr_queue_ptr 0
		.amdhsa_user_sgpr_kernarg_segment_ptr 1
		.amdhsa_user_sgpr_dispatch_id 0
		.amdhsa_user_sgpr_flat_scratch_init 0
		.amdhsa_user_sgpr_private_segment_size 0
		.amdhsa_wavefront_size32 1
		.amdhsa_uses_dynamic_stack 0
		.amdhsa_system_sgpr_private_segment_wavefront_offset 0
		.amdhsa_system_sgpr_workgroup_id_x 1
		.amdhsa_system_sgpr_workgroup_id_y 0
		.amdhsa_system_sgpr_workgroup_id_z 0
		.amdhsa_system_sgpr_workgroup_info 0
		.amdhsa_system_vgpr_workitem_id 0
		.amdhsa_next_free_vgpr 61
		.amdhsa_next_free_sgpr 20
		.amdhsa_reserve_vcc 1
		.amdhsa_reserve_flat_scratch 0
		.amdhsa_float_round_mode_32 0
		.amdhsa_float_round_mode_16_64 0
		.amdhsa_float_denorm_mode_32 3
		.amdhsa_float_denorm_mode_16_64 3
		.amdhsa_dx10_clamp 1
		.amdhsa_ieee_mode 1
		.amdhsa_fp16_overflow 0
		.amdhsa_workgroup_processor_mode 1
		.amdhsa_memory_ordered 1
		.amdhsa_forward_progress 1
		.amdhsa_shared_vgpr_count 0
		.amdhsa_exception_fp_ieee_invalid_op 0
		.amdhsa_exception_fp_denorm_src 0
		.amdhsa_exception_fp_ieee_div_zero 0
		.amdhsa_exception_fp_ieee_overflow 0
		.amdhsa_exception_fp_ieee_underflow 0
		.amdhsa_exception_fp_ieee_inexact 0
		.amdhsa_exception_int_div_zero 0
	.end_amdhsa_kernel
	.section	.text._ZN9rocsparseL18bsrxmvn_4x4_kernelILj128ELj64EfliDF16_DF16_fEEvT3_20rocsparse_direction_NS_24const_host_device_scalarIT1_EES1_PKS1_PKT2_SA_S7_PKT4_PKT5_S5_PT6_21rocsparse_index_base_b,"axG",@progbits,_ZN9rocsparseL18bsrxmvn_4x4_kernelILj128ELj64EfliDF16_DF16_fEEvT3_20rocsparse_direction_NS_24const_host_device_scalarIT1_EES1_PKS1_PKT2_SA_S7_PKT4_PKT5_S5_PT6_21rocsparse_index_base_b,comdat
.Lfunc_end99:
	.size	_ZN9rocsparseL18bsrxmvn_4x4_kernelILj128ELj64EfliDF16_DF16_fEEvT3_20rocsparse_direction_NS_24const_host_device_scalarIT1_EES1_PKS1_PKT2_SA_S7_PKT4_PKT5_S5_PT6_21rocsparse_index_base_b, .Lfunc_end99-_ZN9rocsparseL18bsrxmvn_4x4_kernelILj128ELj64EfliDF16_DF16_fEEvT3_20rocsparse_direction_NS_24const_host_device_scalarIT1_EES1_PKS1_PKT2_SA_S7_PKT4_PKT5_S5_PT6_21rocsparse_index_base_b
                                        ; -- End function
	.set _ZN9rocsparseL18bsrxmvn_4x4_kernelILj128ELj64EfliDF16_DF16_fEEvT3_20rocsparse_direction_NS_24const_host_device_scalarIT1_EES1_PKS1_PKT2_SA_S7_PKT4_PKT5_S5_PT6_21rocsparse_index_base_b.num_vgpr, 61
	.set _ZN9rocsparseL18bsrxmvn_4x4_kernelILj128ELj64EfliDF16_DF16_fEEvT3_20rocsparse_direction_NS_24const_host_device_scalarIT1_EES1_PKS1_PKT2_SA_S7_PKT4_PKT5_S5_PT6_21rocsparse_index_base_b.num_agpr, 0
	.set _ZN9rocsparseL18bsrxmvn_4x4_kernelILj128ELj64EfliDF16_DF16_fEEvT3_20rocsparse_direction_NS_24const_host_device_scalarIT1_EES1_PKS1_PKT2_SA_S7_PKT4_PKT5_S5_PT6_21rocsparse_index_base_b.numbered_sgpr, 20
	.set _ZN9rocsparseL18bsrxmvn_4x4_kernelILj128ELj64EfliDF16_DF16_fEEvT3_20rocsparse_direction_NS_24const_host_device_scalarIT1_EES1_PKS1_PKT2_SA_S7_PKT4_PKT5_S5_PT6_21rocsparse_index_base_b.num_named_barrier, 0
	.set _ZN9rocsparseL18bsrxmvn_4x4_kernelILj128ELj64EfliDF16_DF16_fEEvT3_20rocsparse_direction_NS_24const_host_device_scalarIT1_EES1_PKS1_PKT2_SA_S7_PKT4_PKT5_S5_PT6_21rocsparse_index_base_b.private_seg_size, 0
	.set _ZN9rocsparseL18bsrxmvn_4x4_kernelILj128ELj64EfliDF16_DF16_fEEvT3_20rocsparse_direction_NS_24const_host_device_scalarIT1_EES1_PKS1_PKT2_SA_S7_PKT4_PKT5_S5_PT6_21rocsparse_index_base_b.uses_vcc, 1
	.set _ZN9rocsparseL18bsrxmvn_4x4_kernelILj128ELj64EfliDF16_DF16_fEEvT3_20rocsparse_direction_NS_24const_host_device_scalarIT1_EES1_PKS1_PKT2_SA_S7_PKT4_PKT5_S5_PT6_21rocsparse_index_base_b.uses_flat_scratch, 0
	.set _ZN9rocsparseL18bsrxmvn_4x4_kernelILj128ELj64EfliDF16_DF16_fEEvT3_20rocsparse_direction_NS_24const_host_device_scalarIT1_EES1_PKS1_PKT2_SA_S7_PKT4_PKT5_S5_PT6_21rocsparse_index_base_b.has_dyn_sized_stack, 0
	.set _ZN9rocsparseL18bsrxmvn_4x4_kernelILj128ELj64EfliDF16_DF16_fEEvT3_20rocsparse_direction_NS_24const_host_device_scalarIT1_EES1_PKS1_PKT2_SA_S7_PKT4_PKT5_S5_PT6_21rocsparse_index_base_b.has_recursion, 0
	.set _ZN9rocsparseL18bsrxmvn_4x4_kernelILj128ELj64EfliDF16_DF16_fEEvT3_20rocsparse_direction_NS_24const_host_device_scalarIT1_EES1_PKS1_PKT2_SA_S7_PKT4_PKT5_S5_PT6_21rocsparse_index_base_b.has_indirect_call, 0
	.section	.AMDGPU.csdata,"",@progbits
; Kernel info:
; codeLenInByte = 4416
; TotalNumSgprs: 22
; NumVgprs: 61
; ScratchSize: 0
; MemoryBound: 0
; FloatMode: 240
; IeeeMode: 1
; LDSByteSize: 0 bytes/workgroup (compile time only)
; SGPRBlocks: 0
; VGPRBlocks: 7
; NumSGPRsForWavesPerEU: 22
; NumVGPRsForWavesPerEU: 61
; Occupancy: 16
; WaveLimiterHint : 1
; COMPUTE_PGM_RSRC2:SCRATCH_EN: 0
; COMPUTE_PGM_RSRC2:USER_SGPR: 6
; COMPUTE_PGM_RSRC2:TRAP_HANDLER: 0
; COMPUTE_PGM_RSRC2:TGID_X_EN: 1
; COMPUTE_PGM_RSRC2:TGID_Y_EN: 0
; COMPUTE_PGM_RSRC2:TGID_Z_EN: 0
; COMPUTE_PGM_RSRC2:TIDIG_COMP_CNT: 0
	.section	.text._ZN9rocsparseL18bsrxmvn_4x4_kernelILj128ELj4EfllDF16_DF16_fEEvT3_20rocsparse_direction_NS_24const_host_device_scalarIT1_EES1_PKS1_PKT2_SA_S7_PKT4_PKT5_S5_PT6_21rocsparse_index_base_b,"axG",@progbits,_ZN9rocsparseL18bsrxmvn_4x4_kernelILj128ELj4EfllDF16_DF16_fEEvT3_20rocsparse_direction_NS_24const_host_device_scalarIT1_EES1_PKS1_PKT2_SA_S7_PKT4_PKT5_S5_PT6_21rocsparse_index_base_b,comdat
	.globl	_ZN9rocsparseL18bsrxmvn_4x4_kernelILj128ELj4EfllDF16_DF16_fEEvT3_20rocsparse_direction_NS_24const_host_device_scalarIT1_EES1_PKS1_PKT2_SA_S7_PKT4_PKT5_S5_PT6_21rocsparse_index_base_b ; -- Begin function _ZN9rocsparseL18bsrxmvn_4x4_kernelILj128ELj4EfllDF16_DF16_fEEvT3_20rocsparse_direction_NS_24const_host_device_scalarIT1_EES1_PKS1_PKT2_SA_S7_PKT4_PKT5_S5_PT6_21rocsparse_index_base_b
	.p2align	8
	.type	_ZN9rocsparseL18bsrxmvn_4x4_kernelILj128ELj4EfllDF16_DF16_fEEvT3_20rocsparse_direction_NS_24const_host_device_scalarIT1_EES1_PKS1_PKT2_SA_S7_PKT4_PKT5_S5_PT6_21rocsparse_index_base_b,@function
_ZN9rocsparseL18bsrxmvn_4x4_kernelILj128ELj4EfllDF16_DF16_fEEvT3_20rocsparse_direction_NS_24const_host_device_scalarIT1_EES1_PKS1_PKT2_SA_S7_PKT4_PKT5_S5_PT6_21rocsparse_index_base_b: ; @_ZN9rocsparseL18bsrxmvn_4x4_kernelILj128ELj4EfllDF16_DF16_fEEvT3_20rocsparse_direction_NS_24const_host_device_scalarIT1_EES1_PKS1_PKT2_SA_S7_PKT4_PKT5_S5_PT6_21rocsparse_index_base_b
; %bb.0:
	s_clause 0x2
	s_load_dwordx2 s[0:1], s[4:5], 0x60
	s_load_dwordx4 s[16:19], s[4:5], 0x10
	s_load_dwordx2 s[2:3], s[4:5], 0x50
	s_waitcnt lgkmcnt(0)
	s_bitcmp1_b32 s1, 0
	s_cselect_b32 s1, -1, 0
	s_and_b32 vcc_lo, exec_lo, s1
	s_xor_b32 s1, s1, -1
	s_cbranch_vccnz .LBB100_2
; %bb.1:
	s_load_dword s16, s[16:17], 0x0
.LBB100_2:
	s_andn2_b32 vcc_lo, exec_lo, s1
	s_cbranch_vccnz .LBB100_4
; %bb.3:
	s_load_dword s2, s[2:3], 0x0
.LBB100_4:
	s_waitcnt lgkmcnt(0)
	v_cmp_neq_f32_e64 s1, s16, 0
	v_cmp_neq_f32_e64 s3, s2, 1.0
	s_or_b32 s1, s1, s3
	s_mov_b32 s3, 0
	s_andn2_b32 vcc_lo, exec_lo, s1
	s_cbranch_vccnz .LBB100_10
; %bb.5:
	s_load_dwordx2 s[8:9], s[4:5], 0x20
	v_lshrrev_b32_e32 v1, 2, v0
	v_mov_b32_e32 v6, 0
	v_lshl_or_b32 v5, s6, 5, v1
	s_waitcnt lgkmcnt(0)
	s_cmp_lg_u64 s[8:9], 0
	s_cbranch_scc0 .LBB100_11
; %bb.6:
	s_mov_b32 s6, 0
                                        ; implicit-def: $vgpr3_vgpr4
                                        ; implicit-def: $vgpr1_vgpr2
	s_mov_b32 s1, exec_lo
	v_cmpx_gt_i64_e64 s[18:19], v[5:6]
	s_xor_b32 s7, exec_lo, s1
	s_cbranch_execz .LBB100_8
; %bb.7:
	v_lshlrev_b64 v[1:2], 3, v[5:6]
	s_mov_b32 s1, 0
	s_mov_b32 s3, exec_lo
	v_add_co_u32 v1, vcc_lo, s8, v1
	v_add_co_ci_u32_e64 v2, null, s9, v2, vcc_lo
	global_load_dwordx2 v[1:2], v[1:2], off
	s_waitcnt vmcnt(0)
	v_sub_co_u32 v3, vcc_lo, v1, s0
	v_subrev_co_ci_u32_e64 v4, null, 0, v2, vcc_lo
	v_mov_b32_e32 v2, s1
	v_mov_b32_e32 v1, s0
.LBB100_8:
	s_or_b32 exec_lo, exec_lo, s7
	s_and_b32 vcc_lo, exec_lo, s6
	s_cbranch_vccnz .LBB100_12
.LBB100_9:
	s_and_saveexec_b32 s0, s3
	s_cbranch_execnz .LBB100_15
.LBB100_10:
	s_endpgm
.LBB100_11:
                                        ; implicit-def: $vgpr3_vgpr4
                                        ; implicit-def: $vgpr1_vgpr2
	s_cbranch_execz .LBB100_9
.LBB100_12:
	s_load_dwordx2 s[6:7], s[4:5], 0x0
	s_waitcnt lgkmcnt(0)
	v_cmp_gt_i64_e32 vcc_lo, s[6:7], v[5:6]
	s_and_saveexec_b32 s6, vcc_lo
; %bb.13:
	s_mov_b32 s1, 0
	s_or_b32 s3, s3, exec_lo
; %bb.14:
	s_or_b32 exec_lo, exec_lo, s6
	v_mov_b32_e32 v2, s1
	v_mov_b32_e32 v3, v5
	;; [unrolled: 1-line block ×4, first 2 shown]
	s_and_saveexec_b32 s0, s3
	s_cbranch_execz .LBB100_10
.LBB100_15:
	s_load_dwordx8 s[8:15], s[4:5], 0x28
	v_lshlrev_b64 v[5:6], 3, v[3:4]
	v_and_b32_e32 v0, 3, v0
	s_clause 0x1
	s_load_dword s1, s[4:5], 0x8
	s_load_dwordx2 s[6:7], s[4:5], 0x48
	v_mov_b32_e32 v25, 0
	s_waitcnt lgkmcnt(0)
	v_add_co_u32 v7, vcc_lo, s8, v5
	v_add_co_ci_u32_e64 v8, null, s9, v6, vcc_lo
	v_add_co_u32 v5, vcc_lo, s10, v5
	v_add_co_ci_u32_e64 v6, null, s11, v6, vcc_lo
	v_add_co_u32 v9, vcc_lo, v7, 8
	global_load_dwordx2 v[13:14], v[7:8], off
	v_add_co_ci_u32_e64 v10, null, 0, v8, vcc_lo
	s_cmp_eq_u64 s[10:11], 0
	s_cselect_b32 vcc_lo, -1, 0
	s_cmp_eq_u32 s1, 1
	v_cndmask_b32_e32 v6, v6, v10, vcc_lo
	v_cndmask_b32_e32 v5, v5, v9, vcc_lo
	global_load_dwordx2 v[7:8], v[5:6], off
	s_waitcnt vmcnt(1)
	v_sub_co_u32 v5, vcc_lo, v13, v1
	v_sub_co_ci_u32_e64 v6, null, v14, v2, vcc_lo
	v_add_co_u32 v5, vcc_lo, v5, v0
	v_add_co_ci_u32_e64 v6, null, 0, v6, vcc_lo
	v_lshlrev_b64 v[9:10], 5, v[5:6]
	s_waitcnt vmcnt(0)
	v_sub_co_u32 v7, vcc_lo, v7, v1
	v_sub_co_ci_u32_e64 v8, null, v8, v2, vcc_lo
	v_add_co_u32 v9, vcc_lo, s14, v9
	v_cmp_lt_i64_e64 s0, v[5:6], v[7:8]
	v_add_co_ci_u32_e64 v10, null, s15, v10, vcc_lo
	s_cbranch_scc1 .LBB100_27
; %bb.16:
	v_mov_b32_e32 v26, 0
	v_mov_b32_e32 v27, 0
	v_mov_b32_e32 v12, 0
	s_and_saveexec_b32 s3, s0
	s_cbranch_execz .LBB100_26
; %bb.17:
	v_or_b32_e32 v11, 4, v0
	v_not_b32_e32 v16, v13
	v_sub_co_u32 v17, s1, v1, v0
	v_not_b32_e32 v15, v14
	v_sub_co_u32 v11, vcc_lo, v11, v1
	v_sub_co_ci_u32_e64 v12, null, 0, v2, vcc_lo
	v_subrev_co_ci_u32_e64 v18, null, 0, v2, s1
	v_add_co_u32 v11, vcc_lo, v11, v13
	v_add_co_ci_u32_e64 v12, null, v12, v14, vcc_lo
	s_mov_b32 s1, exec_lo
	v_cmp_gt_i64_e32 vcc_lo, v[11:12], v[7:8]
	v_cndmask_b32_e32 v20, v8, v12, vcc_lo
	v_cndmask_b32_e32 v11, v7, v11, vcc_lo
	v_add_co_u32 v12, vcc_lo, v17, v16
	v_add_co_ci_u32_e64 v15, null, v18, v15, vcc_lo
	v_mov_b32_e32 v18, v10
	v_add_co_u32 v19, vcc_lo, v12, v11
	v_mov_b32_e32 v12, 0
	v_add_co_ci_u32_e64 v20, null, v15, v20, vcc_lo
	v_mov_b32_e32 v16, v6
	v_and_b32_e32 v11, 12, v19
	v_mov_b32_e32 v27, v12
	v_mov_b32_e32 v26, v12
	;; [unrolled: 1-line block ×5, first 2 shown]
	v_cmpx_ne_u64_e32 12, v[11:12]
	s_cbranch_execz .LBB100_21
; %bb.18:
	v_lshrrev_b32_e32 v11, 2, v19
	v_mov_b32_e32 v18, v10
	v_mov_b32_e32 v16, v6
	;; [unrolled: 1-line block ×4, first 2 shown]
	v_add_nc_u32_e32 v21, 1, v11
	v_lshlrev_b64 v[11:12], 3, v[5:6]
	v_mov_b32_e32 v15, v5
	v_mov_b32_e32 v26, 0
	;; [unrolled: 1-line block ×3, first 2 shown]
	v_and_b32_e32 v23, 3, v21
	v_add_co_u32 v21, vcc_lo, s12, v11
	v_add_co_ci_u32_e64 v22, null, s13, v12, vcc_lo
	v_sub_co_u32 v23, s8, 0, v23
	v_sub_co_ci_u32_e64 v24, null, 0, 0, s8
	v_mov_b32_e32 v12, 0
	s_mov_b32 s8, 0
.LBB100_19:                             ; =>This Inner Loop Header: Depth=1
	global_load_dwordx2 v[36:37], v[21:22], off
	s_clause 0x1
	global_load_dwordx4 v[28:31], v[17:18], off
	global_load_dwordx4 v[32:35], v[17:18], off offset:16
	s_waitcnt vmcnt(2)
	v_sub_co_u32 v36, vcc_lo, v36, v1
	v_sub_co_ci_u32_e64 v37, null, v37, v2, vcc_lo
	v_lshlrev_b64 v[36:37], 3, v[36:37]
	v_add_co_u32 v36, vcc_lo, s6, v36
	v_add_co_ci_u32_e64 v37, null, s7, v37, vcc_lo
	v_add_co_u32 v17, vcc_lo, 0x80, v17
	v_add_co_ci_u32_e64 v18, null, 0, v18, vcc_lo
	global_load_dwordx2 v[36:37], v[36:37], off
	v_add_co_u32 v15, vcc_lo, v15, 4
	v_add_co_ci_u32_e64 v16, null, 0, v16, vcc_lo
	v_add_co_u32 v21, vcc_lo, v21, 32
	v_add_co_ci_u32_e64 v22, null, 0, v22, vcc_lo
	v_add_co_u32 v23, vcc_lo, v23, 1
	v_add_co_ci_u32_e64 v24, null, 0, v24, vcc_lo
	v_cmp_eq_u64_e32 vcc_lo, 0, v[23:24]
	s_or_b32 s8, vcc_lo, s8
	s_waitcnt vmcnt(0)
	v_fma_mix_f32 v11, v28, v36, v12 op_sel_hi:[1,1,0]
	v_fma_mix_f32 v12, v30, v36, v27 op_sel_hi:[1,1,0]
	;; [unrolled: 1-line block ×4, first 2 shown]
	v_fma_mix_f32 v11, v28, v36, v11 op_sel:[1,1,0] op_sel_hi:[1,1,0]
	v_fma_mix_f32 v12, v30, v36, v12 op_sel:[1,1,0] op_sel_hi:[1,1,0]
	;; [unrolled: 1-line block ×4, first 2 shown]
	v_fma_mix_f32 v11, v29, v37, v11 op_sel_hi:[1,1,0]
	v_fma_mix_f32 v27, v31, v37, v12 op_sel_hi:[1,1,0]
	v_fma_mix_f32 v26, v33, v37, v26 op_sel_hi:[1,1,0]
	v_fma_mix_f32 v25, v35, v37, v25 op_sel_hi:[1,1,0]
	v_fma_mix_f32 v12, v29, v37, v11 op_sel:[1,1,0] op_sel_hi:[1,1,0]
	v_fma_mix_f32 v27, v31, v37, v27 op_sel:[1,1,0] op_sel_hi:[1,1,0]
	;; [unrolled: 1-line block ×4, first 2 shown]
	s_andn2_b32 exec_lo, exec_lo, s8
	s_cbranch_execnz .LBB100_19
; %bb.20:
	s_or_b32 exec_lo, exec_lo, s8
.LBB100_21:
	s_or_b32 exec_lo, exec_lo, s1
	s_mov_b32 s8, exec_lo
	v_cmpx_lt_u64_e32 11, v[19:20]
	s_cbranch_execz .LBB100_25
; %bb.22:
	v_lshlrev_b64 v[19:20], 3, v[15:16]
	s_mov_b32 s9, 0
	v_add_co_u32 v11, vcc_lo, s12, v19
	v_add_co_ci_u32_e64 v20, null, s13, v20, vcc_lo
	v_add_co_u32 v19, vcc_lo, v11, 64
	v_add_co_ci_u32_e64 v20, null, 0, v20, vcc_lo
.LBB100_23:                             ; =>This Inner Loop Header: Depth=1
	s_clause 0x3
	global_load_dwordx2 v[56:57], v[19:20], off offset:-64
	global_load_dwordx2 v[58:59], v[19:20], off offset:-32
	global_load_dwordx2 v[60:61], v[19:20], off
	global_load_dwordx2 v[62:63], v[19:20], off offset:32
	s_clause 0x7
	global_load_dwordx4 v[21:24], v[17:18], off
	global_load_dwordx4 v[28:31], v[17:18], off offset:16
	global_load_dwordx4 v[32:35], v[17:18], off offset:128
	;; [unrolled: 1-line block ×7, first 2 shown]
	s_waitcnt vmcnt(11)
	v_sub_co_u32 v56, vcc_lo, v56, v1
	v_sub_co_ci_u32_e64 v57, null, v57, v2, vcc_lo
	s_waitcnt vmcnt(10)
	v_sub_co_u32 v58, vcc_lo, v58, v1
	v_sub_co_ci_u32_e64 v59, null, v59, v2, vcc_lo
	v_lshlrev_b64 v[56:57], 3, v[56:57]
	s_waitcnt vmcnt(9)
	v_sub_co_u32 v60, vcc_lo, v60, v1
	v_lshlrev_b64 v[58:59], 3, v[58:59]
	v_sub_co_ci_u32_e64 v61, null, v61, v2, vcc_lo
	v_add_co_u32 v56, s1, s6, v56
	v_add_co_ci_u32_e64 v57, null, s7, v57, s1
	v_add_co_u32 v58, vcc_lo, s6, v58
	v_add_co_ci_u32_e64 v59, null, s7, v59, vcc_lo
	global_load_dwordx2 v[56:57], v[56:57], off
	v_lshlrev_b64 v[60:61], 3, v[60:61]
	s_waitcnt vmcnt(9)
	v_sub_co_u32 v62, vcc_lo, v62, v1
	global_load_dwordx2 v[58:59], v[58:59], off
	v_sub_co_ci_u32_e64 v63, null, v63, v2, vcc_lo
	v_add_co_u32 v60, s1, s6, v60
	v_add_co_ci_u32_e64 v61, null, s7, v61, s1
	v_lshlrev_b64 v[62:63], 3, v[62:63]
	v_add_co_u32 v17, s1, 0x200, v17
	global_load_dwordx2 v[60:61], v[60:61], off
	v_add_co_ci_u32_e64 v18, null, 0, v18, s1
	v_add_co_u32 v62, vcc_lo, s6, v62
	v_add_co_ci_u32_e64 v63, null, s7, v63, vcc_lo
	v_add_co_u32 v15, s1, v15, 16
	v_add_co_ci_u32_e64 v16, null, 0, v16, s1
	global_load_dwordx2 v[62:63], v[62:63], off
	v_add_co_u32 v19, vcc_lo, 0x80, v19
	v_add_co_ci_u32_e64 v20, null, 0, v20, vcc_lo
	v_cmp_ge_i64_e32 vcc_lo, v[15:16], v[7:8]
	s_or_b32 s9, vcc_lo, s9
	s_waitcnt vmcnt(3)
	v_fma_mix_f32 v11, v21, v56, v12 op_sel_hi:[1,1,0]
	v_fma_mix_f32 v12, v23, v56, v27 op_sel_hi:[1,1,0]
	v_fma_mix_f32 v26, v28, v56, v26 op_sel_hi:[1,1,0]
	v_fma_mix_f32 v25, v30, v56, v25 op_sel_hi:[1,1,0]
	v_fma_mix_f32 v11, v21, v56, v11 op_sel:[1,1,0] op_sel_hi:[1,1,0]
	v_fma_mix_f32 v12, v23, v56, v12 op_sel:[1,1,0] op_sel_hi:[1,1,0]
	v_fma_mix_f32 v21, v28, v56, v26 op_sel:[1,1,0] op_sel_hi:[1,1,0]
	v_fma_mix_f32 v23, v30, v56, v25 op_sel:[1,1,0] op_sel_hi:[1,1,0]
	v_fma_mix_f32 v11, v22, v57, v11 op_sel_hi:[1,1,0]
	v_fma_mix_f32 v12, v24, v57, v12 op_sel_hi:[1,1,0]
	v_fma_mix_f32 v21, v29, v57, v21 op_sel_hi:[1,1,0]
	v_fma_mix_f32 v23, v31, v57, v23 op_sel_hi:[1,1,0]
	v_fma_mix_f32 v11, v22, v57, v11 op_sel:[1,1,0] op_sel_hi:[1,1,0]
	v_fma_mix_f32 v12, v24, v57, v12 op_sel:[1,1,0] op_sel_hi:[1,1,0]
	v_fma_mix_f32 v21, v29, v57, v21 op_sel:[1,1,0] op_sel_hi:[1,1,0]
	v_fma_mix_f32 v22, v31, v57, v23 op_sel:[1,1,0] op_sel_hi:[1,1,0]
	s_waitcnt vmcnt(2)
	v_fma_mix_f32 v11, v32, v58, v11 op_sel_hi:[1,1,0]
	v_fma_mix_f32 v12, v34, v58, v12 op_sel_hi:[1,1,0]
	v_fma_mix_f32 v21, v36, v58, v21 op_sel_hi:[1,1,0]
	v_fma_mix_f32 v22, v38, v58, v22 op_sel_hi:[1,1,0]
	v_fma_mix_f32 v11, v32, v58, v11 op_sel:[1,1,0] op_sel_hi:[1,1,0]
	v_fma_mix_f32 v12, v34, v58, v12 op_sel:[1,1,0] op_sel_hi:[1,1,0]
	v_fma_mix_f32 v21, v36, v58, v21 op_sel:[1,1,0] op_sel_hi:[1,1,0]
	v_fma_mix_f32 v22, v38, v58, v22 op_sel:[1,1,0] op_sel_hi:[1,1,0]
	v_fma_mix_f32 v11, v33, v59, v11 op_sel_hi:[1,1,0]
	v_fma_mix_f32 v12, v35, v59, v12 op_sel_hi:[1,1,0]
	v_fma_mix_f32 v21, v37, v59, v21 op_sel_hi:[1,1,0]
	v_fma_mix_f32 v22, v39, v59, v22 op_sel_hi:[1,1,0]
	v_fma_mix_f32 v11, v33, v59, v11 op_sel:[1,1,0] op_sel_hi:[1,1,0]
	v_fma_mix_f32 v12, v35, v59, v12 op_sel:[1,1,0] op_sel_hi:[1,1,0]
	v_fma_mix_f32 v21, v37, v59, v21 op_sel:[1,1,0] op_sel_hi:[1,1,0]
	v_fma_mix_f32 v22, v39, v59, v22 op_sel:[1,1,0] op_sel_hi:[1,1,0]
	;; [unrolled: 17-line block ×4, first 2 shown]
	s_andn2_b32 exec_lo, exec_lo, s9
	s_cbranch_execnz .LBB100_23
; %bb.24:
	s_or_b32 exec_lo, exec_lo, s9
.LBB100_25:
	s_or_b32 exec_lo, exec_lo, s8
.LBB100_26:
	s_or_b32 exec_lo, exec_lo, s3
	s_cbranch_execz .LBB100_28
	s_branch .LBB100_39
.LBB100_27:
                                        ; implicit-def: $vgpr25
                                        ; implicit-def: $vgpr26
                                        ; implicit-def: $vgpr27
                                        ; implicit-def: $vgpr12
.LBB100_28:
	v_mov_b32_e32 v25, 0
	v_mov_b32_e32 v26, 0
	;; [unrolled: 1-line block ×4, first 2 shown]
	s_and_saveexec_b32 s1, s0
	s_cbranch_execz .LBB100_38
; %bb.29:
	v_or_b32_e32 v11, 4, v0
	v_sub_co_u32 v15, s0, v1, v0
	v_subrev_co_ci_u32_e64 v16, null, 0, v2, s0
	v_sub_co_u32 v11, vcc_lo, v11, v1
	v_sub_co_ci_u32_e64 v12, null, 0, v2, vcc_lo
	s_mov_b32 s0, exec_lo
	v_add_co_u32 v11, vcc_lo, v11, v13
	v_add_co_ci_u32_e64 v12, null, v12, v14, vcc_lo
	v_not_b32_e32 v13, v13
	v_not_b32_e32 v14, v14
	v_cmp_gt_i64_e32 vcc_lo, v[11:12], v[7:8]
	v_cndmask_b32_e32 v17, v8, v12, vcc_lo
	v_cndmask_b32_e32 v11, v7, v11, vcc_lo
	v_add_co_u32 v12, vcc_lo, v15, v13
	v_add_co_ci_u32_e64 v14, null, v16, v14, vcc_lo
	v_add_co_u32 v13, vcc_lo, v12, v11
	v_mov_b32_e32 v12, 0
	v_add_co_ci_u32_e64 v14, null, v14, v17, vcc_lo
	v_and_b32_e32 v11, 12, v13
	v_mov_b32_e32 v27, v12
	v_mov_b32_e32 v26, v12
	;; [unrolled: 1-line block ×3, first 2 shown]
	v_cmpx_ne_u64_e32 12, v[11:12]
	s_cbranch_execz .LBB100_33
; %bb.30:
	v_lshrrev_b32_e32 v11, 2, v13
	v_mov_b32_e32 v25, 0
	v_mov_b32_e32 v26, 0
	v_mov_b32_e32 v27, 0
	v_add_nc_u32_e32 v15, 1, v11
	v_lshlrev_b64 v[11:12], 3, v[5:6]
	v_and_b32_e32 v17, 3, v15
	v_add_co_u32 v15, vcc_lo, s12, v11
	v_add_co_ci_u32_e64 v16, null, s13, v12, vcc_lo
	v_sub_co_u32 v17, s3, 0, v17
	v_sub_co_ci_u32_e64 v18, null, 0, 0, s3
	v_mov_b32_e32 v12, 0
	s_mov_b32 s3, 0
.LBB100_31:                             ; =>This Inner Loop Header: Depth=1
	global_load_dwordx2 v[23:24], v[15:16], off
	global_load_dwordx4 v[19:22], v[9:10], off
	s_waitcnt vmcnt(1)
	v_sub_co_u32 v23, vcc_lo, v23, v1
	v_sub_co_ci_u32_e64 v24, null, v24, v2, vcc_lo
	v_lshlrev_b64 v[23:24], 3, v[23:24]
	v_add_co_u32 v23, vcc_lo, s6, v23
	v_add_co_ci_u32_e64 v24, null, s7, v24, vcc_lo
	global_load_dwordx2 v[23:24], v[23:24], off
	global_load_dwordx4 v[28:31], v[9:10], off offset:16
	v_add_co_u32 v9, vcc_lo, 0x80, v9
	v_add_co_ci_u32_e64 v10, null, 0, v10, vcc_lo
	v_add_co_u32 v5, vcc_lo, v5, 4
	v_add_co_ci_u32_e64 v6, null, 0, v6, vcc_lo
	v_add_co_u32 v15, vcc_lo, v15, 32
	v_add_co_ci_u32_e64 v16, null, 0, v16, vcc_lo
	v_add_co_u32 v17, vcc_lo, v17, 1
	v_add_co_ci_u32_e64 v18, null, 0, v18, vcc_lo
	v_cmp_eq_u64_e32 vcc_lo, 0, v[17:18]
	s_or_b32 s3, vcc_lo, s3
	s_waitcnt vmcnt(1)
	v_fma_mix_f32 v11, v19, v23, v12 op_sel_hi:[1,1,0]
	v_fma_mix_f32 v12, v19, v23, v27 op_sel:[1,0,0] op_sel_hi:[1,1,0]
	v_fma_mix_f32 v19, v20, v23, v26 op_sel_hi:[1,1,0]
	v_fma_mix_f32 v20, v20, v23, v25 op_sel:[1,0,0] op_sel_hi:[1,1,0]
	v_fma_mix_f32 v11, v21, v23, v11 op_sel:[0,1,0] op_sel_hi:[1,1,0]
	;; [unrolled: 1-line block ×5, first 2 shown]
	s_waitcnt vmcnt(0)
	v_fma_mix_f32 v11, v28, v24, v11 op_sel_hi:[1,1,0]
	v_fma_mix_f32 v21, v28, v24, v12 op_sel:[1,0,0] op_sel_hi:[1,1,0]
	v_fma_mix_f32 v19, v29, v24, v19 op_sel_hi:[1,1,0]
	v_fma_mix_f32 v20, v29, v24, v20 op_sel:[1,0,0] op_sel_hi:[1,1,0]
	v_fma_mix_f32 v12, v30, v24, v11 op_sel:[0,1,0] op_sel_hi:[1,1,0]
	;; [unrolled: 1-line block ×5, first 2 shown]
	s_andn2_b32 exec_lo, exec_lo, s3
	s_cbranch_execnz .LBB100_31
; %bb.32:
	s_or_b32 exec_lo, exec_lo, s3
.LBB100_33:
	s_or_b32 exec_lo, exec_lo, s0
	s_mov_b32 s3, exec_lo
	v_cmpx_lt_u64_e32 11, v[13:14]
	s_cbranch_execz .LBB100_37
; %bb.34:
	v_lshlrev_b64 v[13:14], 3, v[5:6]
	s_mov_b32 s8, 0
	v_add_co_u32 v11, vcc_lo, s12, v13
	v_add_co_ci_u32_e64 v14, null, s13, v14, vcc_lo
	v_add_co_u32 v13, vcc_lo, v11, 64
	v_add_co_ci_u32_e64 v14, null, 0, v14, vcc_lo
.LBB100_35:                             ; =>This Inner Loop Header: Depth=1
	s_clause 0x3
	global_load_dwordx2 v[23:24], v[13:14], off offset:-64
	global_load_dwordx2 v[48:49], v[13:14], off offset:-32
	global_load_dwordx2 v[50:51], v[13:14], off
	global_load_dwordx2 v[52:53], v[13:14], off offset:32
	s_clause 0x6
	global_load_dwordx4 v[15:18], v[9:10], off
	global_load_dwordx4 v[19:22], v[9:10], off offset:16
	global_load_dwordx4 v[28:31], v[9:10], off offset:128
	;; [unrolled: 1-line block ×6, first 2 shown]
	s_waitcnt vmcnt(10)
	v_sub_co_u32 v23, vcc_lo, v23, v1
	v_sub_co_ci_u32_e64 v24, null, v24, v2, vcc_lo
	s_waitcnt vmcnt(9)
	v_sub_co_u32 v48, vcc_lo, v48, v1
	v_sub_co_ci_u32_e64 v49, null, v49, v2, vcc_lo
	v_lshlrev_b64 v[23:24], 3, v[23:24]
	s_waitcnt vmcnt(8)
	v_sub_co_u32 v50, vcc_lo, v50, v1
	v_lshlrev_b64 v[48:49], 3, v[48:49]
	v_sub_co_ci_u32_e64 v51, null, v51, v2, vcc_lo
	v_add_co_u32 v23, s0, s6, v23
	v_add_co_ci_u32_e64 v24, null, s7, v24, s0
	v_add_co_u32 v48, vcc_lo, s6, v48
	v_add_co_ci_u32_e64 v49, null, s7, v49, vcc_lo
	s_clause 0x1
	global_load_dwordx2 v[23:24], v[23:24], off
	global_load_dwordx2 v[54:55], v[48:49], off
	v_lshlrev_b64 v[49:50], 3, v[50:51]
	s_waitcnt vmcnt(9)
	v_sub_co_u32 v48, vcc_lo, v52, v1
	v_add_co_u32 v49, s0, s6, v49
	v_add_co_ci_u32_e64 v50, null, s7, v50, s0
	global_load_dwordx2 v[56:57], v[49:50], off
	v_sub_co_ci_u32_e64 v49, null, v53, v2, vcc_lo
	v_lshlrev_b64 v[48:49], 3, v[48:49]
	v_add_co_u32 v48, vcc_lo, s6, v48
	v_add_co_ci_u32_e64 v49, null, s7, v49, vcc_lo
	global_load_dwordx2 v[52:53], v[48:49], off
	global_load_dwordx4 v[48:51], v[9:10], off offset:400
	v_add_co_u32 v9, vcc_lo, 0x200, v9
	v_add_co_ci_u32_e64 v10, null, 0, v10, vcc_lo
	v_add_co_u32 v5, vcc_lo, v5, 16
	v_add_co_ci_u32_e64 v6, null, 0, v6, vcc_lo
	;; [unrolled: 2-line block ×3, first 2 shown]
	v_cmp_ge_i64_e32 vcc_lo, v[5:6], v[7:8]
	s_or_b32 s8, vcc_lo, s8
	s_waitcnt vmcnt(4)
	v_fma_mix_f32 v11, v15, v23, v12 op_sel_hi:[1,1,0]
	v_fma_mix_f32 v12, v15, v23, v27 op_sel:[1,0,0] op_sel_hi:[1,1,0]
	v_fma_mix_f32 v15, v16, v23, v26 op_sel_hi:[1,1,0]
	v_fma_mix_f32 v16, v16, v23, v25 op_sel:[1,0,0] op_sel_hi:[1,1,0]
	v_fma_mix_f32 v11, v17, v23, v11 op_sel:[0,1,0] op_sel_hi:[1,1,0]
	v_fma_mix_f32 v12, v17, v23, v12 op_sel:[1,1,0] op_sel_hi:[1,1,0]
	v_fma_mix_f32 v15, v18, v23, v15 op_sel:[0,1,0] op_sel_hi:[1,1,0]
	v_fma_mix_f32 v16, v18, v23, v16 op_sel:[1,1,0] op_sel_hi:[1,1,0]
	v_fma_mix_f32 v11, v19, v24, v11 op_sel_hi:[1,1,0]
	v_fma_mix_f32 v12, v19, v24, v12 op_sel:[1,0,0] op_sel_hi:[1,1,0]
	v_fma_mix_f32 v15, v20, v24, v15 op_sel_hi:[1,1,0]
	v_fma_mix_f32 v16, v20, v24, v16 op_sel:[1,0,0] op_sel_hi:[1,1,0]
	v_fma_mix_f32 v11, v21, v24, v11 op_sel:[0,1,0] op_sel_hi:[1,1,0]
	v_fma_mix_f32 v12, v21, v24, v12 op_sel:[1,1,0] op_sel_hi:[1,1,0]
	v_fma_mix_f32 v15, v22, v24, v15 op_sel:[0,1,0] op_sel_hi:[1,1,0]
	v_fma_mix_f32 v16, v22, v24, v16 op_sel:[1,1,0] op_sel_hi:[1,1,0]
	s_waitcnt vmcnt(3)
	v_fma_mix_f32 v11, v28, v54, v11 op_sel_hi:[1,1,0]
	v_fma_mix_f32 v12, v28, v54, v12 op_sel:[1,0,0] op_sel_hi:[1,1,0]
	v_fma_mix_f32 v15, v29, v54, v15 op_sel_hi:[1,1,0]
	v_fma_mix_f32 v16, v29, v54, v16 op_sel:[1,0,0] op_sel_hi:[1,1,0]
	v_fma_mix_f32 v11, v30, v54, v11 op_sel:[0,1,0] op_sel_hi:[1,1,0]
	v_fma_mix_f32 v12, v30, v54, v12 op_sel:[1,1,0] op_sel_hi:[1,1,0]
	v_fma_mix_f32 v15, v31, v54, v15 op_sel:[0,1,0] op_sel_hi:[1,1,0]
	v_fma_mix_f32 v16, v31, v54, v16 op_sel:[1,1,0] op_sel_hi:[1,1,0]
	v_fma_mix_f32 v11, v32, v55, v11 op_sel_hi:[1,1,0]
	v_fma_mix_f32 v12, v32, v55, v12 op_sel:[1,0,0] op_sel_hi:[1,1,0]
	v_fma_mix_f32 v15, v33, v55, v15 op_sel_hi:[1,1,0]
	v_fma_mix_f32 v16, v33, v55, v16 op_sel:[1,0,0] op_sel_hi:[1,1,0]
	v_fma_mix_f32 v11, v34, v55, v11 op_sel:[0,1,0] op_sel_hi:[1,1,0]
	v_fma_mix_f32 v12, v34, v55, v12 op_sel:[1,1,0] op_sel_hi:[1,1,0]
	v_fma_mix_f32 v15, v35, v55, v15 op_sel:[0,1,0] op_sel_hi:[1,1,0]
	v_fma_mix_f32 v16, v35, v55, v16 op_sel:[1,1,0] op_sel_hi:[1,1,0]
	;; [unrolled: 17-line block ×3, first 2 shown]
	s_waitcnt vmcnt(1)
	v_fma_mix_f32 v11, v44, v52, v11 op_sel_hi:[1,1,0]
	v_fma_mix_f32 v12, v44, v52, v12 op_sel:[1,0,0] op_sel_hi:[1,1,0]
	v_fma_mix_f32 v15, v45, v52, v15 op_sel_hi:[1,1,0]
	v_fma_mix_f32 v16, v45, v52, v16 op_sel:[1,0,0] op_sel_hi:[1,1,0]
	v_fma_mix_f32 v11, v46, v52, v11 op_sel:[0,1,0] op_sel_hi:[1,1,0]
	;; [unrolled: 1-line block ×5, first 2 shown]
	s_waitcnt vmcnt(0)
	v_fma_mix_f32 v11, v48, v53, v11 op_sel_hi:[1,1,0]
	v_fma_mix_f32 v17, v48, v53, v12 op_sel:[1,0,0] op_sel_hi:[1,1,0]
	v_fma_mix_f32 v15, v49, v53, v15 op_sel_hi:[1,1,0]
	v_fma_mix_f32 v16, v49, v53, v16 op_sel:[1,0,0] op_sel_hi:[1,1,0]
	v_fma_mix_f32 v12, v50, v53, v11 op_sel:[0,1,0] op_sel_hi:[1,1,0]
	;; [unrolled: 1-line block ×5, first 2 shown]
	s_andn2_b32 exec_lo, exec_lo, s8
	s_cbranch_execnz .LBB100_35
; %bb.36:
	s_or_b32 exec_lo, exec_lo, s8
.LBB100_37:
	s_or_b32 exec_lo, exec_lo, s3
.LBB100_38:
	s_or_b32 exec_lo, exec_lo, s1
.LBB100_39:
	v_mbcnt_lo_u32_b32 v1, -1, 0
	s_mov_b32 s3, -1
	v_xor_b32_e32 v2, 2, v1
	v_cmp_gt_i32_e32 vcc_lo, 32, v2
	v_cndmask_b32_e32 v2, v1, v2, vcc_lo
	v_lshlrev_b32_e32 v2, 2, v2
	ds_bpermute_b32 v5, v2, v12
	ds_bpermute_b32 v6, v2, v27
	;; [unrolled: 1-line block ×4, first 2 shown]
	v_xor_b32_e32 v2, 1, v1
	v_cmp_gt_i32_e32 vcc_lo, 32, v2
	v_cndmask_b32_e32 v1, v1, v2, vcc_lo
	v_cmp_eq_u32_e32 vcc_lo, 3, v0
	v_lshlrev_b32_e32 v10, 2, v1
	s_waitcnt lgkmcnt(3)
	v_add_f32_e32 v1, v12, v5
	s_waitcnt lgkmcnt(2)
	v_add_f32_e32 v2, v27, v6
	;; [unrolled: 2-line block ×4, first 2 shown]
	ds_bpermute_b32 v7, v10, v1
	ds_bpermute_b32 v8, v10, v2
	;; [unrolled: 1-line block ×4, first 2 shown]
	s_and_b32 exec_lo, exec_lo, vcc_lo
	s_cbranch_execz .LBB100_10
; %bb.40:
	s_load_dwordx2 s[0:1], s[4:5], 0x58
	s_waitcnt lgkmcnt(0)
	v_add_f32_e32 v0, v1, v7
	v_add_f32_e32 v1, v2, v8
	;; [unrolled: 1-line block ×4, first 2 shown]
	v_cmp_eq_f32_e64 s4, s2, 0
	v_lshlrev_b64 v[4:5], 4, v[3:4]
	v_mul_f32_e32 v0, s16, v0
	v_mul_f32_e32 v1, s16, v1
	;; [unrolled: 1-line block ×4, first 2 shown]
	s_and_b32 vcc_lo, exec_lo, s4
	s_cbranch_vccz .LBB100_42
; %bb.41:
	v_add_co_u32 v6, vcc_lo, s0, v4
	v_add_co_ci_u32_e64 v7, null, s1, v5, vcc_lo
	s_mov_b32 s3, 0
	global_store_dwordx4 v[6:7], v[0:3], off
.LBB100_42:
	s_andn2_b32 vcc_lo, exec_lo, s3
	s_cbranch_vccnz .LBB100_10
; %bb.43:
	v_add_co_u32 v8, vcc_lo, s0, v4
	v_add_co_ci_u32_e64 v9, null, s1, v5, vcc_lo
	global_load_dwordx4 v[4:7], v[8:9], off
	s_waitcnt vmcnt(0)
	v_fmac_f32_e32 v0, s2, v4
	v_fmac_f32_e32 v1, s2, v5
	;; [unrolled: 1-line block ×4, first 2 shown]
	global_store_dwordx4 v[8:9], v[0:3], off
	s_endpgm
	.section	.rodata,"a",@progbits
	.p2align	6, 0x0
	.amdhsa_kernel _ZN9rocsparseL18bsrxmvn_4x4_kernelILj128ELj4EfllDF16_DF16_fEEvT3_20rocsparse_direction_NS_24const_host_device_scalarIT1_EES1_PKS1_PKT2_SA_S7_PKT4_PKT5_S5_PT6_21rocsparse_index_base_b
		.amdhsa_group_segment_fixed_size 0
		.amdhsa_private_segment_fixed_size 0
		.amdhsa_kernarg_size 104
		.amdhsa_user_sgpr_count 6
		.amdhsa_user_sgpr_private_segment_buffer 1
		.amdhsa_user_sgpr_dispatch_ptr 0
		.amdhsa_user_sgpr_queue_ptr 0
		.amdhsa_user_sgpr_kernarg_segment_ptr 1
		.amdhsa_user_sgpr_dispatch_id 0
		.amdhsa_user_sgpr_flat_scratch_init 0
		.amdhsa_user_sgpr_private_segment_size 0
		.amdhsa_wavefront_size32 1
		.amdhsa_uses_dynamic_stack 0
		.amdhsa_system_sgpr_private_segment_wavefront_offset 0
		.amdhsa_system_sgpr_workgroup_id_x 1
		.amdhsa_system_sgpr_workgroup_id_y 0
		.amdhsa_system_sgpr_workgroup_id_z 0
		.amdhsa_system_sgpr_workgroup_info 0
		.amdhsa_system_vgpr_workitem_id 0
		.amdhsa_next_free_vgpr 64
		.amdhsa_next_free_sgpr 20
		.amdhsa_reserve_vcc 1
		.amdhsa_reserve_flat_scratch 0
		.amdhsa_float_round_mode_32 0
		.amdhsa_float_round_mode_16_64 0
		.amdhsa_float_denorm_mode_32 3
		.amdhsa_float_denorm_mode_16_64 3
		.amdhsa_dx10_clamp 1
		.amdhsa_ieee_mode 1
		.amdhsa_fp16_overflow 0
		.amdhsa_workgroup_processor_mode 1
		.amdhsa_memory_ordered 1
		.amdhsa_forward_progress 1
		.amdhsa_shared_vgpr_count 0
		.amdhsa_exception_fp_ieee_invalid_op 0
		.amdhsa_exception_fp_denorm_src 0
		.amdhsa_exception_fp_ieee_div_zero 0
		.amdhsa_exception_fp_ieee_overflow 0
		.amdhsa_exception_fp_ieee_underflow 0
		.amdhsa_exception_fp_ieee_inexact 0
		.amdhsa_exception_int_div_zero 0
	.end_amdhsa_kernel
	.section	.text._ZN9rocsparseL18bsrxmvn_4x4_kernelILj128ELj4EfllDF16_DF16_fEEvT3_20rocsparse_direction_NS_24const_host_device_scalarIT1_EES1_PKS1_PKT2_SA_S7_PKT4_PKT5_S5_PT6_21rocsparse_index_base_b,"axG",@progbits,_ZN9rocsparseL18bsrxmvn_4x4_kernelILj128ELj4EfllDF16_DF16_fEEvT3_20rocsparse_direction_NS_24const_host_device_scalarIT1_EES1_PKS1_PKT2_SA_S7_PKT4_PKT5_S5_PT6_21rocsparse_index_base_b,comdat
.Lfunc_end100:
	.size	_ZN9rocsparseL18bsrxmvn_4x4_kernelILj128ELj4EfllDF16_DF16_fEEvT3_20rocsparse_direction_NS_24const_host_device_scalarIT1_EES1_PKS1_PKT2_SA_S7_PKT4_PKT5_S5_PT6_21rocsparse_index_base_b, .Lfunc_end100-_ZN9rocsparseL18bsrxmvn_4x4_kernelILj128ELj4EfllDF16_DF16_fEEvT3_20rocsparse_direction_NS_24const_host_device_scalarIT1_EES1_PKS1_PKT2_SA_S7_PKT4_PKT5_S5_PT6_21rocsparse_index_base_b
                                        ; -- End function
	.set _ZN9rocsparseL18bsrxmvn_4x4_kernelILj128ELj4EfllDF16_DF16_fEEvT3_20rocsparse_direction_NS_24const_host_device_scalarIT1_EES1_PKS1_PKT2_SA_S7_PKT4_PKT5_S5_PT6_21rocsparse_index_base_b.num_vgpr, 64
	.set _ZN9rocsparseL18bsrxmvn_4x4_kernelILj128ELj4EfllDF16_DF16_fEEvT3_20rocsparse_direction_NS_24const_host_device_scalarIT1_EES1_PKS1_PKT2_SA_S7_PKT4_PKT5_S5_PT6_21rocsparse_index_base_b.num_agpr, 0
	.set _ZN9rocsparseL18bsrxmvn_4x4_kernelILj128ELj4EfllDF16_DF16_fEEvT3_20rocsparse_direction_NS_24const_host_device_scalarIT1_EES1_PKS1_PKT2_SA_S7_PKT4_PKT5_S5_PT6_21rocsparse_index_base_b.numbered_sgpr, 20
	.set _ZN9rocsparseL18bsrxmvn_4x4_kernelILj128ELj4EfllDF16_DF16_fEEvT3_20rocsparse_direction_NS_24const_host_device_scalarIT1_EES1_PKS1_PKT2_SA_S7_PKT4_PKT5_S5_PT6_21rocsparse_index_base_b.num_named_barrier, 0
	.set _ZN9rocsparseL18bsrxmvn_4x4_kernelILj128ELj4EfllDF16_DF16_fEEvT3_20rocsparse_direction_NS_24const_host_device_scalarIT1_EES1_PKS1_PKT2_SA_S7_PKT4_PKT5_S5_PT6_21rocsparse_index_base_b.private_seg_size, 0
	.set _ZN9rocsparseL18bsrxmvn_4x4_kernelILj128ELj4EfllDF16_DF16_fEEvT3_20rocsparse_direction_NS_24const_host_device_scalarIT1_EES1_PKS1_PKT2_SA_S7_PKT4_PKT5_S5_PT6_21rocsparse_index_base_b.uses_vcc, 1
	.set _ZN9rocsparseL18bsrxmvn_4x4_kernelILj128ELj4EfllDF16_DF16_fEEvT3_20rocsparse_direction_NS_24const_host_device_scalarIT1_EES1_PKS1_PKT2_SA_S7_PKT4_PKT5_S5_PT6_21rocsparse_index_base_b.uses_flat_scratch, 0
	.set _ZN9rocsparseL18bsrxmvn_4x4_kernelILj128ELj4EfllDF16_DF16_fEEvT3_20rocsparse_direction_NS_24const_host_device_scalarIT1_EES1_PKS1_PKT2_SA_S7_PKT4_PKT5_S5_PT6_21rocsparse_index_base_b.has_dyn_sized_stack, 0
	.set _ZN9rocsparseL18bsrxmvn_4x4_kernelILj128ELj4EfllDF16_DF16_fEEvT3_20rocsparse_direction_NS_24const_host_device_scalarIT1_EES1_PKS1_PKT2_SA_S7_PKT4_PKT5_S5_PT6_21rocsparse_index_base_b.has_recursion, 0
	.set _ZN9rocsparseL18bsrxmvn_4x4_kernelILj128ELj4EfllDF16_DF16_fEEvT3_20rocsparse_direction_NS_24const_host_device_scalarIT1_EES1_PKS1_PKT2_SA_S7_PKT4_PKT5_S5_PT6_21rocsparse_index_base_b.has_indirect_call, 0
	.section	.AMDGPU.csdata,"",@progbits
; Kernel info:
; codeLenInByte = 3936
; TotalNumSgprs: 22
; NumVgprs: 64
; ScratchSize: 0
; MemoryBound: 0
; FloatMode: 240
; IeeeMode: 1
; LDSByteSize: 0 bytes/workgroup (compile time only)
; SGPRBlocks: 0
; VGPRBlocks: 7
; NumSGPRsForWavesPerEU: 22
; NumVGPRsForWavesPerEU: 64
; Occupancy: 16
; WaveLimiterHint : 1
; COMPUTE_PGM_RSRC2:SCRATCH_EN: 0
; COMPUTE_PGM_RSRC2:USER_SGPR: 6
; COMPUTE_PGM_RSRC2:TRAP_HANDLER: 0
; COMPUTE_PGM_RSRC2:TGID_X_EN: 1
; COMPUTE_PGM_RSRC2:TGID_Y_EN: 0
; COMPUTE_PGM_RSRC2:TGID_Z_EN: 0
; COMPUTE_PGM_RSRC2:TIDIG_COMP_CNT: 0
	.section	.text._ZN9rocsparseL18bsrxmvn_4x4_kernelILj128ELj8EfllDF16_DF16_fEEvT3_20rocsparse_direction_NS_24const_host_device_scalarIT1_EES1_PKS1_PKT2_SA_S7_PKT4_PKT5_S5_PT6_21rocsparse_index_base_b,"axG",@progbits,_ZN9rocsparseL18bsrxmvn_4x4_kernelILj128ELj8EfllDF16_DF16_fEEvT3_20rocsparse_direction_NS_24const_host_device_scalarIT1_EES1_PKS1_PKT2_SA_S7_PKT4_PKT5_S5_PT6_21rocsparse_index_base_b,comdat
	.globl	_ZN9rocsparseL18bsrxmvn_4x4_kernelILj128ELj8EfllDF16_DF16_fEEvT3_20rocsparse_direction_NS_24const_host_device_scalarIT1_EES1_PKS1_PKT2_SA_S7_PKT4_PKT5_S5_PT6_21rocsparse_index_base_b ; -- Begin function _ZN9rocsparseL18bsrxmvn_4x4_kernelILj128ELj8EfllDF16_DF16_fEEvT3_20rocsparse_direction_NS_24const_host_device_scalarIT1_EES1_PKS1_PKT2_SA_S7_PKT4_PKT5_S5_PT6_21rocsparse_index_base_b
	.p2align	8
	.type	_ZN9rocsparseL18bsrxmvn_4x4_kernelILj128ELj8EfllDF16_DF16_fEEvT3_20rocsparse_direction_NS_24const_host_device_scalarIT1_EES1_PKS1_PKT2_SA_S7_PKT4_PKT5_S5_PT6_21rocsparse_index_base_b,@function
_ZN9rocsparseL18bsrxmvn_4x4_kernelILj128ELj8EfllDF16_DF16_fEEvT3_20rocsparse_direction_NS_24const_host_device_scalarIT1_EES1_PKS1_PKT2_SA_S7_PKT4_PKT5_S5_PT6_21rocsparse_index_base_b: ; @_ZN9rocsparseL18bsrxmvn_4x4_kernelILj128ELj8EfllDF16_DF16_fEEvT3_20rocsparse_direction_NS_24const_host_device_scalarIT1_EES1_PKS1_PKT2_SA_S7_PKT4_PKT5_S5_PT6_21rocsparse_index_base_b
; %bb.0:
	s_clause 0x2
	s_load_dwordx2 s[0:1], s[4:5], 0x60
	s_load_dwordx4 s[16:19], s[4:5], 0x10
	s_load_dwordx2 s[2:3], s[4:5], 0x50
	s_waitcnt lgkmcnt(0)
	s_bitcmp1_b32 s1, 0
	s_cselect_b32 s1, -1, 0
	s_and_b32 vcc_lo, exec_lo, s1
	s_xor_b32 s1, s1, -1
	s_cbranch_vccnz .LBB101_2
; %bb.1:
	s_load_dword s16, s[16:17], 0x0
.LBB101_2:
	s_andn2_b32 vcc_lo, exec_lo, s1
	s_cbranch_vccnz .LBB101_4
; %bb.3:
	s_load_dword s2, s[2:3], 0x0
.LBB101_4:
	s_waitcnt lgkmcnt(0)
	v_cmp_neq_f32_e64 s1, s16, 0
	v_cmp_neq_f32_e64 s3, s2, 1.0
	s_or_b32 s1, s1, s3
	s_mov_b32 s3, 0
	s_andn2_b32 vcc_lo, exec_lo, s1
	s_cbranch_vccnz .LBB101_10
; %bb.5:
	s_load_dwordx2 s[8:9], s[4:5], 0x20
	v_lshrrev_b32_e32 v1, 3, v0
	v_mov_b32_e32 v6, 0
	v_lshl_or_b32 v5, s6, 4, v1
	s_waitcnt lgkmcnt(0)
	s_cmp_lg_u64 s[8:9], 0
	s_cbranch_scc0 .LBB101_11
; %bb.6:
	s_mov_b32 s6, 0
                                        ; implicit-def: $vgpr3_vgpr4
                                        ; implicit-def: $vgpr1_vgpr2
	s_mov_b32 s1, exec_lo
	v_cmpx_gt_i64_e64 s[18:19], v[5:6]
	s_xor_b32 s7, exec_lo, s1
	s_cbranch_execz .LBB101_8
; %bb.7:
	v_lshlrev_b64 v[1:2], 3, v[5:6]
	s_mov_b32 s1, 0
	s_mov_b32 s3, exec_lo
	v_add_co_u32 v1, vcc_lo, s8, v1
	v_add_co_ci_u32_e64 v2, null, s9, v2, vcc_lo
	global_load_dwordx2 v[1:2], v[1:2], off
	s_waitcnt vmcnt(0)
	v_sub_co_u32 v3, vcc_lo, v1, s0
	v_subrev_co_ci_u32_e64 v4, null, 0, v2, vcc_lo
	v_mov_b32_e32 v2, s1
	v_mov_b32_e32 v1, s0
.LBB101_8:
	s_or_b32 exec_lo, exec_lo, s7
	s_and_b32 vcc_lo, exec_lo, s6
	s_cbranch_vccnz .LBB101_12
.LBB101_9:
	s_and_saveexec_b32 s0, s3
	s_cbranch_execnz .LBB101_15
.LBB101_10:
	s_endpgm
.LBB101_11:
                                        ; implicit-def: $vgpr3_vgpr4
                                        ; implicit-def: $vgpr1_vgpr2
	s_cbranch_execz .LBB101_9
.LBB101_12:
	s_load_dwordx2 s[6:7], s[4:5], 0x0
	s_waitcnt lgkmcnt(0)
	v_cmp_gt_i64_e32 vcc_lo, s[6:7], v[5:6]
	s_and_saveexec_b32 s6, vcc_lo
; %bb.13:
	s_mov_b32 s1, 0
	s_or_b32 s3, s3, exec_lo
; %bb.14:
	s_or_b32 exec_lo, exec_lo, s6
	v_mov_b32_e32 v2, s1
	v_mov_b32_e32 v3, v5
	;; [unrolled: 1-line block ×4, first 2 shown]
	s_and_saveexec_b32 s0, s3
	s_cbranch_execz .LBB101_10
.LBB101_15:
	s_load_dwordx8 s[8:15], s[4:5], 0x28
	v_lshlrev_b64 v[5:6], 3, v[3:4]
	v_and_b32_e32 v0, 7, v0
	s_clause 0x1
	s_load_dword s1, s[4:5], 0x8
	s_load_dwordx2 s[6:7], s[4:5], 0x48
	v_mov_b32_e32 v25, 0
	s_waitcnt lgkmcnt(0)
	v_add_co_u32 v7, vcc_lo, s8, v5
	v_add_co_ci_u32_e64 v8, null, s9, v6, vcc_lo
	v_add_co_u32 v5, vcc_lo, s10, v5
	v_add_co_ci_u32_e64 v6, null, s11, v6, vcc_lo
	v_add_co_u32 v9, vcc_lo, v7, 8
	global_load_dwordx2 v[13:14], v[7:8], off
	v_add_co_ci_u32_e64 v10, null, 0, v8, vcc_lo
	s_cmp_eq_u64 s[10:11], 0
	s_cselect_b32 vcc_lo, -1, 0
	s_cmp_eq_u32 s1, 1
	v_cndmask_b32_e32 v6, v6, v10, vcc_lo
	v_cndmask_b32_e32 v5, v5, v9, vcc_lo
	global_load_dwordx2 v[7:8], v[5:6], off
	s_waitcnt vmcnt(1)
	v_sub_co_u32 v5, vcc_lo, v13, v1
	v_sub_co_ci_u32_e64 v6, null, v14, v2, vcc_lo
	v_add_co_u32 v5, vcc_lo, v5, v0
	v_add_co_ci_u32_e64 v6, null, 0, v6, vcc_lo
	v_lshlrev_b64 v[9:10], 5, v[5:6]
	s_waitcnt vmcnt(0)
	v_sub_co_u32 v7, vcc_lo, v7, v1
	v_sub_co_ci_u32_e64 v8, null, v8, v2, vcc_lo
	v_add_co_u32 v9, vcc_lo, s14, v9
	v_cmp_lt_i64_e64 s0, v[5:6], v[7:8]
	v_add_co_ci_u32_e64 v10, null, s15, v10, vcc_lo
	s_cbranch_scc1 .LBB101_27
; %bb.16:
	v_mov_b32_e32 v26, 0
	v_mov_b32_e32 v27, 0
	;; [unrolled: 1-line block ×3, first 2 shown]
	s_and_saveexec_b32 s3, s0
	s_cbranch_execz .LBB101_26
; %bb.17:
	v_or_b32_e32 v11, 8, v0
	v_not_b32_e32 v16, v13
	v_sub_co_u32 v17, s1, v1, v0
	v_not_b32_e32 v15, v14
	v_sub_co_u32 v11, vcc_lo, v11, v1
	v_sub_co_ci_u32_e64 v12, null, 0, v2, vcc_lo
	v_subrev_co_ci_u32_e64 v18, null, 0, v2, s1
	v_add_co_u32 v11, vcc_lo, v11, v13
	v_add_co_ci_u32_e64 v12, null, v12, v14, vcc_lo
	s_mov_b32 s1, exec_lo
	v_cmp_gt_i64_e32 vcc_lo, v[11:12], v[7:8]
	v_cndmask_b32_e32 v20, v8, v12, vcc_lo
	v_cndmask_b32_e32 v11, v7, v11, vcc_lo
	v_add_co_u32 v12, vcc_lo, v17, v16
	v_add_co_ci_u32_e64 v15, null, v18, v15, vcc_lo
	v_mov_b32_e32 v18, v10
	v_add_co_u32 v19, vcc_lo, v12, v11
	v_mov_b32_e32 v12, 0
	v_add_co_ci_u32_e64 v20, null, v15, v20, vcc_lo
	v_mov_b32_e32 v16, v6
	v_and_b32_e32 v11, 24, v19
	v_mov_b32_e32 v27, v12
	v_mov_b32_e32 v26, v12
	;; [unrolled: 1-line block ×5, first 2 shown]
	v_cmpx_ne_u64_e32 24, v[11:12]
	s_cbranch_execz .LBB101_21
; %bb.18:
	v_lshrrev_b32_e32 v11, 3, v19
	v_mov_b32_e32 v18, v10
	v_mov_b32_e32 v16, v6
	;; [unrolled: 1-line block ×4, first 2 shown]
	v_add_nc_u32_e32 v21, 1, v11
	v_lshlrev_b64 v[11:12], 3, v[5:6]
	v_mov_b32_e32 v15, v5
	v_mov_b32_e32 v26, 0
	;; [unrolled: 1-line block ×3, first 2 shown]
	v_and_b32_e32 v23, 3, v21
	v_add_co_u32 v21, vcc_lo, s12, v11
	v_add_co_ci_u32_e64 v22, null, s13, v12, vcc_lo
	v_sub_co_u32 v23, s8, 0, v23
	v_sub_co_ci_u32_e64 v24, null, 0, 0, s8
	v_mov_b32_e32 v12, 0
	s_mov_b32 s8, 0
.LBB101_19:                             ; =>This Inner Loop Header: Depth=1
	global_load_dwordx2 v[36:37], v[21:22], off
	s_clause 0x1
	global_load_dwordx4 v[28:31], v[17:18], off
	global_load_dwordx4 v[32:35], v[17:18], off offset:16
	s_waitcnt vmcnt(2)
	v_sub_co_u32 v36, vcc_lo, v36, v1
	v_sub_co_ci_u32_e64 v37, null, v37, v2, vcc_lo
	v_lshlrev_b64 v[36:37], 3, v[36:37]
	v_add_co_u32 v36, vcc_lo, s6, v36
	v_add_co_ci_u32_e64 v37, null, s7, v37, vcc_lo
	v_add_co_u32 v17, vcc_lo, 0x100, v17
	v_add_co_ci_u32_e64 v18, null, 0, v18, vcc_lo
	global_load_dwordx2 v[36:37], v[36:37], off
	v_add_co_u32 v15, vcc_lo, v15, 8
	v_add_co_ci_u32_e64 v16, null, 0, v16, vcc_lo
	v_add_co_u32 v21, vcc_lo, v21, 64
	v_add_co_ci_u32_e64 v22, null, 0, v22, vcc_lo
	;; [unrolled: 2-line block ×3, first 2 shown]
	v_cmp_eq_u64_e32 vcc_lo, 0, v[23:24]
	s_or_b32 s8, vcc_lo, s8
	s_waitcnt vmcnt(0)
	v_fma_mix_f32 v11, v28, v36, v12 op_sel_hi:[1,1,0]
	v_fma_mix_f32 v12, v30, v36, v27 op_sel_hi:[1,1,0]
	;; [unrolled: 1-line block ×4, first 2 shown]
	v_fma_mix_f32 v11, v28, v36, v11 op_sel:[1,1,0] op_sel_hi:[1,1,0]
	v_fma_mix_f32 v12, v30, v36, v12 op_sel:[1,1,0] op_sel_hi:[1,1,0]
	;; [unrolled: 1-line block ×4, first 2 shown]
	v_fma_mix_f32 v11, v29, v37, v11 op_sel_hi:[1,1,0]
	v_fma_mix_f32 v27, v31, v37, v12 op_sel_hi:[1,1,0]
	;; [unrolled: 1-line block ×4, first 2 shown]
	v_fma_mix_f32 v12, v29, v37, v11 op_sel:[1,1,0] op_sel_hi:[1,1,0]
	v_fma_mix_f32 v27, v31, v37, v27 op_sel:[1,1,0] op_sel_hi:[1,1,0]
	;; [unrolled: 1-line block ×4, first 2 shown]
	s_andn2_b32 exec_lo, exec_lo, s8
	s_cbranch_execnz .LBB101_19
; %bb.20:
	s_or_b32 exec_lo, exec_lo, s8
.LBB101_21:
	s_or_b32 exec_lo, exec_lo, s1
	s_mov_b32 s8, exec_lo
	v_cmpx_lt_u64_e32 23, v[19:20]
	s_cbranch_execz .LBB101_25
; %bb.22:
	v_lshlrev_b64 v[19:20], 3, v[15:16]
	s_mov_b32 s9, 0
	v_add_co_u32 v11, vcc_lo, s12, v19
	v_add_co_ci_u32_e64 v20, null, s13, v20, vcc_lo
	v_add_co_u32 v19, vcc_lo, 0x80, v11
	v_add_co_ci_u32_e64 v20, null, 0, v20, vcc_lo
.LBB101_23:                             ; =>This Inner Loop Header: Depth=1
	s_clause 0x3
	global_load_dwordx2 v[56:57], v[19:20], off offset:-128
	global_load_dwordx2 v[58:59], v[19:20], off offset:-64
	global_load_dwordx2 v[60:61], v[19:20], off
	global_load_dwordx2 v[62:63], v[19:20], off offset:64
	s_clause 0x7
	global_load_dwordx4 v[21:24], v[17:18], off
	global_load_dwordx4 v[28:31], v[17:18], off offset:16
	global_load_dwordx4 v[32:35], v[17:18], off offset:256
	;; [unrolled: 1-line block ×7, first 2 shown]
	s_waitcnt vmcnt(11)
	v_sub_co_u32 v56, vcc_lo, v56, v1
	v_sub_co_ci_u32_e64 v57, null, v57, v2, vcc_lo
	s_waitcnt vmcnt(10)
	v_sub_co_u32 v58, vcc_lo, v58, v1
	v_sub_co_ci_u32_e64 v59, null, v59, v2, vcc_lo
	v_lshlrev_b64 v[56:57], 3, v[56:57]
	s_waitcnt vmcnt(9)
	v_sub_co_u32 v60, vcc_lo, v60, v1
	v_lshlrev_b64 v[58:59], 3, v[58:59]
	v_sub_co_ci_u32_e64 v61, null, v61, v2, vcc_lo
	v_add_co_u32 v56, s1, s6, v56
	v_add_co_ci_u32_e64 v57, null, s7, v57, s1
	v_add_co_u32 v58, vcc_lo, s6, v58
	v_add_co_ci_u32_e64 v59, null, s7, v59, vcc_lo
	global_load_dwordx2 v[56:57], v[56:57], off
	v_lshlrev_b64 v[60:61], 3, v[60:61]
	s_waitcnt vmcnt(9)
	v_sub_co_u32 v62, vcc_lo, v62, v1
	global_load_dwordx2 v[58:59], v[58:59], off
	v_sub_co_ci_u32_e64 v63, null, v63, v2, vcc_lo
	v_add_co_u32 v60, s1, s6, v60
	v_add_co_ci_u32_e64 v61, null, s7, v61, s1
	v_lshlrev_b64 v[62:63], 3, v[62:63]
	v_add_co_u32 v17, s1, 0x400, v17
	global_load_dwordx2 v[60:61], v[60:61], off
	v_add_co_ci_u32_e64 v18, null, 0, v18, s1
	v_add_co_u32 v62, vcc_lo, s6, v62
	v_add_co_ci_u32_e64 v63, null, s7, v63, vcc_lo
	v_add_co_u32 v15, s1, v15, 32
	v_add_co_ci_u32_e64 v16, null, 0, v16, s1
	global_load_dwordx2 v[62:63], v[62:63], off
	v_add_co_u32 v19, vcc_lo, 0x100, v19
	v_add_co_ci_u32_e64 v20, null, 0, v20, vcc_lo
	v_cmp_ge_i64_e32 vcc_lo, v[15:16], v[7:8]
	s_or_b32 s9, vcc_lo, s9
	s_waitcnt vmcnt(3)
	v_fma_mix_f32 v11, v21, v56, v12 op_sel_hi:[1,1,0]
	v_fma_mix_f32 v12, v23, v56, v27 op_sel_hi:[1,1,0]
	v_fma_mix_f32 v26, v28, v56, v26 op_sel_hi:[1,1,0]
	v_fma_mix_f32 v25, v30, v56, v25 op_sel_hi:[1,1,0]
	v_fma_mix_f32 v11, v21, v56, v11 op_sel:[1,1,0] op_sel_hi:[1,1,0]
	v_fma_mix_f32 v12, v23, v56, v12 op_sel:[1,1,0] op_sel_hi:[1,1,0]
	v_fma_mix_f32 v21, v28, v56, v26 op_sel:[1,1,0] op_sel_hi:[1,1,0]
	v_fma_mix_f32 v23, v30, v56, v25 op_sel:[1,1,0] op_sel_hi:[1,1,0]
	v_fma_mix_f32 v11, v22, v57, v11 op_sel_hi:[1,1,0]
	v_fma_mix_f32 v12, v24, v57, v12 op_sel_hi:[1,1,0]
	v_fma_mix_f32 v21, v29, v57, v21 op_sel_hi:[1,1,0]
	v_fma_mix_f32 v23, v31, v57, v23 op_sel_hi:[1,1,0]
	v_fma_mix_f32 v11, v22, v57, v11 op_sel:[1,1,0] op_sel_hi:[1,1,0]
	v_fma_mix_f32 v12, v24, v57, v12 op_sel:[1,1,0] op_sel_hi:[1,1,0]
	v_fma_mix_f32 v21, v29, v57, v21 op_sel:[1,1,0] op_sel_hi:[1,1,0]
	v_fma_mix_f32 v22, v31, v57, v23 op_sel:[1,1,0] op_sel_hi:[1,1,0]
	s_waitcnt vmcnt(2)
	v_fma_mix_f32 v11, v32, v58, v11 op_sel_hi:[1,1,0]
	v_fma_mix_f32 v12, v34, v58, v12 op_sel_hi:[1,1,0]
	v_fma_mix_f32 v21, v36, v58, v21 op_sel_hi:[1,1,0]
	v_fma_mix_f32 v22, v38, v58, v22 op_sel_hi:[1,1,0]
	v_fma_mix_f32 v11, v32, v58, v11 op_sel:[1,1,0] op_sel_hi:[1,1,0]
	v_fma_mix_f32 v12, v34, v58, v12 op_sel:[1,1,0] op_sel_hi:[1,1,0]
	v_fma_mix_f32 v21, v36, v58, v21 op_sel:[1,1,0] op_sel_hi:[1,1,0]
	v_fma_mix_f32 v22, v38, v58, v22 op_sel:[1,1,0] op_sel_hi:[1,1,0]
	v_fma_mix_f32 v11, v33, v59, v11 op_sel_hi:[1,1,0]
	v_fma_mix_f32 v12, v35, v59, v12 op_sel_hi:[1,1,0]
	v_fma_mix_f32 v21, v37, v59, v21 op_sel_hi:[1,1,0]
	v_fma_mix_f32 v22, v39, v59, v22 op_sel_hi:[1,1,0]
	v_fma_mix_f32 v11, v33, v59, v11 op_sel:[1,1,0] op_sel_hi:[1,1,0]
	v_fma_mix_f32 v12, v35, v59, v12 op_sel:[1,1,0] op_sel_hi:[1,1,0]
	v_fma_mix_f32 v21, v37, v59, v21 op_sel:[1,1,0] op_sel_hi:[1,1,0]
	v_fma_mix_f32 v22, v39, v59, v22 op_sel:[1,1,0] op_sel_hi:[1,1,0]
	;; [unrolled: 17-line block ×4, first 2 shown]
	s_andn2_b32 exec_lo, exec_lo, s9
	s_cbranch_execnz .LBB101_23
; %bb.24:
	s_or_b32 exec_lo, exec_lo, s9
.LBB101_25:
	s_or_b32 exec_lo, exec_lo, s8
.LBB101_26:
	s_or_b32 exec_lo, exec_lo, s3
	s_cbranch_execz .LBB101_28
	s_branch .LBB101_39
.LBB101_27:
                                        ; implicit-def: $vgpr25
                                        ; implicit-def: $vgpr26
                                        ; implicit-def: $vgpr27
                                        ; implicit-def: $vgpr12
.LBB101_28:
	v_mov_b32_e32 v25, 0
	v_mov_b32_e32 v26, 0
	;; [unrolled: 1-line block ×4, first 2 shown]
	s_and_saveexec_b32 s1, s0
	s_cbranch_execz .LBB101_38
; %bb.29:
	v_or_b32_e32 v11, 8, v0
	v_sub_co_u32 v15, s0, v1, v0
	v_subrev_co_ci_u32_e64 v16, null, 0, v2, s0
	v_sub_co_u32 v11, vcc_lo, v11, v1
	v_sub_co_ci_u32_e64 v12, null, 0, v2, vcc_lo
	s_mov_b32 s0, exec_lo
	v_add_co_u32 v11, vcc_lo, v11, v13
	v_add_co_ci_u32_e64 v12, null, v12, v14, vcc_lo
	v_not_b32_e32 v13, v13
	v_not_b32_e32 v14, v14
	v_cmp_gt_i64_e32 vcc_lo, v[11:12], v[7:8]
	v_cndmask_b32_e32 v17, v8, v12, vcc_lo
	v_cndmask_b32_e32 v11, v7, v11, vcc_lo
	v_add_co_u32 v12, vcc_lo, v15, v13
	v_add_co_ci_u32_e64 v14, null, v16, v14, vcc_lo
	v_add_co_u32 v13, vcc_lo, v12, v11
	v_mov_b32_e32 v12, 0
	v_add_co_ci_u32_e64 v14, null, v14, v17, vcc_lo
	v_and_b32_e32 v11, 24, v13
	v_mov_b32_e32 v27, v12
	v_mov_b32_e32 v26, v12
	;; [unrolled: 1-line block ×3, first 2 shown]
	v_cmpx_ne_u64_e32 24, v[11:12]
	s_cbranch_execz .LBB101_33
; %bb.30:
	v_lshrrev_b32_e32 v11, 3, v13
	v_mov_b32_e32 v25, 0
	v_mov_b32_e32 v26, 0
	;; [unrolled: 1-line block ×3, first 2 shown]
	v_add_nc_u32_e32 v15, 1, v11
	v_lshlrev_b64 v[11:12], 3, v[5:6]
	v_and_b32_e32 v17, 3, v15
	v_add_co_u32 v15, vcc_lo, s12, v11
	v_add_co_ci_u32_e64 v16, null, s13, v12, vcc_lo
	v_sub_co_u32 v17, s3, 0, v17
	v_sub_co_ci_u32_e64 v18, null, 0, 0, s3
	v_mov_b32_e32 v12, 0
	s_mov_b32 s3, 0
.LBB101_31:                             ; =>This Inner Loop Header: Depth=1
	global_load_dwordx2 v[23:24], v[15:16], off
	global_load_dwordx4 v[19:22], v[9:10], off
	s_waitcnt vmcnt(1)
	v_sub_co_u32 v23, vcc_lo, v23, v1
	v_sub_co_ci_u32_e64 v24, null, v24, v2, vcc_lo
	v_lshlrev_b64 v[23:24], 3, v[23:24]
	v_add_co_u32 v23, vcc_lo, s6, v23
	v_add_co_ci_u32_e64 v24, null, s7, v24, vcc_lo
	global_load_dwordx2 v[23:24], v[23:24], off
	global_load_dwordx4 v[28:31], v[9:10], off offset:16
	v_add_co_u32 v9, vcc_lo, 0x100, v9
	v_add_co_ci_u32_e64 v10, null, 0, v10, vcc_lo
	v_add_co_u32 v5, vcc_lo, v5, 8
	v_add_co_ci_u32_e64 v6, null, 0, v6, vcc_lo
	;; [unrolled: 2-line block ×4, first 2 shown]
	v_cmp_eq_u64_e32 vcc_lo, 0, v[17:18]
	s_or_b32 s3, vcc_lo, s3
	s_waitcnt vmcnt(1)
	v_fma_mix_f32 v11, v19, v23, v12 op_sel_hi:[1,1,0]
	v_fma_mix_f32 v12, v19, v23, v27 op_sel:[1,0,0] op_sel_hi:[1,1,0]
	v_fma_mix_f32 v19, v20, v23, v26 op_sel_hi:[1,1,0]
	v_fma_mix_f32 v20, v20, v23, v25 op_sel:[1,0,0] op_sel_hi:[1,1,0]
	v_fma_mix_f32 v11, v21, v23, v11 op_sel:[0,1,0] op_sel_hi:[1,1,0]
	;; [unrolled: 1-line block ×5, first 2 shown]
	s_waitcnt vmcnt(0)
	v_fma_mix_f32 v11, v28, v24, v11 op_sel_hi:[1,1,0]
	v_fma_mix_f32 v21, v28, v24, v12 op_sel:[1,0,0] op_sel_hi:[1,1,0]
	v_fma_mix_f32 v19, v29, v24, v19 op_sel_hi:[1,1,0]
	v_fma_mix_f32 v20, v29, v24, v20 op_sel:[1,0,0] op_sel_hi:[1,1,0]
	v_fma_mix_f32 v12, v30, v24, v11 op_sel:[0,1,0] op_sel_hi:[1,1,0]
	;; [unrolled: 1-line block ×5, first 2 shown]
	s_andn2_b32 exec_lo, exec_lo, s3
	s_cbranch_execnz .LBB101_31
; %bb.32:
	s_or_b32 exec_lo, exec_lo, s3
.LBB101_33:
	s_or_b32 exec_lo, exec_lo, s0
	s_mov_b32 s3, exec_lo
	v_cmpx_lt_u64_e32 23, v[13:14]
	s_cbranch_execz .LBB101_37
; %bb.34:
	v_lshlrev_b64 v[13:14], 3, v[5:6]
	s_mov_b32 s8, 0
	v_add_co_u32 v11, vcc_lo, s12, v13
	v_add_co_ci_u32_e64 v14, null, s13, v14, vcc_lo
	v_add_co_u32 v13, vcc_lo, 0x80, v11
	v_add_co_ci_u32_e64 v14, null, 0, v14, vcc_lo
.LBB101_35:                             ; =>This Inner Loop Header: Depth=1
	s_clause 0x3
	global_load_dwordx2 v[23:24], v[13:14], off offset:-128
	global_load_dwordx2 v[48:49], v[13:14], off offset:-64
	global_load_dwordx2 v[50:51], v[13:14], off
	global_load_dwordx2 v[52:53], v[13:14], off offset:64
	s_clause 0x6
	global_load_dwordx4 v[15:18], v[9:10], off
	global_load_dwordx4 v[19:22], v[9:10], off offset:16
	global_load_dwordx4 v[28:31], v[9:10], off offset:256
	;; [unrolled: 1-line block ×6, first 2 shown]
	s_waitcnt vmcnt(10)
	v_sub_co_u32 v23, vcc_lo, v23, v1
	v_sub_co_ci_u32_e64 v24, null, v24, v2, vcc_lo
	s_waitcnt vmcnt(9)
	v_sub_co_u32 v48, vcc_lo, v48, v1
	v_sub_co_ci_u32_e64 v49, null, v49, v2, vcc_lo
	v_lshlrev_b64 v[23:24], 3, v[23:24]
	s_waitcnt vmcnt(8)
	v_sub_co_u32 v50, vcc_lo, v50, v1
	v_lshlrev_b64 v[48:49], 3, v[48:49]
	v_sub_co_ci_u32_e64 v51, null, v51, v2, vcc_lo
	v_add_co_u32 v23, s0, s6, v23
	v_add_co_ci_u32_e64 v24, null, s7, v24, s0
	v_add_co_u32 v48, vcc_lo, s6, v48
	v_add_co_ci_u32_e64 v49, null, s7, v49, vcc_lo
	s_clause 0x1
	global_load_dwordx2 v[23:24], v[23:24], off
	global_load_dwordx2 v[54:55], v[48:49], off
	v_lshlrev_b64 v[49:50], 3, v[50:51]
	s_waitcnt vmcnt(9)
	v_sub_co_u32 v48, vcc_lo, v52, v1
	v_add_co_u32 v49, s0, s6, v49
	v_add_co_ci_u32_e64 v50, null, s7, v50, s0
	global_load_dwordx2 v[56:57], v[49:50], off
	v_sub_co_ci_u32_e64 v49, null, v53, v2, vcc_lo
	v_lshlrev_b64 v[48:49], 3, v[48:49]
	v_add_co_u32 v48, vcc_lo, s6, v48
	v_add_co_ci_u32_e64 v49, null, s7, v49, vcc_lo
	global_load_dwordx2 v[52:53], v[48:49], off
	global_load_dwordx4 v[48:51], v[9:10], off offset:784
	v_add_co_u32 v9, vcc_lo, 0x400, v9
	v_add_co_ci_u32_e64 v10, null, 0, v10, vcc_lo
	v_add_co_u32 v5, vcc_lo, v5, 32
	v_add_co_ci_u32_e64 v6, null, 0, v6, vcc_lo
	;; [unrolled: 2-line block ×3, first 2 shown]
	v_cmp_ge_i64_e32 vcc_lo, v[5:6], v[7:8]
	s_or_b32 s8, vcc_lo, s8
	s_waitcnt vmcnt(4)
	v_fma_mix_f32 v11, v15, v23, v12 op_sel_hi:[1,1,0]
	v_fma_mix_f32 v12, v15, v23, v27 op_sel:[1,0,0] op_sel_hi:[1,1,0]
	v_fma_mix_f32 v15, v16, v23, v26 op_sel_hi:[1,1,0]
	v_fma_mix_f32 v16, v16, v23, v25 op_sel:[1,0,0] op_sel_hi:[1,1,0]
	v_fma_mix_f32 v11, v17, v23, v11 op_sel:[0,1,0] op_sel_hi:[1,1,0]
	v_fma_mix_f32 v12, v17, v23, v12 op_sel:[1,1,0] op_sel_hi:[1,1,0]
	v_fma_mix_f32 v15, v18, v23, v15 op_sel:[0,1,0] op_sel_hi:[1,1,0]
	v_fma_mix_f32 v16, v18, v23, v16 op_sel:[1,1,0] op_sel_hi:[1,1,0]
	v_fma_mix_f32 v11, v19, v24, v11 op_sel_hi:[1,1,0]
	v_fma_mix_f32 v12, v19, v24, v12 op_sel:[1,0,0] op_sel_hi:[1,1,0]
	v_fma_mix_f32 v15, v20, v24, v15 op_sel_hi:[1,1,0]
	v_fma_mix_f32 v16, v20, v24, v16 op_sel:[1,0,0] op_sel_hi:[1,1,0]
	v_fma_mix_f32 v11, v21, v24, v11 op_sel:[0,1,0] op_sel_hi:[1,1,0]
	v_fma_mix_f32 v12, v21, v24, v12 op_sel:[1,1,0] op_sel_hi:[1,1,0]
	v_fma_mix_f32 v15, v22, v24, v15 op_sel:[0,1,0] op_sel_hi:[1,1,0]
	v_fma_mix_f32 v16, v22, v24, v16 op_sel:[1,1,0] op_sel_hi:[1,1,0]
	s_waitcnt vmcnt(3)
	v_fma_mix_f32 v11, v28, v54, v11 op_sel_hi:[1,1,0]
	v_fma_mix_f32 v12, v28, v54, v12 op_sel:[1,0,0] op_sel_hi:[1,1,0]
	v_fma_mix_f32 v15, v29, v54, v15 op_sel_hi:[1,1,0]
	v_fma_mix_f32 v16, v29, v54, v16 op_sel:[1,0,0] op_sel_hi:[1,1,0]
	v_fma_mix_f32 v11, v30, v54, v11 op_sel:[0,1,0] op_sel_hi:[1,1,0]
	v_fma_mix_f32 v12, v30, v54, v12 op_sel:[1,1,0] op_sel_hi:[1,1,0]
	v_fma_mix_f32 v15, v31, v54, v15 op_sel:[0,1,0] op_sel_hi:[1,1,0]
	v_fma_mix_f32 v16, v31, v54, v16 op_sel:[1,1,0] op_sel_hi:[1,1,0]
	v_fma_mix_f32 v11, v32, v55, v11 op_sel_hi:[1,1,0]
	v_fma_mix_f32 v12, v32, v55, v12 op_sel:[1,0,0] op_sel_hi:[1,1,0]
	v_fma_mix_f32 v15, v33, v55, v15 op_sel_hi:[1,1,0]
	v_fma_mix_f32 v16, v33, v55, v16 op_sel:[1,0,0] op_sel_hi:[1,1,0]
	v_fma_mix_f32 v11, v34, v55, v11 op_sel:[0,1,0] op_sel_hi:[1,1,0]
	v_fma_mix_f32 v12, v34, v55, v12 op_sel:[1,1,0] op_sel_hi:[1,1,0]
	v_fma_mix_f32 v15, v35, v55, v15 op_sel:[0,1,0] op_sel_hi:[1,1,0]
	v_fma_mix_f32 v16, v35, v55, v16 op_sel:[1,1,0] op_sel_hi:[1,1,0]
	;; [unrolled: 17-line block ×3, first 2 shown]
	s_waitcnt vmcnt(1)
	v_fma_mix_f32 v11, v44, v52, v11 op_sel_hi:[1,1,0]
	v_fma_mix_f32 v12, v44, v52, v12 op_sel:[1,0,0] op_sel_hi:[1,1,0]
	v_fma_mix_f32 v15, v45, v52, v15 op_sel_hi:[1,1,0]
	v_fma_mix_f32 v16, v45, v52, v16 op_sel:[1,0,0] op_sel_hi:[1,1,0]
	v_fma_mix_f32 v11, v46, v52, v11 op_sel:[0,1,0] op_sel_hi:[1,1,0]
	;; [unrolled: 1-line block ×5, first 2 shown]
	s_waitcnt vmcnt(0)
	v_fma_mix_f32 v11, v48, v53, v11 op_sel_hi:[1,1,0]
	v_fma_mix_f32 v17, v48, v53, v12 op_sel:[1,0,0] op_sel_hi:[1,1,0]
	v_fma_mix_f32 v15, v49, v53, v15 op_sel_hi:[1,1,0]
	v_fma_mix_f32 v16, v49, v53, v16 op_sel:[1,0,0] op_sel_hi:[1,1,0]
	v_fma_mix_f32 v12, v50, v53, v11 op_sel:[0,1,0] op_sel_hi:[1,1,0]
	;; [unrolled: 1-line block ×5, first 2 shown]
	s_andn2_b32 exec_lo, exec_lo, s8
	s_cbranch_execnz .LBB101_35
; %bb.36:
	s_or_b32 exec_lo, exec_lo, s8
.LBB101_37:
	s_or_b32 exec_lo, exec_lo, s3
.LBB101_38:
	s_or_b32 exec_lo, exec_lo, s1
.LBB101_39:
	v_mbcnt_lo_u32_b32 v1, -1, 0
	s_mov_b32 s3, -1
	v_xor_b32_e32 v2, 4, v1
	v_xor_b32_e32 v8, 2, v1
	v_cmp_gt_i32_e32 vcc_lo, 32, v2
	v_cndmask_b32_e32 v2, v1, v2, vcc_lo
	v_cmp_gt_i32_e32 vcc_lo, 32, v8
	v_lshlrev_b32_e32 v2, 2, v2
	v_cndmask_b32_e32 v8, v1, v8, vcc_lo
	ds_bpermute_b32 v5, v2, v12
	ds_bpermute_b32 v6, v2, v27
	;; [unrolled: 1-line block ×4, first 2 shown]
	v_lshlrev_b32_e32 v8, 2, v8
	s_waitcnt lgkmcnt(3)
	v_add_f32_e32 v5, v12, v5
	s_waitcnt lgkmcnt(2)
	v_add_f32_e32 v6, v27, v6
	s_waitcnt lgkmcnt(1)
	v_add_f32_e32 v7, v26, v7
	s_waitcnt lgkmcnt(0)
	v_add_f32_e32 v9, v25, v2
	v_xor_b32_e32 v12, 1, v1
	ds_bpermute_b32 v2, v8, v5
	ds_bpermute_b32 v10, v8, v6
	;; [unrolled: 1-line block ×4, first 2 shown]
	v_cmp_gt_i32_e32 vcc_lo, 32, v12
	v_cndmask_b32_e32 v1, v1, v12, vcc_lo
	v_cmp_eq_u32_e32 vcc_lo, 7, v0
	v_lshlrev_b32_e32 v12, 2, v1
	s_waitcnt lgkmcnt(3)
	v_add_f32_e32 v1, v5, v2
	s_waitcnt lgkmcnt(2)
	v_add_f32_e32 v2, v6, v10
	;; [unrolled: 2-line block ×4, first 2 shown]
	ds_bpermute_b32 v7, v12, v1
	ds_bpermute_b32 v8, v12, v2
	;; [unrolled: 1-line block ×4, first 2 shown]
	s_and_b32 exec_lo, exec_lo, vcc_lo
	s_cbranch_execz .LBB101_10
; %bb.40:
	s_load_dwordx2 s[0:1], s[4:5], 0x58
	s_waitcnt lgkmcnt(0)
	v_add_f32_e32 v0, v1, v7
	v_add_f32_e32 v1, v2, v8
	;; [unrolled: 1-line block ×4, first 2 shown]
	v_cmp_eq_f32_e64 s4, s2, 0
	v_lshlrev_b64 v[4:5], 4, v[3:4]
	v_mul_f32_e32 v0, s16, v0
	v_mul_f32_e32 v1, s16, v1
	;; [unrolled: 1-line block ×4, first 2 shown]
	s_and_b32 vcc_lo, exec_lo, s4
	s_cbranch_vccz .LBB101_42
; %bb.41:
	v_add_co_u32 v6, vcc_lo, s0, v4
	v_add_co_ci_u32_e64 v7, null, s1, v5, vcc_lo
	s_mov_b32 s3, 0
	global_store_dwordx4 v[6:7], v[0:3], off
.LBB101_42:
	s_andn2_b32 vcc_lo, exec_lo, s3
	s_cbranch_vccnz .LBB101_10
; %bb.43:
	v_add_co_u32 v8, vcc_lo, s0, v4
	v_add_co_ci_u32_e64 v9, null, s1, v5, vcc_lo
	global_load_dwordx4 v[4:7], v[8:9], off
	s_waitcnt vmcnt(0)
	v_fmac_f32_e32 v0, s2, v4
	v_fmac_f32_e32 v1, s2, v5
	;; [unrolled: 1-line block ×4, first 2 shown]
	global_store_dwordx4 v[8:9], v[0:3], off
	s_endpgm
	.section	.rodata,"a",@progbits
	.p2align	6, 0x0
	.amdhsa_kernel _ZN9rocsparseL18bsrxmvn_4x4_kernelILj128ELj8EfllDF16_DF16_fEEvT3_20rocsparse_direction_NS_24const_host_device_scalarIT1_EES1_PKS1_PKT2_SA_S7_PKT4_PKT5_S5_PT6_21rocsparse_index_base_b
		.amdhsa_group_segment_fixed_size 0
		.amdhsa_private_segment_fixed_size 0
		.amdhsa_kernarg_size 104
		.amdhsa_user_sgpr_count 6
		.amdhsa_user_sgpr_private_segment_buffer 1
		.amdhsa_user_sgpr_dispatch_ptr 0
		.amdhsa_user_sgpr_queue_ptr 0
		.amdhsa_user_sgpr_kernarg_segment_ptr 1
		.amdhsa_user_sgpr_dispatch_id 0
		.amdhsa_user_sgpr_flat_scratch_init 0
		.amdhsa_user_sgpr_private_segment_size 0
		.amdhsa_wavefront_size32 1
		.amdhsa_uses_dynamic_stack 0
		.amdhsa_system_sgpr_private_segment_wavefront_offset 0
		.amdhsa_system_sgpr_workgroup_id_x 1
		.amdhsa_system_sgpr_workgroup_id_y 0
		.amdhsa_system_sgpr_workgroup_id_z 0
		.amdhsa_system_sgpr_workgroup_info 0
		.amdhsa_system_vgpr_workitem_id 0
		.amdhsa_next_free_vgpr 64
		.amdhsa_next_free_sgpr 20
		.amdhsa_reserve_vcc 1
		.amdhsa_reserve_flat_scratch 0
		.amdhsa_float_round_mode_32 0
		.amdhsa_float_round_mode_16_64 0
		.amdhsa_float_denorm_mode_32 3
		.amdhsa_float_denorm_mode_16_64 3
		.amdhsa_dx10_clamp 1
		.amdhsa_ieee_mode 1
		.amdhsa_fp16_overflow 0
		.amdhsa_workgroup_processor_mode 1
		.amdhsa_memory_ordered 1
		.amdhsa_forward_progress 1
		.amdhsa_shared_vgpr_count 0
		.amdhsa_exception_fp_ieee_invalid_op 0
		.amdhsa_exception_fp_denorm_src 0
		.amdhsa_exception_fp_ieee_div_zero 0
		.amdhsa_exception_fp_ieee_overflow 0
		.amdhsa_exception_fp_ieee_underflow 0
		.amdhsa_exception_fp_ieee_inexact 0
		.amdhsa_exception_int_div_zero 0
	.end_amdhsa_kernel
	.section	.text._ZN9rocsparseL18bsrxmvn_4x4_kernelILj128ELj8EfllDF16_DF16_fEEvT3_20rocsparse_direction_NS_24const_host_device_scalarIT1_EES1_PKS1_PKT2_SA_S7_PKT4_PKT5_S5_PT6_21rocsparse_index_base_b,"axG",@progbits,_ZN9rocsparseL18bsrxmvn_4x4_kernelILj128ELj8EfllDF16_DF16_fEEvT3_20rocsparse_direction_NS_24const_host_device_scalarIT1_EES1_PKS1_PKT2_SA_S7_PKT4_PKT5_S5_PT6_21rocsparse_index_base_b,comdat
.Lfunc_end101:
	.size	_ZN9rocsparseL18bsrxmvn_4x4_kernelILj128ELj8EfllDF16_DF16_fEEvT3_20rocsparse_direction_NS_24const_host_device_scalarIT1_EES1_PKS1_PKT2_SA_S7_PKT4_PKT5_S5_PT6_21rocsparse_index_base_b, .Lfunc_end101-_ZN9rocsparseL18bsrxmvn_4x4_kernelILj128ELj8EfllDF16_DF16_fEEvT3_20rocsparse_direction_NS_24const_host_device_scalarIT1_EES1_PKS1_PKT2_SA_S7_PKT4_PKT5_S5_PT6_21rocsparse_index_base_b
                                        ; -- End function
	.set _ZN9rocsparseL18bsrxmvn_4x4_kernelILj128ELj8EfllDF16_DF16_fEEvT3_20rocsparse_direction_NS_24const_host_device_scalarIT1_EES1_PKS1_PKT2_SA_S7_PKT4_PKT5_S5_PT6_21rocsparse_index_base_b.num_vgpr, 64
	.set _ZN9rocsparseL18bsrxmvn_4x4_kernelILj128ELj8EfllDF16_DF16_fEEvT3_20rocsparse_direction_NS_24const_host_device_scalarIT1_EES1_PKS1_PKT2_SA_S7_PKT4_PKT5_S5_PT6_21rocsparse_index_base_b.num_agpr, 0
	.set _ZN9rocsparseL18bsrxmvn_4x4_kernelILj128ELj8EfllDF16_DF16_fEEvT3_20rocsparse_direction_NS_24const_host_device_scalarIT1_EES1_PKS1_PKT2_SA_S7_PKT4_PKT5_S5_PT6_21rocsparse_index_base_b.numbered_sgpr, 20
	.set _ZN9rocsparseL18bsrxmvn_4x4_kernelILj128ELj8EfllDF16_DF16_fEEvT3_20rocsparse_direction_NS_24const_host_device_scalarIT1_EES1_PKS1_PKT2_SA_S7_PKT4_PKT5_S5_PT6_21rocsparse_index_base_b.num_named_barrier, 0
	.set _ZN9rocsparseL18bsrxmvn_4x4_kernelILj128ELj8EfllDF16_DF16_fEEvT3_20rocsparse_direction_NS_24const_host_device_scalarIT1_EES1_PKS1_PKT2_SA_S7_PKT4_PKT5_S5_PT6_21rocsparse_index_base_b.private_seg_size, 0
	.set _ZN9rocsparseL18bsrxmvn_4x4_kernelILj128ELj8EfllDF16_DF16_fEEvT3_20rocsparse_direction_NS_24const_host_device_scalarIT1_EES1_PKS1_PKT2_SA_S7_PKT4_PKT5_S5_PT6_21rocsparse_index_base_b.uses_vcc, 1
	.set _ZN9rocsparseL18bsrxmvn_4x4_kernelILj128ELj8EfllDF16_DF16_fEEvT3_20rocsparse_direction_NS_24const_host_device_scalarIT1_EES1_PKS1_PKT2_SA_S7_PKT4_PKT5_S5_PT6_21rocsparse_index_base_b.uses_flat_scratch, 0
	.set _ZN9rocsparseL18bsrxmvn_4x4_kernelILj128ELj8EfllDF16_DF16_fEEvT3_20rocsparse_direction_NS_24const_host_device_scalarIT1_EES1_PKS1_PKT2_SA_S7_PKT4_PKT5_S5_PT6_21rocsparse_index_base_b.has_dyn_sized_stack, 0
	.set _ZN9rocsparseL18bsrxmvn_4x4_kernelILj128ELj8EfllDF16_DF16_fEEvT3_20rocsparse_direction_NS_24const_host_device_scalarIT1_EES1_PKS1_PKT2_SA_S7_PKT4_PKT5_S5_PT6_21rocsparse_index_base_b.has_recursion, 0
	.set _ZN9rocsparseL18bsrxmvn_4x4_kernelILj128ELj8EfllDF16_DF16_fEEvT3_20rocsparse_direction_NS_24const_host_device_scalarIT1_EES1_PKS1_PKT2_SA_S7_PKT4_PKT5_S5_PT6_21rocsparse_index_base_b.has_indirect_call, 0
	.section	.AMDGPU.csdata,"",@progbits
; Kernel info:
; codeLenInByte = 4024
; TotalNumSgprs: 22
; NumVgprs: 64
; ScratchSize: 0
; MemoryBound: 0
; FloatMode: 240
; IeeeMode: 1
; LDSByteSize: 0 bytes/workgroup (compile time only)
; SGPRBlocks: 0
; VGPRBlocks: 7
; NumSGPRsForWavesPerEU: 22
; NumVGPRsForWavesPerEU: 64
; Occupancy: 16
; WaveLimiterHint : 1
; COMPUTE_PGM_RSRC2:SCRATCH_EN: 0
; COMPUTE_PGM_RSRC2:USER_SGPR: 6
; COMPUTE_PGM_RSRC2:TRAP_HANDLER: 0
; COMPUTE_PGM_RSRC2:TGID_X_EN: 1
; COMPUTE_PGM_RSRC2:TGID_Y_EN: 0
; COMPUTE_PGM_RSRC2:TGID_Z_EN: 0
; COMPUTE_PGM_RSRC2:TIDIG_COMP_CNT: 0
	.section	.text._ZN9rocsparseL18bsrxmvn_4x4_kernelILj128ELj16EfllDF16_DF16_fEEvT3_20rocsparse_direction_NS_24const_host_device_scalarIT1_EES1_PKS1_PKT2_SA_S7_PKT4_PKT5_S5_PT6_21rocsparse_index_base_b,"axG",@progbits,_ZN9rocsparseL18bsrxmvn_4x4_kernelILj128ELj16EfllDF16_DF16_fEEvT3_20rocsparse_direction_NS_24const_host_device_scalarIT1_EES1_PKS1_PKT2_SA_S7_PKT4_PKT5_S5_PT6_21rocsparse_index_base_b,comdat
	.globl	_ZN9rocsparseL18bsrxmvn_4x4_kernelILj128ELj16EfllDF16_DF16_fEEvT3_20rocsparse_direction_NS_24const_host_device_scalarIT1_EES1_PKS1_PKT2_SA_S7_PKT4_PKT5_S5_PT6_21rocsparse_index_base_b ; -- Begin function _ZN9rocsparseL18bsrxmvn_4x4_kernelILj128ELj16EfllDF16_DF16_fEEvT3_20rocsparse_direction_NS_24const_host_device_scalarIT1_EES1_PKS1_PKT2_SA_S7_PKT4_PKT5_S5_PT6_21rocsparse_index_base_b
	.p2align	8
	.type	_ZN9rocsparseL18bsrxmvn_4x4_kernelILj128ELj16EfllDF16_DF16_fEEvT3_20rocsparse_direction_NS_24const_host_device_scalarIT1_EES1_PKS1_PKT2_SA_S7_PKT4_PKT5_S5_PT6_21rocsparse_index_base_b,@function
_ZN9rocsparseL18bsrxmvn_4x4_kernelILj128ELj16EfllDF16_DF16_fEEvT3_20rocsparse_direction_NS_24const_host_device_scalarIT1_EES1_PKS1_PKT2_SA_S7_PKT4_PKT5_S5_PT6_21rocsparse_index_base_b: ; @_ZN9rocsparseL18bsrxmvn_4x4_kernelILj128ELj16EfllDF16_DF16_fEEvT3_20rocsparse_direction_NS_24const_host_device_scalarIT1_EES1_PKS1_PKT2_SA_S7_PKT4_PKT5_S5_PT6_21rocsparse_index_base_b
; %bb.0:
	s_clause 0x2
	s_load_dwordx2 s[0:1], s[4:5], 0x60
	s_load_dwordx4 s[16:19], s[4:5], 0x10
	s_load_dwordx2 s[2:3], s[4:5], 0x50
	s_waitcnt lgkmcnt(0)
	s_bitcmp1_b32 s1, 0
	s_cselect_b32 s1, -1, 0
	s_and_b32 vcc_lo, exec_lo, s1
	s_xor_b32 s1, s1, -1
	s_cbranch_vccnz .LBB102_2
; %bb.1:
	s_load_dword s16, s[16:17], 0x0
.LBB102_2:
	s_andn2_b32 vcc_lo, exec_lo, s1
	s_cbranch_vccnz .LBB102_4
; %bb.3:
	s_load_dword s2, s[2:3], 0x0
.LBB102_4:
	s_waitcnt lgkmcnt(0)
	v_cmp_neq_f32_e64 s1, s16, 0
	v_cmp_neq_f32_e64 s3, s2, 1.0
	s_or_b32 s1, s1, s3
	s_mov_b32 s3, 0
	s_andn2_b32 vcc_lo, exec_lo, s1
	s_cbranch_vccnz .LBB102_10
; %bb.5:
	s_load_dwordx2 s[8:9], s[4:5], 0x20
	v_lshrrev_b32_e32 v1, 4, v0
	v_mov_b32_e32 v6, 0
	v_lshl_or_b32 v5, s6, 3, v1
	s_waitcnt lgkmcnt(0)
	s_cmp_lg_u64 s[8:9], 0
	s_cbranch_scc0 .LBB102_11
; %bb.6:
	s_mov_b32 s6, 0
                                        ; implicit-def: $vgpr3_vgpr4
                                        ; implicit-def: $vgpr1_vgpr2
	s_mov_b32 s1, exec_lo
	v_cmpx_gt_i64_e64 s[18:19], v[5:6]
	s_xor_b32 s7, exec_lo, s1
	s_cbranch_execz .LBB102_8
; %bb.7:
	v_lshlrev_b64 v[1:2], 3, v[5:6]
	s_mov_b32 s1, 0
	s_mov_b32 s3, exec_lo
	v_add_co_u32 v1, vcc_lo, s8, v1
	v_add_co_ci_u32_e64 v2, null, s9, v2, vcc_lo
	global_load_dwordx2 v[1:2], v[1:2], off
	s_waitcnt vmcnt(0)
	v_sub_co_u32 v3, vcc_lo, v1, s0
	v_subrev_co_ci_u32_e64 v4, null, 0, v2, vcc_lo
	v_mov_b32_e32 v2, s1
	v_mov_b32_e32 v1, s0
.LBB102_8:
	s_or_b32 exec_lo, exec_lo, s7
	s_and_b32 vcc_lo, exec_lo, s6
	s_cbranch_vccnz .LBB102_12
.LBB102_9:
	s_and_saveexec_b32 s0, s3
	s_cbranch_execnz .LBB102_15
.LBB102_10:
	s_endpgm
.LBB102_11:
                                        ; implicit-def: $vgpr3_vgpr4
                                        ; implicit-def: $vgpr1_vgpr2
	s_cbranch_execz .LBB102_9
.LBB102_12:
	s_load_dwordx2 s[6:7], s[4:5], 0x0
	s_waitcnt lgkmcnt(0)
	v_cmp_gt_i64_e32 vcc_lo, s[6:7], v[5:6]
	s_and_saveexec_b32 s6, vcc_lo
; %bb.13:
	s_mov_b32 s1, 0
	s_or_b32 s3, s3, exec_lo
; %bb.14:
	s_or_b32 exec_lo, exec_lo, s6
	v_mov_b32_e32 v2, s1
	v_mov_b32_e32 v3, v5
	;; [unrolled: 1-line block ×4, first 2 shown]
	s_and_saveexec_b32 s0, s3
	s_cbranch_execz .LBB102_10
.LBB102_15:
	s_load_dwordx8 s[8:15], s[4:5], 0x28
	v_lshlrev_b64 v[5:6], 3, v[3:4]
	v_and_b32_e32 v0, 15, v0
	s_clause 0x1
	s_load_dword s1, s[4:5], 0x8
	s_load_dwordx2 s[6:7], s[4:5], 0x48
	v_mov_b32_e32 v25, 0
	s_waitcnt lgkmcnt(0)
	v_add_co_u32 v7, vcc_lo, s8, v5
	v_add_co_ci_u32_e64 v8, null, s9, v6, vcc_lo
	v_add_co_u32 v5, vcc_lo, s10, v5
	v_add_co_ci_u32_e64 v6, null, s11, v6, vcc_lo
	v_add_co_u32 v9, vcc_lo, v7, 8
	global_load_dwordx2 v[13:14], v[7:8], off
	v_add_co_ci_u32_e64 v10, null, 0, v8, vcc_lo
	s_cmp_eq_u64 s[10:11], 0
	s_cselect_b32 vcc_lo, -1, 0
	s_cmp_eq_u32 s1, 1
	v_cndmask_b32_e32 v6, v6, v10, vcc_lo
	v_cndmask_b32_e32 v5, v5, v9, vcc_lo
	global_load_dwordx2 v[7:8], v[5:6], off
	s_waitcnt vmcnt(1)
	v_sub_co_u32 v5, vcc_lo, v13, v1
	v_sub_co_ci_u32_e64 v6, null, v14, v2, vcc_lo
	v_add_co_u32 v5, vcc_lo, v5, v0
	v_add_co_ci_u32_e64 v6, null, 0, v6, vcc_lo
	v_lshlrev_b64 v[9:10], 5, v[5:6]
	s_waitcnt vmcnt(0)
	v_sub_co_u32 v7, vcc_lo, v7, v1
	v_sub_co_ci_u32_e64 v8, null, v8, v2, vcc_lo
	v_add_co_u32 v9, vcc_lo, s14, v9
	v_cmp_lt_i64_e64 s0, v[5:6], v[7:8]
	v_add_co_ci_u32_e64 v10, null, s15, v10, vcc_lo
	s_cbranch_scc1 .LBB102_27
; %bb.16:
	v_mov_b32_e32 v26, 0
	v_mov_b32_e32 v27, 0
	;; [unrolled: 1-line block ×3, first 2 shown]
	s_and_saveexec_b32 s3, s0
	s_cbranch_execz .LBB102_26
; %bb.17:
	v_or_b32_e32 v11, 16, v0
	v_not_b32_e32 v16, v13
	v_sub_co_u32 v17, s1, v1, v0
	v_not_b32_e32 v15, v14
	v_sub_co_u32 v11, vcc_lo, v11, v1
	v_sub_co_ci_u32_e64 v12, null, 0, v2, vcc_lo
	v_subrev_co_ci_u32_e64 v18, null, 0, v2, s1
	v_add_co_u32 v11, vcc_lo, v11, v13
	v_add_co_ci_u32_e64 v12, null, v12, v14, vcc_lo
	s_mov_b32 s1, exec_lo
	v_cmp_gt_i64_e32 vcc_lo, v[11:12], v[7:8]
	v_cndmask_b32_e32 v20, v8, v12, vcc_lo
	v_cndmask_b32_e32 v11, v7, v11, vcc_lo
	v_add_co_u32 v12, vcc_lo, v17, v16
	v_add_co_ci_u32_e64 v15, null, v18, v15, vcc_lo
	v_mov_b32_e32 v18, v10
	v_add_co_u32 v19, vcc_lo, v12, v11
	v_mov_b32_e32 v12, 0
	v_add_co_ci_u32_e64 v20, null, v15, v20, vcc_lo
	v_mov_b32_e32 v16, v6
	v_and_b32_e32 v11, 48, v19
	v_mov_b32_e32 v27, v12
	v_mov_b32_e32 v26, v12
	;; [unrolled: 1-line block ×5, first 2 shown]
	v_cmpx_ne_u64_e32 48, v[11:12]
	s_cbranch_execz .LBB102_21
; %bb.18:
	v_lshrrev_b32_e32 v11, 4, v19
	v_mov_b32_e32 v18, v10
	v_mov_b32_e32 v16, v6
	;; [unrolled: 1-line block ×4, first 2 shown]
	v_add_nc_u32_e32 v21, 1, v11
	v_lshlrev_b64 v[11:12], 3, v[5:6]
	v_mov_b32_e32 v15, v5
	v_mov_b32_e32 v26, 0
	;; [unrolled: 1-line block ×3, first 2 shown]
	v_and_b32_e32 v23, 3, v21
	v_add_co_u32 v21, vcc_lo, s12, v11
	v_add_co_ci_u32_e64 v22, null, s13, v12, vcc_lo
	v_sub_co_u32 v23, s8, 0, v23
	v_sub_co_ci_u32_e64 v24, null, 0, 0, s8
	v_mov_b32_e32 v12, 0
	s_mov_b32 s8, 0
.LBB102_19:                             ; =>This Inner Loop Header: Depth=1
	global_load_dwordx2 v[36:37], v[21:22], off
	s_clause 0x1
	global_load_dwordx4 v[28:31], v[17:18], off
	global_load_dwordx4 v[32:35], v[17:18], off offset:16
	s_waitcnt vmcnt(2)
	v_sub_co_u32 v36, vcc_lo, v36, v1
	v_sub_co_ci_u32_e64 v37, null, v37, v2, vcc_lo
	v_lshlrev_b64 v[36:37], 3, v[36:37]
	v_add_co_u32 v36, vcc_lo, s6, v36
	v_add_co_ci_u32_e64 v37, null, s7, v37, vcc_lo
	v_add_co_u32 v17, vcc_lo, 0x200, v17
	v_add_co_ci_u32_e64 v18, null, 0, v18, vcc_lo
	global_load_dwordx2 v[36:37], v[36:37], off
	v_add_co_u32 v15, vcc_lo, v15, 16
	v_add_co_ci_u32_e64 v16, null, 0, v16, vcc_lo
	v_add_co_u32 v21, vcc_lo, 0x80, v21
	v_add_co_ci_u32_e64 v22, null, 0, v22, vcc_lo
	;; [unrolled: 2-line block ×3, first 2 shown]
	v_cmp_eq_u64_e32 vcc_lo, 0, v[23:24]
	s_or_b32 s8, vcc_lo, s8
	s_waitcnt vmcnt(0)
	v_fma_mix_f32 v11, v28, v36, v12 op_sel_hi:[1,1,0]
	v_fma_mix_f32 v12, v30, v36, v27 op_sel_hi:[1,1,0]
	;; [unrolled: 1-line block ×4, first 2 shown]
	v_fma_mix_f32 v11, v28, v36, v11 op_sel:[1,1,0] op_sel_hi:[1,1,0]
	v_fma_mix_f32 v12, v30, v36, v12 op_sel:[1,1,0] op_sel_hi:[1,1,0]
	;; [unrolled: 1-line block ×4, first 2 shown]
	v_fma_mix_f32 v11, v29, v37, v11 op_sel_hi:[1,1,0]
	v_fma_mix_f32 v27, v31, v37, v12 op_sel_hi:[1,1,0]
	;; [unrolled: 1-line block ×4, first 2 shown]
	v_fma_mix_f32 v12, v29, v37, v11 op_sel:[1,1,0] op_sel_hi:[1,1,0]
	v_fma_mix_f32 v27, v31, v37, v27 op_sel:[1,1,0] op_sel_hi:[1,1,0]
	v_fma_mix_f32 v26, v33, v37, v26 op_sel:[1,1,0] op_sel_hi:[1,1,0]
	v_fma_mix_f32 v25, v35, v37, v25 op_sel:[1,1,0] op_sel_hi:[1,1,0]
	s_andn2_b32 exec_lo, exec_lo, s8
	s_cbranch_execnz .LBB102_19
; %bb.20:
	s_or_b32 exec_lo, exec_lo, s8
.LBB102_21:
	s_or_b32 exec_lo, exec_lo, s1
	s_mov_b32 s8, exec_lo
	v_cmpx_lt_u64_e32 47, v[19:20]
	s_cbranch_execz .LBB102_25
; %bb.22:
	v_lshlrev_b64 v[19:20], 3, v[15:16]
	s_mov_b32 s9, 0
	v_add_co_u32 v11, vcc_lo, s12, v19
	v_add_co_ci_u32_e64 v20, null, s13, v20, vcc_lo
	v_add_co_u32 v19, vcc_lo, 0x100, v11
	v_add_co_ci_u32_e64 v20, null, 0, v20, vcc_lo
.LBB102_23:                             ; =>This Inner Loop Header: Depth=1
	s_clause 0x3
	global_load_dwordx2 v[56:57], v[19:20], off offset:-256
	global_load_dwordx2 v[58:59], v[19:20], off offset:-128
	global_load_dwordx2 v[60:61], v[19:20], off
	global_load_dwordx2 v[62:63], v[19:20], off offset:128
	s_clause 0x7
	global_load_dwordx4 v[21:24], v[17:18], off
	global_load_dwordx4 v[28:31], v[17:18], off offset:16
	global_load_dwordx4 v[32:35], v[17:18], off offset:512
	;; [unrolled: 1-line block ×7, first 2 shown]
	s_waitcnt vmcnt(11)
	v_sub_co_u32 v56, vcc_lo, v56, v1
	v_sub_co_ci_u32_e64 v57, null, v57, v2, vcc_lo
	s_waitcnt vmcnt(10)
	v_sub_co_u32 v58, vcc_lo, v58, v1
	v_sub_co_ci_u32_e64 v59, null, v59, v2, vcc_lo
	v_lshlrev_b64 v[56:57], 3, v[56:57]
	s_waitcnt vmcnt(9)
	v_sub_co_u32 v60, vcc_lo, v60, v1
	v_lshlrev_b64 v[58:59], 3, v[58:59]
	v_sub_co_ci_u32_e64 v61, null, v61, v2, vcc_lo
	v_add_co_u32 v56, s1, s6, v56
	v_add_co_ci_u32_e64 v57, null, s7, v57, s1
	v_add_co_u32 v58, vcc_lo, s6, v58
	v_add_co_ci_u32_e64 v59, null, s7, v59, vcc_lo
	global_load_dwordx2 v[56:57], v[56:57], off
	v_lshlrev_b64 v[60:61], 3, v[60:61]
	s_waitcnt vmcnt(9)
	v_sub_co_u32 v62, vcc_lo, v62, v1
	global_load_dwordx2 v[58:59], v[58:59], off
	v_sub_co_ci_u32_e64 v63, null, v63, v2, vcc_lo
	v_add_co_u32 v60, s1, s6, v60
	v_add_co_ci_u32_e64 v61, null, s7, v61, s1
	v_lshlrev_b64 v[62:63], 3, v[62:63]
	v_add_co_u32 v17, s1, 0x800, v17
	global_load_dwordx2 v[60:61], v[60:61], off
	v_add_co_ci_u32_e64 v18, null, 0, v18, s1
	v_add_co_u32 v62, vcc_lo, s6, v62
	v_add_co_ci_u32_e64 v63, null, s7, v63, vcc_lo
	v_add_co_u32 v15, s1, v15, 64
	v_add_co_ci_u32_e64 v16, null, 0, v16, s1
	global_load_dwordx2 v[62:63], v[62:63], off
	v_add_co_u32 v19, vcc_lo, 0x200, v19
	v_add_co_ci_u32_e64 v20, null, 0, v20, vcc_lo
	v_cmp_ge_i64_e32 vcc_lo, v[15:16], v[7:8]
	s_or_b32 s9, vcc_lo, s9
	s_waitcnt vmcnt(3)
	v_fma_mix_f32 v11, v21, v56, v12 op_sel_hi:[1,1,0]
	v_fma_mix_f32 v12, v23, v56, v27 op_sel_hi:[1,1,0]
	v_fma_mix_f32 v26, v28, v56, v26 op_sel_hi:[1,1,0]
	v_fma_mix_f32 v25, v30, v56, v25 op_sel_hi:[1,1,0]
	v_fma_mix_f32 v11, v21, v56, v11 op_sel:[1,1,0] op_sel_hi:[1,1,0]
	v_fma_mix_f32 v12, v23, v56, v12 op_sel:[1,1,0] op_sel_hi:[1,1,0]
	v_fma_mix_f32 v21, v28, v56, v26 op_sel:[1,1,0] op_sel_hi:[1,1,0]
	v_fma_mix_f32 v23, v30, v56, v25 op_sel:[1,1,0] op_sel_hi:[1,1,0]
	v_fma_mix_f32 v11, v22, v57, v11 op_sel_hi:[1,1,0]
	v_fma_mix_f32 v12, v24, v57, v12 op_sel_hi:[1,1,0]
	v_fma_mix_f32 v21, v29, v57, v21 op_sel_hi:[1,1,0]
	v_fma_mix_f32 v23, v31, v57, v23 op_sel_hi:[1,1,0]
	v_fma_mix_f32 v11, v22, v57, v11 op_sel:[1,1,0] op_sel_hi:[1,1,0]
	v_fma_mix_f32 v12, v24, v57, v12 op_sel:[1,1,0] op_sel_hi:[1,1,0]
	v_fma_mix_f32 v21, v29, v57, v21 op_sel:[1,1,0] op_sel_hi:[1,1,0]
	v_fma_mix_f32 v22, v31, v57, v23 op_sel:[1,1,0] op_sel_hi:[1,1,0]
	s_waitcnt vmcnt(2)
	v_fma_mix_f32 v11, v32, v58, v11 op_sel_hi:[1,1,0]
	v_fma_mix_f32 v12, v34, v58, v12 op_sel_hi:[1,1,0]
	v_fma_mix_f32 v21, v36, v58, v21 op_sel_hi:[1,1,0]
	v_fma_mix_f32 v22, v38, v58, v22 op_sel_hi:[1,1,0]
	v_fma_mix_f32 v11, v32, v58, v11 op_sel:[1,1,0] op_sel_hi:[1,1,0]
	v_fma_mix_f32 v12, v34, v58, v12 op_sel:[1,1,0] op_sel_hi:[1,1,0]
	v_fma_mix_f32 v21, v36, v58, v21 op_sel:[1,1,0] op_sel_hi:[1,1,0]
	v_fma_mix_f32 v22, v38, v58, v22 op_sel:[1,1,0] op_sel_hi:[1,1,0]
	v_fma_mix_f32 v11, v33, v59, v11 op_sel_hi:[1,1,0]
	v_fma_mix_f32 v12, v35, v59, v12 op_sel_hi:[1,1,0]
	v_fma_mix_f32 v21, v37, v59, v21 op_sel_hi:[1,1,0]
	v_fma_mix_f32 v22, v39, v59, v22 op_sel_hi:[1,1,0]
	v_fma_mix_f32 v11, v33, v59, v11 op_sel:[1,1,0] op_sel_hi:[1,1,0]
	v_fma_mix_f32 v12, v35, v59, v12 op_sel:[1,1,0] op_sel_hi:[1,1,0]
	v_fma_mix_f32 v21, v37, v59, v21 op_sel:[1,1,0] op_sel_hi:[1,1,0]
	v_fma_mix_f32 v22, v39, v59, v22 op_sel:[1,1,0] op_sel_hi:[1,1,0]
	s_waitcnt vmcnt(1)
	v_fma_mix_f32 v11, v40, v60, v11 op_sel_hi:[1,1,0]
	v_fma_mix_f32 v12, v42, v60, v12 op_sel_hi:[1,1,0]
	v_fma_mix_f32 v21, v44, v60, v21 op_sel_hi:[1,1,0]
	v_fma_mix_f32 v22, v46, v60, v22 op_sel_hi:[1,1,0]
	v_fma_mix_f32 v11, v40, v60, v11 op_sel:[1,1,0] op_sel_hi:[1,1,0]
	v_fma_mix_f32 v12, v42, v60, v12 op_sel:[1,1,0] op_sel_hi:[1,1,0]
	v_fma_mix_f32 v21, v44, v60, v21 op_sel:[1,1,0] op_sel_hi:[1,1,0]
	v_fma_mix_f32 v22, v46, v60, v22 op_sel:[1,1,0] op_sel_hi:[1,1,0]
	v_fma_mix_f32 v11, v41, v61, v11 op_sel_hi:[1,1,0]
	v_fma_mix_f32 v12, v43, v61, v12 op_sel_hi:[1,1,0]
	v_fma_mix_f32 v21, v45, v61, v21 op_sel_hi:[1,1,0]
	v_fma_mix_f32 v22, v47, v61, v22 op_sel_hi:[1,1,0]
	v_fma_mix_f32 v11, v41, v61, v11 op_sel:[1,1,0] op_sel_hi:[1,1,0]
	v_fma_mix_f32 v12, v43, v61, v12 op_sel:[1,1,0] op_sel_hi:[1,1,0]
	v_fma_mix_f32 v21, v45, v61, v21 op_sel:[1,1,0] op_sel_hi:[1,1,0]
	v_fma_mix_f32 v22, v47, v61, v22 op_sel:[1,1,0] op_sel_hi:[1,1,0]
	s_waitcnt vmcnt(0)
	v_fma_mix_f32 v11, v48, v62, v11 op_sel_hi:[1,1,0]
	v_fma_mix_f32 v12, v50, v62, v12 op_sel_hi:[1,1,0]
	v_fma_mix_f32 v21, v52, v62, v21 op_sel_hi:[1,1,0]
	v_fma_mix_f32 v22, v54, v62, v22 op_sel_hi:[1,1,0]
	v_fma_mix_f32 v11, v48, v62, v11 op_sel:[1,1,0] op_sel_hi:[1,1,0]
	v_fma_mix_f32 v12, v50, v62, v12 op_sel:[1,1,0] op_sel_hi:[1,1,0]
	v_fma_mix_f32 v21, v52, v62, v21 op_sel:[1,1,0] op_sel_hi:[1,1,0]
	v_fma_mix_f32 v22, v54, v62, v22 op_sel:[1,1,0] op_sel_hi:[1,1,0]
	v_fma_mix_f32 v11, v49, v63, v11 op_sel_hi:[1,1,0]
	v_fma_mix_f32 v23, v51, v63, v12 op_sel_hi:[1,1,0]
	v_fma_mix_f32 v21, v53, v63, v21 op_sel_hi:[1,1,0]
	v_fma_mix_f32 v22, v55, v63, v22 op_sel_hi:[1,1,0]
	v_fma_mix_f32 v12, v49, v63, v11 op_sel:[1,1,0] op_sel_hi:[1,1,0]
	v_fma_mix_f32 v27, v51, v63, v23 op_sel:[1,1,0] op_sel_hi:[1,1,0]
	v_fma_mix_f32 v26, v53, v63, v21 op_sel:[1,1,0] op_sel_hi:[1,1,0]
	v_fma_mix_f32 v25, v55, v63, v22 op_sel:[1,1,0] op_sel_hi:[1,1,0]
	s_andn2_b32 exec_lo, exec_lo, s9
	s_cbranch_execnz .LBB102_23
; %bb.24:
	s_or_b32 exec_lo, exec_lo, s9
.LBB102_25:
	s_or_b32 exec_lo, exec_lo, s8
.LBB102_26:
	s_or_b32 exec_lo, exec_lo, s3
	s_cbranch_execz .LBB102_28
	s_branch .LBB102_39
.LBB102_27:
                                        ; implicit-def: $vgpr25
                                        ; implicit-def: $vgpr26
                                        ; implicit-def: $vgpr27
                                        ; implicit-def: $vgpr12
.LBB102_28:
	v_mov_b32_e32 v25, 0
	v_mov_b32_e32 v26, 0
	;; [unrolled: 1-line block ×4, first 2 shown]
	s_and_saveexec_b32 s1, s0
	s_cbranch_execz .LBB102_38
; %bb.29:
	v_or_b32_e32 v11, 16, v0
	v_sub_co_u32 v15, s0, v1, v0
	v_subrev_co_ci_u32_e64 v16, null, 0, v2, s0
	v_sub_co_u32 v11, vcc_lo, v11, v1
	v_sub_co_ci_u32_e64 v12, null, 0, v2, vcc_lo
	s_mov_b32 s0, exec_lo
	v_add_co_u32 v11, vcc_lo, v11, v13
	v_add_co_ci_u32_e64 v12, null, v12, v14, vcc_lo
	v_not_b32_e32 v13, v13
	v_not_b32_e32 v14, v14
	v_cmp_gt_i64_e32 vcc_lo, v[11:12], v[7:8]
	v_cndmask_b32_e32 v17, v8, v12, vcc_lo
	v_cndmask_b32_e32 v11, v7, v11, vcc_lo
	v_add_co_u32 v12, vcc_lo, v15, v13
	v_add_co_ci_u32_e64 v14, null, v16, v14, vcc_lo
	v_add_co_u32 v13, vcc_lo, v12, v11
	v_mov_b32_e32 v12, 0
	v_add_co_ci_u32_e64 v14, null, v14, v17, vcc_lo
	v_and_b32_e32 v11, 48, v13
	v_mov_b32_e32 v27, v12
	v_mov_b32_e32 v26, v12
	;; [unrolled: 1-line block ×3, first 2 shown]
	v_cmpx_ne_u64_e32 48, v[11:12]
	s_cbranch_execz .LBB102_33
; %bb.30:
	v_lshrrev_b32_e32 v11, 4, v13
	v_mov_b32_e32 v25, 0
	v_mov_b32_e32 v26, 0
	;; [unrolled: 1-line block ×3, first 2 shown]
	v_add_nc_u32_e32 v15, 1, v11
	v_lshlrev_b64 v[11:12], 3, v[5:6]
	v_and_b32_e32 v17, 3, v15
	v_add_co_u32 v15, vcc_lo, s12, v11
	v_add_co_ci_u32_e64 v16, null, s13, v12, vcc_lo
	v_sub_co_u32 v17, s3, 0, v17
	v_sub_co_ci_u32_e64 v18, null, 0, 0, s3
	v_mov_b32_e32 v12, 0
	s_mov_b32 s3, 0
.LBB102_31:                             ; =>This Inner Loop Header: Depth=1
	global_load_dwordx2 v[23:24], v[15:16], off
	global_load_dwordx4 v[19:22], v[9:10], off
	s_waitcnt vmcnt(1)
	v_sub_co_u32 v23, vcc_lo, v23, v1
	v_sub_co_ci_u32_e64 v24, null, v24, v2, vcc_lo
	v_lshlrev_b64 v[23:24], 3, v[23:24]
	v_add_co_u32 v23, vcc_lo, s6, v23
	v_add_co_ci_u32_e64 v24, null, s7, v24, vcc_lo
	global_load_dwordx2 v[23:24], v[23:24], off
	global_load_dwordx4 v[28:31], v[9:10], off offset:16
	v_add_co_u32 v9, vcc_lo, 0x200, v9
	v_add_co_ci_u32_e64 v10, null, 0, v10, vcc_lo
	v_add_co_u32 v5, vcc_lo, v5, 16
	v_add_co_ci_u32_e64 v6, null, 0, v6, vcc_lo
	;; [unrolled: 2-line block ×4, first 2 shown]
	v_cmp_eq_u64_e32 vcc_lo, 0, v[17:18]
	s_or_b32 s3, vcc_lo, s3
	s_waitcnt vmcnt(1)
	v_fma_mix_f32 v11, v19, v23, v12 op_sel_hi:[1,1,0]
	v_fma_mix_f32 v12, v19, v23, v27 op_sel:[1,0,0] op_sel_hi:[1,1,0]
	v_fma_mix_f32 v19, v20, v23, v26 op_sel_hi:[1,1,0]
	v_fma_mix_f32 v20, v20, v23, v25 op_sel:[1,0,0] op_sel_hi:[1,1,0]
	v_fma_mix_f32 v11, v21, v23, v11 op_sel:[0,1,0] op_sel_hi:[1,1,0]
	;; [unrolled: 1-line block ×5, first 2 shown]
	s_waitcnt vmcnt(0)
	v_fma_mix_f32 v11, v28, v24, v11 op_sel_hi:[1,1,0]
	v_fma_mix_f32 v21, v28, v24, v12 op_sel:[1,0,0] op_sel_hi:[1,1,0]
	v_fma_mix_f32 v19, v29, v24, v19 op_sel_hi:[1,1,0]
	v_fma_mix_f32 v20, v29, v24, v20 op_sel:[1,0,0] op_sel_hi:[1,1,0]
	v_fma_mix_f32 v12, v30, v24, v11 op_sel:[0,1,0] op_sel_hi:[1,1,0]
	;; [unrolled: 1-line block ×5, first 2 shown]
	s_andn2_b32 exec_lo, exec_lo, s3
	s_cbranch_execnz .LBB102_31
; %bb.32:
	s_or_b32 exec_lo, exec_lo, s3
.LBB102_33:
	s_or_b32 exec_lo, exec_lo, s0
	s_mov_b32 s3, exec_lo
	v_cmpx_lt_u64_e32 47, v[13:14]
	s_cbranch_execz .LBB102_37
; %bb.34:
	v_lshlrev_b64 v[13:14], 3, v[5:6]
	s_mov_b32 s8, 0
	v_add_co_u32 v11, vcc_lo, s12, v13
	v_add_co_ci_u32_e64 v14, null, s13, v14, vcc_lo
	v_add_co_u32 v13, vcc_lo, 0x100, v11
	v_add_co_ci_u32_e64 v14, null, 0, v14, vcc_lo
.LBB102_35:                             ; =>This Inner Loop Header: Depth=1
	s_clause 0x3
	global_load_dwordx2 v[23:24], v[13:14], off offset:-256
	global_load_dwordx2 v[48:49], v[13:14], off offset:-128
	global_load_dwordx2 v[50:51], v[13:14], off
	global_load_dwordx2 v[52:53], v[13:14], off offset:128
	s_clause 0x6
	global_load_dwordx4 v[15:18], v[9:10], off
	global_load_dwordx4 v[19:22], v[9:10], off offset:16
	global_load_dwordx4 v[28:31], v[9:10], off offset:512
	;; [unrolled: 1-line block ×6, first 2 shown]
	s_waitcnt vmcnt(10)
	v_sub_co_u32 v23, vcc_lo, v23, v1
	v_sub_co_ci_u32_e64 v24, null, v24, v2, vcc_lo
	s_waitcnt vmcnt(9)
	v_sub_co_u32 v48, vcc_lo, v48, v1
	v_sub_co_ci_u32_e64 v49, null, v49, v2, vcc_lo
	v_lshlrev_b64 v[23:24], 3, v[23:24]
	s_waitcnt vmcnt(8)
	v_sub_co_u32 v50, vcc_lo, v50, v1
	v_lshlrev_b64 v[48:49], 3, v[48:49]
	v_sub_co_ci_u32_e64 v51, null, v51, v2, vcc_lo
	v_add_co_u32 v23, s0, s6, v23
	v_add_co_ci_u32_e64 v24, null, s7, v24, s0
	v_add_co_u32 v48, vcc_lo, s6, v48
	v_add_co_ci_u32_e64 v49, null, s7, v49, vcc_lo
	s_clause 0x1
	global_load_dwordx2 v[23:24], v[23:24], off
	global_load_dwordx2 v[54:55], v[48:49], off
	v_lshlrev_b64 v[49:50], 3, v[50:51]
	s_waitcnt vmcnt(9)
	v_sub_co_u32 v48, vcc_lo, v52, v1
	v_add_co_u32 v49, s0, s6, v49
	v_add_co_ci_u32_e64 v50, null, s7, v50, s0
	global_load_dwordx2 v[56:57], v[49:50], off
	v_sub_co_ci_u32_e64 v49, null, v53, v2, vcc_lo
	v_lshlrev_b64 v[48:49], 3, v[48:49]
	v_add_co_u32 v48, vcc_lo, s6, v48
	v_add_co_ci_u32_e64 v49, null, s7, v49, vcc_lo
	global_load_dwordx2 v[52:53], v[48:49], off
	global_load_dwordx4 v[48:51], v[9:10], off offset:1552
	v_add_co_u32 v9, vcc_lo, 0x800, v9
	v_add_co_ci_u32_e64 v10, null, 0, v10, vcc_lo
	v_add_co_u32 v5, vcc_lo, v5, 64
	v_add_co_ci_u32_e64 v6, null, 0, v6, vcc_lo
	;; [unrolled: 2-line block ×3, first 2 shown]
	v_cmp_ge_i64_e32 vcc_lo, v[5:6], v[7:8]
	s_or_b32 s8, vcc_lo, s8
	s_waitcnt vmcnt(4)
	v_fma_mix_f32 v11, v15, v23, v12 op_sel_hi:[1,1,0]
	v_fma_mix_f32 v12, v15, v23, v27 op_sel:[1,0,0] op_sel_hi:[1,1,0]
	v_fma_mix_f32 v15, v16, v23, v26 op_sel_hi:[1,1,0]
	v_fma_mix_f32 v16, v16, v23, v25 op_sel:[1,0,0] op_sel_hi:[1,1,0]
	v_fma_mix_f32 v11, v17, v23, v11 op_sel:[0,1,0] op_sel_hi:[1,1,0]
	v_fma_mix_f32 v12, v17, v23, v12 op_sel:[1,1,0] op_sel_hi:[1,1,0]
	v_fma_mix_f32 v15, v18, v23, v15 op_sel:[0,1,0] op_sel_hi:[1,1,0]
	v_fma_mix_f32 v16, v18, v23, v16 op_sel:[1,1,0] op_sel_hi:[1,1,0]
	v_fma_mix_f32 v11, v19, v24, v11 op_sel_hi:[1,1,0]
	v_fma_mix_f32 v12, v19, v24, v12 op_sel:[1,0,0] op_sel_hi:[1,1,0]
	v_fma_mix_f32 v15, v20, v24, v15 op_sel_hi:[1,1,0]
	v_fma_mix_f32 v16, v20, v24, v16 op_sel:[1,0,0] op_sel_hi:[1,1,0]
	v_fma_mix_f32 v11, v21, v24, v11 op_sel:[0,1,0] op_sel_hi:[1,1,0]
	v_fma_mix_f32 v12, v21, v24, v12 op_sel:[1,1,0] op_sel_hi:[1,1,0]
	v_fma_mix_f32 v15, v22, v24, v15 op_sel:[0,1,0] op_sel_hi:[1,1,0]
	v_fma_mix_f32 v16, v22, v24, v16 op_sel:[1,1,0] op_sel_hi:[1,1,0]
	s_waitcnt vmcnt(3)
	v_fma_mix_f32 v11, v28, v54, v11 op_sel_hi:[1,1,0]
	v_fma_mix_f32 v12, v28, v54, v12 op_sel:[1,0,0] op_sel_hi:[1,1,0]
	v_fma_mix_f32 v15, v29, v54, v15 op_sel_hi:[1,1,0]
	v_fma_mix_f32 v16, v29, v54, v16 op_sel:[1,0,0] op_sel_hi:[1,1,0]
	v_fma_mix_f32 v11, v30, v54, v11 op_sel:[0,1,0] op_sel_hi:[1,1,0]
	v_fma_mix_f32 v12, v30, v54, v12 op_sel:[1,1,0] op_sel_hi:[1,1,0]
	v_fma_mix_f32 v15, v31, v54, v15 op_sel:[0,1,0] op_sel_hi:[1,1,0]
	v_fma_mix_f32 v16, v31, v54, v16 op_sel:[1,1,0] op_sel_hi:[1,1,0]
	v_fma_mix_f32 v11, v32, v55, v11 op_sel_hi:[1,1,0]
	v_fma_mix_f32 v12, v32, v55, v12 op_sel:[1,0,0] op_sel_hi:[1,1,0]
	v_fma_mix_f32 v15, v33, v55, v15 op_sel_hi:[1,1,0]
	v_fma_mix_f32 v16, v33, v55, v16 op_sel:[1,0,0] op_sel_hi:[1,1,0]
	v_fma_mix_f32 v11, v34, v55, v11 op_sel:[0,1,0] op_sel_hi:[1,1,0]
	v_fma_mix_f32 v12, v34, v55, v12 op_sel:[1,1,0] op_sel_hi:[1,1,0]
	v_fma_mix_f32 v15, v35, v55, v15 op_sel:[0,1,0] op_sel_hi:[1,1,0]
	v_fma_mix_f32 v16, v35, v55, v16 op_sel:[1,1,0] op_sel_hi:[1,1,0]
	;; [unrolled: 17-line block ×3, first 2 shown]
	s_waitcnt vmcnt(1)
	v_fma_mix_f32 v11, v44, v52, v11 op_sel_hi:[1,1,0]
	v_fma_mix_f32 v12, v44, v52, v12 op_sel:[1,0,0] op_sel_hi:[1,1,0]
	v_fma_mix_f32 v15, v45, v52, v15 op_sel_hi:[1,1,0]
	v_fma_mix_f32 v16, v45, v52, v16 op_sel:[1,0,0] op_sel_hi:[1,1,0]
	v_fma_mix_f32 v11, v46, v52, v11 op_sel:[0,1,0] op_sel_hi:[1,1,0]
	;; [unrolled: 1-line block ×5, first 2 shown]
	s_waitcnt vmcnt(0)
	v_fma_mix_f32 v11, v48, v53, v11 op_sel_hi:[1,1,0]
	v_fma_mix_f32 v17, v48, v53, v12 op_sel:[1,0,0] op_sel_hi:[1,1,0]
	v_fma_mix_f32 v15, v49, v53, v15 op_sel_hi:[1,1,0]
	v_fma_mix_f32 v16, v49, v53, v16 op_sel:[1,0,0] op_sel_hi:[1,1,0]
	v_fma_mix_f32 v12, v50, v53, v11 op_sel:[0,1,0] op_sel_hi:[1,1,0]
	v_fma_mix_f32 v27, v50, v53, v17 op_sel:[1,1,0] op_sel_hi:[1,1,0]
	v_fma_mix_f32 v26, v51, v53, v15 op_sel:[0,1,0] op_sel_hi:[1,1,0]
	v_fma_mix_f32 v25, v51, v53, v16 op_sel:[1,1,0] op_sel_hi:[1,1,0]
	s_andn2_b32 exec_lo, exec_lo, s8
	s_cbranch_execnz .LBB102_35
; %bb.36:
	s_or_b32 exec_lo, exec_lo, s8
.LBB102_37:
	s_or_b32 exec_lo, exec_lo, s3
.LBB102_38:
	s_or_b32 exec_lo, exec_lo, s1
.LBB102_39:
	v_mbcnt_lo_u32_b32 v1, -1, 0
	s_mov_b32 s3, -1
	v_xor_b32_e32 v2, 8, v1
	v_xor_b32_e32 v8, 4, v1
	v_cmp_gt_i32_e32 vcc_lo, 32, v2
	v_cndmask_b32_e32 v2, v1, v2, vcc_lo
	v_cmp_gt_i32_e32 vcc_lo, 32, v8
	v_lshlrev_b32_e32 v2, 2, v2
	v_cndmask_b32_e32 v8, v1, v8, vcc_lo
	ds_bpermute_b32 v5, v2, v12
	ds_bpermute_b32 v6, v2, v27
	;; [unrolled: 1-line block ×4, first 2 shown]
	v_lshlrev_b32_e32 v8, 2, v8
	s_waitcnt lgkmcnt(3)
	v_add_f32_e32 v5, v12, v5
	s_waitcnt lgkmcnt(2)
	v_add_f32_e32 v6, v27, v6
	;; [unrolled: 2-line block ×4, first 2 shown]
	v_xor_b32_e32 v12, 2, v1
	ds_bpermute_b32 v9, v8, v5
	ds_bpermute_b32 v10, v8, v6
	;; [unrolled: 1-line block ×4, first 2 shown]
	v_cmp_gt_i32_e32 vcc_lo, 32, v12
	v_cndmask_b32_e32 v12, v1, v12, vcc_lo
	v_lshlrev_b32_e32 v12, 2, v12
	s_waitcnt lgkmcnt(3)
	v_add_f32_e32 v5, v5, v9
	s_waitcnt lgkmcnt(2)
	v_add_f32_e32 v6, v6, v10
	;; [unrolled: 2-line block ×4, first 2 shown]
	ds_bpermute_b32 v2, v12, v5
	ds_bpermute_b32 v9, v12, v6
	;; [unrolled: 1-line block ×4, first 2 shown]
	v_xor_b32_e32 v12, 1, v1
	v_cmp_gt_i32_e32 vcc_lo, 32, v12
	v_cndmask_b32_e32 v1, v1, v12, vcc_lo
	v_cmp_eq_u32_e32 vcc_lo, 15, v0
	v_lshlrev_b32_e32 v12, 2, v1
	s_waitcnt lgkmcnt(3)
	v_add_f32_e32 v1, v5, v2
	s_waitcnt lgkmcnt(2)
	v_add_f32_e32 v2, v6, v9
	;; [unrolled: 2-line block ×4, first 2 shown]
	ds_bpermute_b32 v7, v12, v1
	ds_bpermute_b32 v8, v12, v2
	;; [unrolled: 1-line block ×4, first 2 shown]
	s_and_b32 exec_lo, exec_lo, vcc_lo
	s_cbranch_execz .LBB102_10
; %bb.40:
	s_load_dwordx2 s[0:1], s[4:5], 0x58
	s_waitcnt lgkmcnt(0)
	v_add_f32_e32 v0, v1, v7
	v_add_f32_e32 v1, v2, v8
	;; [unrolled: 1-line block ×4, first 2 shown]
	v_cmp_eq_f32_e64 s4, s2, 0
	v_lshlrev_b64 v[4:5], 4, v[3:4]
	v_mul_f32_e32 v0, s16, v0
	v_mul_f32_e32 v1, s16, v1
	;; [unrolled: 1-line block ×4, first 2 shown]
	s_and_b32 vcc_lo, exec_lo, s4
	s_cbranch_vccz .LBB102_42
; %bb.41:
	v_add_co_u32 v6, vcc_lo, s0, v4
	v_add_co_ci_u32_e64 v7, null, s1, v5, vcc_lo
	s_mov_b32 s3, 0
	global_store_dwordx4 v[6:7], v[0:3], off
.LBB102_42:
	s_andn2_b32 vcc_lo, exec_lo, s3
	s_cbranch_vccnz .LBB102_10
; %bb.43:
	v_add_co_u32 v8, vcc_lo, s0, v4
	v_add_co_ci_u32_e64 v9, null, s1, v5, vcc_lo
	global_load_dwordx4 v[4:7], v[8:9], off
	s_waitcnt vmcnt(0)
	v_fmac_f32_e32 v0, s2, v4
	v_fmac_f32_e32 v1, s2, v5
	;; [unrolled: 1-line block ×4, first 2 shown]
	global_store_dwordx4 v[8:9], v[0:3], off
	s_endpgm
	.section	.rodata,"a",@progbits
	.p2align	6, 0x0
	.amdhsa_kernel _ZN9rocsparseL18bsrxmvn_4x4_kernelILj128ELj16EfllDF16_DF16_fEEvT3_20rocsparse_direction_NS_24const_host_device_scalarIT1_EES1_PKS1_PKT2_SA_S7_PKT4_PKT5_S5_PT6_21rocsparse_index_base_b
		.amdhsa_group_segment_fixed_size 0
		.amdhsa_private_segment_fixed_size 0
		.amdhsa_kernarg_size 104
		.amdhsa_user_sgpr_count 6
		.amdhsa_user_sgpr_private_segment_buffer 1
		.amdhsa_user_sgpr_dispatch_ptr 0
		.amdhsa_user_sgpr_queue_ptr 0
		.amdhsa_user_sgpr_kernarg_segment_ptr 1
		.amdhsa_user_sgpr_dispatch_id 0
		.amdhsa_user_sgpr_flat_scratch_init 0
		.amdhsa_user_sgpr_private_segment_size 0
		.amdhsa_wavefront_size32 1
		.amdhsa_uses_dynamic_stack 0
		.amdhsa_system_sgpr_private_segment_wavefront_offset 0
		.amdhsa_system_sgpr_workgroup_id_x 1
		.amdhsa_system_sgpr_workgroup_id_y 0
		.amdhsa_system_sgpr_workgroup_id_z 0
		.amdhsa_system_sgpr_workgroup_info 0
		.amdhsa_system_vgpr_workitem_id 0
		.amdhsa_next_free_vgpr 64
		.amdhsa_next_free_sgpr 20
		.amdhsa_reserve_vcc 1
		.amdhsa_reserve_flat_scratch 0
		.amdhsa_float_round_mode_32 0
		.amdhsa_float_round_mode_16_64 0
		.amdhsa_float_denorm_mode_32 3
		.amdhsa_float_denorm_mode_16_64 3
		.amdhsa_dx10_clamp 1
		.amdhsa_ieee_mode 1
		.amdhsa_fp16_overflow 0
		.amdhsa_workgroup_processor_mode 1
		.amdhsa_memory_ordered 1
		.amdhsa_forward_progress 1
		.amdhsa_shared_vgpr_count 0
		.amdhsa_exception_fp_ieee_invalid_op 0
		.amdhsa_exception_fp_denorm_src 0
		.amdhsa_exception_fp_ieee_div_zero 0
		.amdhsa_exception_fp_ieee_overflow 0
		.amdhsa_exception_fp_ieee_underflow 0
		.amdhsa_exception_fp_ieee_inexact 0
		.amdhsa_exception_int_div_zero 0
	.end_amdhsa_kernel
	.section	.text._ZN9rocsparseL18bsrxmvn_4x4_kernelILj128ELj16EfllDF16_DF16_fEEvT3_20rocsparse_direction_NS_24const_host_device_scalarIT1_EES1_PKS1_PKT2_SA_S7_PKT4_PKT5_S5_PT6_21rocsparse_index_base_b,"axG",@progbits,_ZN9rocsparseL18bsrxmvn_4x4_kernelILj128ELj16EfllDF16_DF16_fEEvT3_20rocsparse_direction_NS_24const_host_device_scalarIT1_EES1_PKS1_PKT2_SA_S7_PKT4_PKT5_S5_PT6_21rocsparse_index_base_b,comdat
.Lfunc_end102:
	.size	_ZN9rocsparseL18bsrxmvn_4x4_kernelILj128ELj16EfllDF16_DF16_fEEvT3_20rocsparse_direction_NS_24const_host_device_scalarIT1_EES1_PKS1_PKT2_SA_S7_PKT4_PKT5_S5_PT6_21rocsparse_index_base_b, .Lfunc_end102-_ZN9rocsparseL18bsrxmvn_4x4_kernelILj128ELj16EfllDF16_DF16_fEEvT3_20rocsparse_direction_NS_24const_host_device_scalarIT1_EES1_PKS1_PKT2_SA_S7_PKT4_PKT5_S5_PT6_21rocsparse_index_base_b
                                        ; -- End function
	.set _ZN9rocsparseL18bsrxmvn_4x4_kernelILj128ELj16EfllDF16_DF16_fEEvT3_20rocsparse_direction_NS_24const_host_device_scalarIT1_EES1_PKS1_PKT2_SA_S7_PKT4_PKT5_S5_PT6_21rocsparse_index_base_b.num_vgpr, 64
	.set _ZN9rocsparseL18bsrxmvn_4x4_kernelILj128ELj16EfllDF16_DF16_fEEvT3_20rocsparse_direction_NS_24const_host_device_scalarIT1_EES1_PKS1_PKT2_SA_S7_PKT4_PKT5_S5_PT6_21rocsparse_index_base_b.num_agpr, 0
	.set _ZN9rocsparseL18bsrxmvn_4x4_kernelILj128ELj16EfllDF16_DF16_fEEvT3_20rocsparse_direction_NS_24const_host_device_scalarIT1_EES1_PKS1_PKT2_SA_S7_PKT4_PKT5_S5_PT6_21rocsparse_index_base_b.numbered_sgpr, 20
	.set _ZN9rocsparseL18bsrxmvn_4x4_kernelILj128ELj16EfllDF16_DF16_fEEvT3_20rocsparse_direction_NS_24const_host_device_scalarIT1_EES1_PKS1_PKT2_SA_S7_PKT4_PKT5_S5_PT6_21rocsparse_index_base_b.num_named_barrier, 0
	.set _ZN9rocsparseL18bsrxmvn_4x4_kernelILj128ELj16EfllDF16_DF16_fEEvT3_20rocsparse_direction_NS_24const_host_device_scalarIT1_EES1_PKS1_PKT2_SA_S7_PKT4_PKT5_S5_PT6_21rocsparse_index_base_b.private_seg_size, 0
	.set _ZN9rocsparseL18bsrxmvn_4x4_kernelILj128ELj16EfllDF16_DF16_fEEvT3_20rocsparse_direction_NS_24const_host_device_scalarIT1_EES1_PKS1_PKT2_SA_S7_PKT4_PKT5_S5_PT6_21rocsparse_index_base_b.uses_vcc, 1
	.set _ZN9rocsparseL18bsrxmvn_4x4_kernelILj128ELj16EfllDF16_DF16_fEEvT3_20rocsparse_direction_NS_24const_host_device_scalarIT1_EES1_PKS1_PKT2_SA_S7_PKT4_PKT5_S5_PT6_21rocsparse_index_base_b.uses_flat_scratch, 0
	.set _ZN9rocsparseL18bsrxmvn_4x4_kernelILj128ELj16EfllDF16_DF16_fEEvT3_20rocsparse_direction_NS_24const_host_device_scalarIT1_EES1_PKS1_PKT2_SA_S7_PKT4_PKT5_S5_PT6_21rocsparse_index_base_b.has_dyn_sized_stack, 0
	.set _ZN9rocsparseL18bsrxmvn_4x4_kernelILj128ELj16EfllDF16_DF16_fEEvT3_20rocsparse_direction_NS_24const_host_device_scalarIT1_EES1_PKS1_PKT2_SA_S7_PKT4_PKT5_S5_PT6_21rocsparse_index_base_b.has_recursion, 0
	.set _ZN9rocsparseL18bsrxmvn_4x4_kernelILj128ELj16EfllDF16_DF16_fEEvT3_20rocsparse_direction_NS_24const_host_device_scalarIT1_EES1_PKS1_PKT2_SA_S7_PKT4_PKT5_S5_PT6_21rocsparse_index_base_b.has_indirect_call, 0
	.section	.AMDGPU.csdata,"",@progbits
; Kernel info:
; codeLenInByte = 4112
; TotalNumSgprs: 22
; NumVgprs: 64
; ScratchSize: 0
; MemoryBound: 0
; FloatMode: 240
; IeeeMode: 1
; LDSByteSize: 0 bytes/workgroup (compile time only)
; SGPRBlocks: 0
; VGPRBlocks: 7
; NumSGPRsForWavesPerEU: 22
; NumVGPRsForWavesPerEU: 64
; Occupancy: 16
; WaveLimiterHint : 1
; COMPUTE_PGM_RSRC2:SCRATCH_EN: 0
; COMPUTE_PGM_RSRC2:USER_SGPR: 6
; COMPUTE_PGM_RSRC2:TRAP_HANDLER: 0
; COMPUTE_PGM_RSRC2:TGID_X_EN: 1
; COMPUTE_PGM_RSRC2:TGID_Y_EN: 0
; COMPUTE_PGM_RSRC2:TGID_Z_EN: 0
; COMPUTE_PGM_RSRC2:TIDIG_COMP_CNT: 0
	.section	.text._ZN9rocsparseL18bsrxmvn_4x4_kernelILj128ELj32EfllDF16_DF16_fEEvT3_20rocsparse_direction_NS_24const_host_device_scalarIT1_EES1_PKS1_PKT2_SA_S7_PKT4_PKT5_S5_PT6_21rocsparse_index_base_b,"axG",@progbits,_ZN9rocsparseL18bsrxmvn_4x4_kernelILj128ELj32EfllDF16_DF16_fEEvT3_20rocsparse_direction_NS_24const_host_device_scalarIT1_EES1_PKS1_PKT2_SA_S7_PKT4_PKT5_S5_PT6_21rocsparse_index_base_b,comdat
	.globl	_ZN9rocsparseL18bsrxmvn_4x4_kernelILj128ELj32EfllDF16_DF16_fEEvT3_20rocsparse_direction_NS_24const_host_device_scalarIT1_EES1_PKS1_PKT2_SA_S7_PKT4_PKT5_S5_PT6_21rocsparse_index_base_b ; -- Begin function _ZN9rocsparseL18bsrxmvn_4x4_kernelILj128ELj32EfllDF16_DF16_fEEvT3_20rocsparse_direction_NS_24const_host_device_scalarIT1_EES1_PKS1_PKT2_SA_S7_PKT4_PKT5_S5_PT6_21rocsparse_index_base_b
	.p2align	8
	.type	_ZN9rocsparseL18bsrxmvn_4x4_kernelILj128ELj32EfllDF16_DF16_fEEvT3_20rocsparse_direction_NS_24const_host_device_scalarIT1_EES1_PKS1_PKT2_SA_S7_PKT4_PKT5_S5_PT6_21rocsparse_index_base_b,@function
_ZN9rocsparseL18bsrxmvn_4x4_kernelILj128ELj32EfllDF16_DF16_fEEvT3_20rocsparse_direction_NS_24const_host_device_scalarIT1_EES1_PKS1_PKT2_SA_S7_PKT4_PKT5_S5_PT6_21rocsparse_index_base_b: ; @_ZN9rocsparseL18bsrxmvn_4x4_kernelILj128ELj32EfllDF16_DF16_fEEvT3_20rocsparse_direction_NS_24const_host_device_scalarIT1_EES1_PKS1_PKT2_SA_S7_PKT4_PKT5_S5_PT6_21rocsparse_index_base_b
; %bb.0:
	s_clause 0x2
	s_load_dwordx2 s[0:1], s[4:5], 0x60
	s_load_dwordx4 s[16:19], s[4:5], 0x10
	s_load_dwordx2 s[2:3], s[4:5], 0x50
	s_waitcnt lgkmcnt(0)
	s_bitcmp1_b32 s1, 0
	s_cselect_b32 s1, -1, 0
	s_and_b32 vcc_lo, exec_lo, s1
	s_xor_b32 s1, s1, -1
	s_cbranch_vccnz .LBB103_2
; %bb.1:
	s_load_dword s16, s[16:17], 0x0
.LBB103_2:
	s_andn2_b32 vcc_lo, exec_lo, s1
	s_cbranch_vccnz .LBB103_4
; %bb.3:
	s_load_dword s2, s[2:3], 0x0
.LBB103_4:
	s_waitcnt lgkmcnt(0)
	v_cmp_neq_f32_e64 s1, s16, 0
	v_cmp_neq_f32_e64 s3, s2, 1.0
	s_or_b32 s1, s1, s3
	s_mov_b32 s3, 0
	s_andn2_b32 vcc_lo, exec_lo, s1
	s_cbranch_vccnz .LBB103_10
; %bb.5:
	s_load_dwordx2 s[8:9], s[4:5], 0x20
	v_lshrrev_b32_e32 v1, 5, v0
	v_mov_b32_e32 v6, 0
	v_lshl_or_b32 v5, s6, 2, v1
	s_waitcnt lgkmcnt(0)
	s_cmp_lg_u64 s[8:9], 0
	s_cbranch_scc0 .LBB103_11
; %bb.6:
	s_mov_b32 s6, 0
                                        ; implicit-def: $vgpr3_vgpr4
                                        ; implicit-def: $vgpr1_vgpr2
	s_mov_b32 s1, exec_lo
	v_cmpx_gt_i64_e64 s[18:19], v[5:6]
	s_xor_b32 s7, exec_lo, s1
	s_cbranch_execz .LBB103_8
; %bb.7:
	v_lshlrev_b64 v[1:2], 3, v[5:6]
	s_mov_b32 s1, 0
	s_mov_b32 s3, exec_lo
	v_add_co_u32 v1, vcc_lo, s8, v1
	v_add_co_ci_u32_e64 v2, null, s9, v2, vcc_lo
	global_load_dwordx2 v[1:2], v[1:2], off
	s_waitcnt vmcnt(0)
	v_sub_co_u32 v3, vcc_lo, v1, s0
	v_subrev_co_ci_u32_e64 v4, null, 0, v2, vcc_lo
	v_mov_b32_e32 v2, s1
	v_mov_b32_e32 v1, s0
.LBB103_8:
	s_or_b32 exec_lo, exec_lo, s7
	s_and_b32 vcc_lo, exec_lo, s6
	s_cbranch_vccnz .LBB103_12
.LBB103_9:
	s_and_saveexec_b32 s0, s3
	s_cbranch_execnz .LBB103_15
.LBB103_10:
	s_endpgm
.LBB103_11:
                                        ; implicit-def: $vgpr3_vgpr4
                                        ; implicit-def: $vgpr1_vgpr2
	s_cbranch_execz .LBB103_9
.LBB103_12:
	s_load_dwordx2 s[6:7], s[4:5], 0x0
	s_waitcnt lgkmcnt(0)
	v_cmp_gt_i64_e32 vcc_lo, s[6:7], v[5:6]
	s_and_saveexec_b32 s6, vcc_lo
; %bb.13:
	s_mov_b32 s1, 0
	s_or_b32 s3, s3, exec_lo
; %bb.14:
	s_or_b32 exec_lo, exec_lo, s6
	v_mov_b32_e32 v2, s1
	v_mov_b32_e32 v3, v5
	;; [unrolled: 1-line block ×4, first 2 shown]
	s_and_saveexec_b32 s0, s3
	s_cbranch_execz .LBB103_10
.LBB103_15:
	s_load_dwordx8 s[8:15], s[4:5], 0x28
	v_lshlrev_b64 v[5:6], 3, v[3:4]
	v_and_b32_e32 v0, 31, v0
	s_clause 0x1
	s_load_dword s1, s[4:5], 0x8
	s_load_dwordx2 s[6:7], s[4:5], 0x48
	v_mov_b32_e32 v25, 0
	s_waitcnt lgkmcnt(0)
	v_add_co_u32 v7, vcc_lo, s8, v5
	v_add_co_ci_u32_e64 v8, null, s9, v6, vcc_lo
	v_add_co_u32 v5, vcc_lo, s10, v5
	v_add_co_ci_u32_e64 v6, null, s11, v6, vcc_lo
	v_add_co_u32 v9, vcc_lo, v7, 8
	global_load_dwordx2 v[13:14], v[7:8], off
	v_add_co_ci_u32_e64 v10, null, 0, v8, vcc_lo
	s_cmp_eq_u64 s[10:11], 0
	s_cselect_b32 vcc_lo, -1, 0
	s_cmp_eq_u32 s1, 1
	v_cndmask_b32_e32 v6, v6, v10, vcc_lo
	v_cndmask_b32_e32 v5, v5, v9, vcc_lo
	global_load_dwordx2 v[7:8], v[5:6], off
	s_waitcnt vmcnt(1)
	v_sub_co_u32 v5, vcc_lo, v13, v1
	v_sub_co_ci_u32_e64 v6, null, v14, v2, vcc_lo
	v_add_co_u32 v5, vcc_lo, v5, v0
	v_add_co_ci_u32_e64 v6, null, 0, v6, vcc_lo
	v_lshlrev_b64 v[9:10], 5, v[5:6]
	s_waitcnt vmcnt(0)
	v_sub_co_u32 v7, vcc_lo, v7, v1
	v_sub_co_ci_u32_e64 v8, null, v8, v2, vcc_lo
	v_add_co_u32 v9, vcc_lo, s14, v9
	v_cmp_lt_i64_e64 s0, v[5:6], v[7:8]
	v_add_co_ci_u32_e64 v10, null, s15, v10, vcc_lo
	s_cbranch_scc1 .LBB103_27
; %bb.16:
	v_mov_b32_e32 v26, 0
	v_mov_b32_e32 v27, 0
	;; [unrolled: 1-line block ×3, first 2 shown]
	s_and_saveexec_b32 s3, s0
	s_cbranch_execz .LBB103_26
; %bb.17:
	v_or_b32_e32 v11, 32, v0
	v_not_b32_e32 v16, v13
	v_sub_co_u32 v17, s1, v1, v0
	v_not_b32_e32 v15, v14
	v_sub_co_u32 v11, vcc_lo, v11, v1
	v_sub_co_ci_u32_e64 v12, null, 0, v2, vcc_lo
	v_subrev_co_ci_u32_e64 v18, null, 0, v2, s1
	v_add_co_u32 v11, vcc_lo, v11, v13
	v_add_co_ci_u32_e64 v12, null, v12, v14, vcc_lo
	s_mov_b32 s1, exec_lo
	v_cmp_gt_i64_e32 vcc_lo, v[11:12], v[7:8]
	v_cndmask_b32_e32 v20, v8, v12, vcc_lo
	v_cndmask_b32_e32 v11, v7, v11, vcc_lo
	v_add_co_u32 v12, vcc_lo, v17, v16
	v_add_co_ci_u32_e64 v15, null, v18, v15, vcc_lo
	v_mov_b32_e32 v18, v10
	v_add_co_u32 v19, vcc_lo, v12, v11
	v_mov_b32_e32 v12, 0
	v_add_co_ci_u32_e64 v20, null, v15, v20, vcc_lo
	v_mov_b32_e32 v16, v6
	v_and_b32_e32 v11, 0x60, v19
	v_mov_b32_e32 v27, v12
	v_mov_b32_e32 v26, v12
	;; [unrolled: 1-line block ×5, first 2 shown]
	v_cmpx_ne_u64_e32 0x60, v[11:12]
	s_cbranch_execz .LBB103_21
; %bb.18:
	v_lshrrev_b32_e32 v11, 5, v19
	v_mov_b32_e32 v18, v10
	v_mov_b32_e32 v16, v6
	;; [unrolled: 1-line block ×4, first 2 shown]
	v_add_nc_u32_e32 v21, 1, v11
	v_lshlrev_b64 v[11:12], 3, v[5:6]
	v_mov_b32_e32 v15, v5
	v_mov_b32_e32 v26, 0
	;; [unrolled: 1-line block ×3, first 2 shown]
	v_and_b32_e32 v23, 3, v21
	v_add_co_u32 v21, vcc_lo, s12, v11
	v_add_co_ci_u32_e64 v22, null, s13, v12, vcc_lo
	v_sub_co_u32 v23, s8, 0, v23
	v_sub_co_ci_u32_e64 v24, null, 0, 0, s8
	v_mov_b32_e32 v12, 0
	s_mov_b32 s8, 0
.LBB103_19:                             ; =>This Inner Loop Header: Depth=1
	global_load_dwordx2 v[36:37], v[21:22], off
	s_clause 0x1
	global_load_dwordx4 v[28:31], v[17:18], off
	global_load_dwordx4 v[32:35], v[17:18], off offset:16
	s_waitcnt vmcnt(2)
	v_sub_co_u32 v36, vcc_lo, v36, v1
	v_sub_co_ci_u32_e64 v37, null, v37, v2, vcc_lo
	v_lshlrev_b64 v[36:37], 3, v[36:37]
	v_add_co_u32 v36, vcc_lo, s6, v36
	v_add_co_ci_u32_e64 v37, null, s7, v37, vcc_lo
	v_add_co_u32 v17, vcc_lo, 0x400, v17
	v_add_co_ci_u32_e64 v18, null, 0, v18, vcc_lo
	global_load_dwordx2 v[36:37], v[36:37], off
	v_add_co_u32 v15, vcc_lo, v15, 32
	v_add_co_ci_u32_e64 v16, null, 0, v16, vcc_lo
	v_add_co_u32 v21, vcc_lo, 0x100, v21
	v_add_co_ci_u32_e64 v22, null, 0, v22, vcc_lo
	;; [unrolled: 2-line block ×3, first 2 shown]
	v_cmp_eq_u64_e32 vcc_lo, 0, v[23:24]
	s_or_b32 s8, vcc_lo, s8
	s_waitcnt vmcnt(0)
	v_fma_mix_f32 v11, v28, v36, v12 op_sel_hi:[1,1,0]
	v_fma_mix_f32 v12, v30, v36, v27 op_sel_hi:[1,1,0]
	;; [unrolled: 1-line block ×4, first 2 shown]
	v_fma_mix_f32 v11, v28, v36, v11 op_sel:[1,1,0] op_sel_hi:[1,1,0]
	v_fma_mix_f32 v12, v30, v36, v12 op_sel:[1,1,0] op_sel_hi:[1,1,0]
	;; [unrolled: 1-line block ×4, first 2 shown]
	v_fma_mix_f32 v11, v29, v37, v11 op_sel_hi:[1,1,0]
	v_fma_mix_f32 v27, v31, v37, v12 op_sel_hi:[1,1,0]
	;; [unrolled: 1-line block ×4, first 2 shown]
	v_fma_mix_f32 v12, v29, v37, v11 op_sel:[1,1,0] op_sel_hi:[1,1,0]
	v_fma_mix_f32 v27, v31, v37, v27 op_sel:[1,1,0] op_sel_hi:[1,1,0]
	;; [unrolled: 1-line block ×4, first 2 shown]
	s_andn2_b32 exec_lo, exec_lo, s8
	s_cbranch_execnz .LBB103_19
; %bb.20:
	s_or_b32 exec_lo, exec_lo, s8
.LBB103_21:
	s_or_b32 exec_lo, exec_lo, s1
	s_mov_b32 s8, exec_lo
	v_cmpx_lt_u64_e32 0x5f, v[19:20]
	s_cbranch_execz .LBB103_25
; %bb.22:
	v_lshlrev_b64 v[19:20], 3, v[15:16]
	s_mov_b32 s9, 0
	v_add_co_u32 v11, vcc_lo, s12, v19
	v_add_co_ci_u32_e64 v20, null, s13, v20, vcc_lo
	v_add_co_u32 v19, vcc_lo, 0x200, v11
	v_add_co_ci_u32_e64 v20, null, 0, v20, vcc_lo
.LBB103_23:                             ; =>This Inner Loop Header: Depth=1
	s_clause 0x3
	global_load_dwordx2 v[56:57], v[19:20], off offset:-512
	global_load_dwordx2 v[58:59], v[19:20], off offset:-256
	global_load_dwordx2 v[60:61], v[19:20], off
	global_load_dwordx2 v[62:63], v[19:20], off offset:256
	v_add_co_u32 v52, vcc_lo, 0x800, v17
	v_add_co_ci_u32_e64 v53, null, 0, v18, vcc_lo
	s_clause 0x7
	global_load_dwordx4 v[21:24], v[17:18], off
	global_load_dwordx4 v[28:31], v[17:18], off offset:16
	global_load_dwordx4 v[32:35], v[17:18], off offset:1024
	;; [unrolled: 1-line block ×3, first 2 shown]
	global_load_dwordx4 v[40:43], v[52:53], off
	global_load_dwordx4 v[44:47], v[52:53], off offset:16
	global_load_dwordx4 v[48:51], v[52:53], off offset:1024
	;; [unrolled: 1-line block ×3, first 2 shown]
	s_waitcnt vmcnt(11)
	v_sub_co_u32 v56, vcc_lo, v56, v1
	v_sub_co_ci_u32_e64 v57, null, v57, v2, vcc_lo
	s_waitcnt vmcnt(10)
	v_sub_co_u32 v58, vcc_lo, v58, v1
	v_sub_co_ci_u32_e64 v59, null, v59, v2, vcc_lo
	v_lshlrev_b64 v[56:57], 3, v[56:57]
	s_waitcnt vmcnt(9)
	v_sub_co_u32 v60, vcc_lo, v60, v1
	v_lshlrev_b64 v[58:59], 3, v[58:59]
	v_sub_co_ci_u32_e64 v61, null, v61, v2, vcc_lo
	v_add_co_u32 v56, s1, s6, v56
	v_add_co_ci_u32_e64 v57, null, s7, v57, s1
	v_add_co_u32 v58, vcc_lo, s6, v58
	v_add_co_ci_u32_e64 v59, null, s7, v59, vcc_lo
	global_load_dwordx2 v[56:57], v[56:57], off
	v_lshlrev_b64 v[60:61], 3, v[60:61]
	s_waitcnt vmcnt(9)
	v_sub_co_u32 v62, vcc_lo, v62, v1
	global_load_dwordx2 v[58:59], v[58:59], off
	v_sub_co_ci_u32_e64 v63, null, v63, v2, vcc_lo
	v_add_co_u32 v60, s1, s6, v60
	v_add_co_ci_u32_e64 v61, null, s7, v61, s1
	v_lshlrev_b64 v[62:63], 3, v[62:63]
	v_add_co_u32 v15, s1, 0x80, v15
	global_load_dwordx2 v[60:61], v[60:61], off
	v_add_co_ci_u32_e64 v16, null, 0, v16, s1
	v_add_co_u32 v62, vcc_lo, s6, v62
	v_add_co_ci_u32_e64 v63, null, s7, v63, vcc_lo
	v_add_co_u32 v17, vcc_lo, 0x1000, v17
	v_add_co_ci_u32_e64 v18, null, 0, v18, vcc_lo
	global_load_dwordx2 v[62:63], v[62:63], off
	v_cmp_ge_i64_e32 vcc_lo, v[15:16], v[7:8]
	v_add_co_u32 v19, s1, 0x400, v19
	v_add_co_ci_u32_e64 v20, null, 0, v20, s1
	s_or_b32 s9, vcc_lo, s9
	s_waitcnt vmcnt(3)
	v_fma_mix_f32 v11, v21, v56, v12 op_sel_hi:[1,1,0]
	v_fma_mix_f32 v12, v23, v56, v27 op_sel_hi:[1,1,0]
	v_fma_mix_f32 v26, v28, v56, v26 op_sel_hi:[1,1,0]
	v_fma_mix_f32 v25, v30, v56, v25 op_sel_hi:[1,1,0]
	v_fma_mix_f32 v11, v21, v56, v11 op_sel:[1,1,0] op_sel_hi:[1,1,0]
	v_fma_mix_f32 v12, v23, v56, v12 op_sel:[1,1,0] op_sel_hi:[1,1,0]
	v_fma_mix_f32 v21, v28, v56, v26 op_sel:[1,1,0] op_sel_hi:[1,1,0]
	v_fma_mix_f32 v23, v30, v56, v25 op_sel:[1,1,0] op_sel_hi:[1,1,0]
	v_fma_mix_f32 v11, v22, v57, v11 op_sel_hi:[1,1,0]
	v_fma_mix_f32 v12, v24, v57, v12 op_sel_hi:[1,1,0]
	v_fma_mix_f32 v21, v29, v57, v21 op_sel_hi:[1,1,0]
	v_fma_mix_f32 v23, v31, v57, v23 op_sel_hi:[1,1,0]
	v_fma_mix_f32 v11, v22, v57, v11 op_sel:[1,1,0] op_sel_hi:[1,1,0]
	v_fma_mix_f32 v12, v24, v57, v12 op_sel:[1,1,0] op_sel_hi:[1,1,0]
	v_fma_mix_f32 v21, v29, v57, v21 op_sel:[1,1,0] op_sel_hi:[1,1,0]
	v_fma_mix_f32 v22, v31, v57, v23 op_sel:[1,1,0] op_sel_hi:[1,1,0]
	s_waitcnt vmcnt(2)
	v_fma_mix_f32 v11, v32, v58, v11 op_sel_hi:[1,1,0]
	v_fma_mix_f32 v12, v34, v58, v12 op_sel_hi:[1,1,0]
	v_fma_mix_f32 v21, v36, v58, v21 op_sel_hi:[1,1,0]
	v_fma_mix_f32 v22, v38, v58, v22 op_sel_hi:[1,1,0]
	v_fma_mix_f32 v11, v32, v58, v11 op_sel:[1,1,0] op_sel_hi:[1,1,0]
	v_fma_mix_f32 v12, v34, v58, v12 op_sel:[1,1,0] op_sel_hi:[1,1,0]
	v_fma_mix_f32 v21, v36, v58, v21 op_sel:[1,1,0] op_sel_hi:[1,1,0]
	v_fma_mix_f32 v22, v38, v58, v22 op_sel:[1,1,0] op_sel_hi:[1,1,0]
	v_fma_mix_f32 v11, v33, v59, v11 op_sel_hi:[1,1,0]
	v_fma_mix_f32 v12, v35, v59, v12 op_sel_hi:[1,1,0]
	v_fma_mix_f32 v21, v37, v59, v21 op_sel_hi:[1,1,0]
	v_fma_mix_f32 v22, v39, v59, v22 op_sel_hi:[1,1,0]
	v_fma_mix_f32 v11, v33, v59, v11 op_sel:[1,1,0] op_sel_hi:[1,1,0]
	v_fma_mix_f32 v12, v35, v59, v12 op_sel:[1,1,0] op_sel_hi:[1,1,0]
	v_fma_mix_f32 v21, v37, v59, v21 op_sel:[1,1,0] op_sel_hi:[1,1,0]
	v_fma_mix_f32 v22, v39, v59, v22 op_sel:[1,1,0] op_sel_hi:[1,1,0]
	;; [unrolled: 17-line block ×4, first 2 shown]
	s_andn2_b32 exec_lo, exec_lo, s9
	s_cbranch_execnz .LBB103_23
; %bb.24:
	s_or_b32 exec_lo, exec_lo, s9
.LBB103_25:
	s_or_b32 exec_lo, exec_lo, s8
.LBB103_26:
	s_or_b32 exec_lo, exec_lo, s3
	s_cbranch_execz .LBB103_28
	s_branch .LBB103_39
.LBB103_27:
                                        ; implicit-def: $vgpr25
                                        ; implicit-def: $vgpr26
                                        ; implicit-def: $vgpr27
                                        ; implicit-def: $vgpr12
.LBB103_28:
	v_mov_b32_e32 v25, 0
	v_mov_b32_e32 v26, 0
	;; [unrolled: 1-line block ×4, first 2 shown]
	s_and_saveexec_b32 s1, s0
	s_cbranch_execz .LBB103_38
; %bb.29:
	v_or_b32_e32 v11, 32, v0
	v_sub_co_u32 v15, s0, v1, v0
	v_subrev_co_ci_u32_e64 v16, null, 0, v2, s0
	v_sub_co_u32 v11, vcc_lo, v11, v1
	v_sub_co_ci_u32_e64 v12, null, 0, v2, vcc_lo
	s_mov_b32 s0, exec_lo
	v_add_co_u32 v11, vcc_lo, v11, v13
	v_add_co_ci_u32_e64 v12, null, v12, v14, vcc_lo
	v_not_b32_e32 v13, v13
	v_not_b32_e32 v14, v14
	v_cmp_gt_i64_e32 vcc_lo, v[11:12], v[7:8]
	v_cndmask_b32_e32 v17, v8, v12, vcc_lo
	v_cndmask_b32_e32 v11, v7, v11, vcc_lo
	v_add_co_u32 v12, vcc_lo, v15, v13
	v_add_co_ci_u32_e64 v14, null, v16, v14, vcc_lo
	v_add_co_u32 v13, vcc_lo, v12, v11
	v_mov_b32_e32 v12, 0
	v_add_co_ci_u32_e64 v14, null, v14, v17, vcc_lo
	v_and_b32_e32 v11, 0x60, v13
	v_mov_b32_e32 v27, v12
	v_mov_b32_e32 v26, v12
	;; [unrolled: 1-line block ×3, first 2 shown]
	v_cmpx_ne_u64_e32 0x60, v[11:12]
	s_cbranch_execz .LBB103_33
; %bb.30:
	v_lshrrev_b32_e32 v11, 5, v13
	v_mov_b32_e32 v25, 0
	v_mov_b32_e32 v26, 0
	;; [unrolled: 1-line block ×3, first 2 shown]
	v_add_nc_u32_e32 v15, 1, v11
	v_lshlrev_b64 v[11:12], 3, v[5:6]
	v_and_b32_e32 v17, 3, v15
	v_add_co_u32 v15, vcc_lo, s12, v11
	v_add_co_ci_u32_e64 v16, null, s13, v12, vcc_lo
	v_sub_co_u32 v17, s3, 0, v17
	v_sub_co_ci_u32_e64 v18, null, 0, 0, s3
	v_mov_b32_e32 v12, 0
	s_mov_b32 s3, 0
.LBB103_31:                             ; =>This Inner Loop Header: Depth=1
	global_load_dwordx2 v[23:24], v[15:16], off
	global_load_dwordx4 v[19:22], v[9:10], off
	s_waitcnt vmcnt(1)
	v_sub_co_u32 v23, vcc_lo, v23, v1
	v_sub_co_ci_u32_e64 v24, null, v24, v2, vcc_lo
	v_lshlrev_b64 v[23:24], 3, v[23:24]
	v_add_co_u32 v23, vcc_lo, s6, v23
	v_add_co_ci_u32_e64 v24, null, s7, v24, vcc_lo
	global_load_dwordx2 v[23:24], v[23:24], off
	global_load_dwordx4 v[28:31], v[9:10], off offset:16
	v_add_co_u32 v9, vcc_lo, 0x400, v9
	v_add_co_ci_u32_e64 v10, null, 0, v10, vcc_lo
	v_add_co_u32 v5, vcc_lo, v5, 32
	v_add_co_ci_u32_e64 v6, null, 0, v6, vcc_lo
	;; [unrolled: 2-line block ×4, first 2 shown]
	v_cmp_eq_u64_e32 vcc_lo, 0, v[17:18]
	s_or_b32 s3, vcc_lo, s3
	s_waitcnt vmcnt(1)
	v_fma_mix_f32 v11, v19, v23, v12 op_sel_hi:[1,1,0]
	v_fma_mix_f32 v12, v19, v23, v27 op_sel:[1,0,0] op_sel_hi:[1,1,0]
	v_fma_mix_f32 v19, v20, v23, v26 op_sel_hi:[1,1,0]
	v_fma_mix_f32 v20, v20, v23, v25 op_sel:[1,0,0] op_sel_hi:[1,1,0]
	v_fma_mix_f32 v11, v21, v23, v11 op_sel:[0,1,0] op_sel_hi:[1,1,0]
	;; [unrolled: 1-line block ×5, first 2 shown]
	s_waitcnt vmcnt(0)
	v_fma_mix_f32 v11, v28, v24, v11 op_sel_hi:[1,1,0]
	v_fma_mix_f32 v21, v28, v24, v12 op_sel:[1,0,0] op_sel_hi:[1,1,0]
	v_fma_mix_f32 v19, v29, v24, v19 op_sel_hi:[1,1,0]
	v_fma_mix_f32 v20, v29, v24, v20 op_sel:[1,0,0] op_sel_hi:[1,1,0]
	v_fma_mix_f32 v12, v30, v24, v11 op_sel:[0,1,0] op_sel_hi:[1,1,0]
	v_fma_mix_f32 v27, v30, v24, v21 op_sel:[1,1,0] op_sel_hi:[1,1,0]
	v_fma_mix_f32 v26, v31, v24, v19 op_sel:[0,1,0] op_sel_hi:[1,1,0]
	v_fma_mix_f32 v25, v31, v24, v20 op_sel:[1,1,0] op_sel_hi:[1,1,0]
	s_andn2_b32 exec_lo, exec_lo, s3
	s_cbranch_execnz .LBB103_31
; %bb.32:
	s_or_b32 exec_lo, exec_lo, s3
.LBB103_33:
	s_or_b32 exec_lo, exec_lo, s0
	s_mov_b32 s3, exec_lo
	v_cmpx_lt_u64_e32 0x5f, v[13:14]
	s_cbranch_execz .LBB103_37
; %bb.34:
	v_lshlrev_b64 v[13:14], 3, v[5:6]
	s_mov_b32 s8, 0
	v_add_co_u32 v11, vcc_lo, s12, v13
	v_add_co_ci_u32_e64 v14, null, s13, v14, vcc_lo
	v_add_co_u32 v13, vcc_lo, 0x200, v11
	v_add_co_ci_u32_e64 v14, null, 0, v14, vcc_lo
.LBB103_35:                             ; =>This Inner Loop Header: Depth=1
	s_clause 0x3
	global_load_dwordx2 v[23:24], v[13:14], off offset:-512
	global_load_dwordx2 v[48:49], v[13:14], off offset:-256
	global_load_dwordx2 v[50:51], v[13:14], off
	global_load_dwordx2 v[52:53], v[13:14], off offset:256
	v_add_co_u32 v54, vcc_lo, 0x800, v9
	v_add_co_ci_u32_e64 v55, null, 0, v10, vcc_lo
	s_clause 0x6
	global_load_dwordx4 v[15:18], v[9:10], off
	global_load_dwordx4 v[19:22], v[9:10], off offset:16
	global_load_dwordx4 v[28:31], v[9:10], off offset:1024
	;; [unrolled: 1-line block ×3, first 2 shown]
	global_load_dwordx4 v[36:39], v[54:55], off
	global_load_dwordx4 v[40:43], v[54:55], off offset:16
	global_load_dwordx4 v[44:47], v[54:55], off offset:1024
	s_waitcnt vmcnt(10)
	v_sub_co_u32 v23, vcc_lo, v23, v1
	v_sub_co_ci_u32_e64 v24, null, v24, v2, vcc_lo
	s_waitcnt vmcnt(9)
	v_sub_co_u32 v48, vcc_lo, v48, v1
	v_sub_co_ci_u32_e64 v49, null, v49, v2, vcc_lo
	v_lshlrev_b64 v[23:24], 3, v[23:24]
	s_waitcnt vmcnt(8)
	v_sub_co_u32 v50, vcc_lo, v50, v1
	v_lshlrev_b64 v[48:49], 3, v[48:49]
	v_sub_co_ci_u32_e64 v51, null, v51, v2, vcc_lo
	v_add_co_u32 v23, s0, s6, v23
	v_add_co_ci_u32_e64 v24, null, s7, v24, s0
	v_add_co_u32 v48, vcc_lo, s6, v48
	v_add_co_ci_u32_e64 v49, null, s7, v49, vcc_lo
	s_clause 0x1
	global_load_dwordx2 v[23:24], v[23:24], off
	global_load_dwordx2 v[56:57], v[48:49], off
	v_lshlrev_b64 v[49:50], 3, v[50:51]
	s_waitcnt vmcnt(9)
	v_sub_co_u32 v48, vcc_lo, v52, v1
	v_add_co_u32 v49, s0, s6, v49
	v_add_co_ci_u32_e64 v50, null, s7, v50, s0
	global_load_dwordx2 v[58:59], v[49:50], off
	v_sub_co_ci_u32_e64 v49, null, v53, v2, vcc_lo
	v_lshlrev_b64 v[48:49], 3, v[48:49]
	v_add_co_u32 v48, vcc_lo, s6, v48
	v_add_co_ci_u32_e64 v49, null, s7, v49, vcc_lo
	global_load_dwordx2 v[52:53], v[48:49], off
	global_load_dwordx4 v[48:51], v[54:55], off offset:1040
	v_add_co_u32 v5, vcc_lo, 0x80, v5
	v_add_co_ci_u32_e64 v6, null, 0, v6, vcc_lo
	v_add_co_u32 v13, vcc_lo, 0x400, v13
	v_add_co_ci_u32_e64 v14, null, 0, v14, vcc_lo
	;; [unrolled: 2-line block ×3, first 2 shown]
	v_cmp_ge_i64_e32 vcc_lo, v[5:6], v[7:8]
	s_or_b32 s8, vcc_lo, s8
	s_waitcnt vmcnt(4)
	v_fma_mix_f32 v11, v15, v23, v12 op_sel_hi:[1,1,0]
	v_fma_mix_f32 v12, v15, v23, v27 op_sel:[1,0,0] op_sel_hi:[1,1,0]
	v_fma_mix_f32 v15, v16, v23, v26 op_sel_hi:[1,1,0]
	v_fma_mix_f32 v16, v16, v23, v25 op_sel:[1,0,0] op_sel_hi:[1,1,0]
	v_fma_mix_f32 v11, v17, v23, v11 op_sel:[0,1,0] op_sel_hi:[1,1,0]
	v_fma_mix_f32 v12, v17, v23, v12 op_sel:[1,1,0] op_sel_hi:[1,1,0]
	v_fma_mix_f32 v15, v18, v23, v15 op_sel:[0,1,0] op_sel_hi:[1,1,0]
	v_fma_mix_f32 v16, v18, v23, v16 op_sel:[1,1,0] op_sel_hi:[1,1,0]
	v_fma_mix_f32 v11, v19, v24, v11 op_sel_hi:[1,1,0]
	v_fma_mix_f32 v12, v19, v24, v12 op_sel:[1,0,0] op_sel_hi:[1,1,0]
	v_fma_mix_f32 v15, v20, v24, v15 op_sel_hi:[1,1,0]
	v_fma_mix_f32 v16, v20, v24, v16 op_sel:[1,0,0] op_sel_hi:[1,1,0]
	v_fma_mix_f32 v11, v21, v24, v11 op_sel:[0,1,0] op_sel_hi:[1,1,0]
	v_fma_mix_f32 v12, v21, v24, v12 op_sel:[1,1,0] op_sel_hi:[1,1,0]
	v_fma_mix_f32 v15, v22, v24, v15 op_sel:[0,1,0] op_sel_hi:[1,1,0]
	v_fma_mix_f32 v16, v22, v24, v16 op_sel:[1,1,0] op_sel_hi:[1,1,0]
	s_waitcnt vmcnt(3)
	v_fma_mix_f32 v11, v28, v56, v11 op_sel_hi:[1,1,0]
	v_fma_mix_f32 v12, v28, v56, v12 op_sel:[1,0,0] op_sel_hi:[1,1,0]
	v_fma_mix_f32 v15, v29, v56, v15 op_sel_hi:[1,1,0]
	v_fma_mix_f32 v16, v29, v56, v16 op_sel:[1,0,0] op_sel_hi:[1,1,0]
	v_fma_mix_f32 v11, v30, v56, v11 op_sel:[0,1,0] op_sel_hi:[1,1,0]
	v_fma_mix_f32 v12, v30, v56, v12 op_sel:[1,1,0] op_sel_hi:[1,1,0]
	v_fma_mix_f32 v15, v31, v56, v15 op_sel:[0,1,0] op_sel_hi:[1,1,0]
	v_fma_mix_f32 v16, v31, v56, v16 op_sel:[1,1,0] op_sel_hi:[1,1,0]
	v_fma_mix_f32 v11, v32, v57, v11 op_sel_hi:[1,1,0]
	v_fma_mix_f32 v12, v32, v57, v12 op_sel:[1,0,0] op_sel_hi:[1,1,0]
	v_fma_mix_f32 v15, v33, v57, v15 op_sel_hi:[1,1,0]
	v_fma_mix_f32 v16, v33, v57, v16 op_sel:[1,0,0] op_sel_hi:[1,1,0]
	v_fma_mix_f32 v11, v34, v57, v11 op_sel:[0,1,0] op_sel_hi:[1,1,0]
	v_fma_mix_f32 v12, v34, v57, v12 op_sel:[1,1,0] op_sel_hi:[1,1,0]
	v_fma_mix_f32 v15, v35, v57, v15 op_sel:[0,1,0] op_sel_hi:[1,1,0]
	v_fma_mix_f32 v16, v35, v57, v16 op_sel:[1,1,0] op_sel_hi:[1,1,0]
	;; [unrolled: 17-line block ×3, first 2 shown]
	s_waitcnt vmcnt(1)
	v_fma_mix_f32 v11, v44, v52, v11 op_sel_hi:[1,1,0]
	v_fma_mix_f32 v12, v44, v52, v12 op_sel:[1,0,0] op_sel_hi:[1,1,0]
	v_fma_mix_f32 v15, v45, v52, v15 op_sel_hi:[1,1,0]
	v_fma_mix_f32 v16, v45, v52, v16 op_sel:[1,0,0] op_sel_hi:[1,1,0]
	v_fma_mix_f32 v11, v46, v52, v11 op_sel:[0,1,0] op_sel_hi:[1,1,0]
	;; [unrolled: 1-line block ×5, first 2 shown]
	s_waitcnt vmcnt(0)
	v_fma_mix_f32 v11, v48, v53, v11 op_sel_hi:[1,1,0]
	v_fma_mix_f32 v17, v48, v53, v12 op_sel:[1,0,0] op_sel_hi:[1,1,0]
	v_fma_mix_f32 v15, v49, v53, v15 op_sel_hi:[1,1,0]
	v_fma_mix_f32 v16, v49, v53, v16 op_sel:[1,0,0] op_sel_hi:[1,1,0]
	v_fma_mix_f32 v12, v50, v53, v11 op_sel:[0,1,0] op_sel_hi:[1,1,0]
	;; [unrolled: 1-line block ×5, first 2 shown]
	s_andn2_b32 exec_lo, exec_lo, s8
	s_cbranch_execnz .LBB103_35
; %bb.36:
	s_or_b32 exec_lo, exec_lo, s8
.LBB103_37:
	s_or_b32 exec_lo, exec_lo, s3
.LBB103_38:
	s_or_b32 exec_lo, exec_lo, s1
.LBB103_39:
	v_mbcnt_lo_u32_b32 v1, -1, 0
	s_mov_b32 s3, -1
	v_xor_b32_e32 v2, 16, v1
	v_xor_b32_e32 v8, 8, v1
	v_cmp_gt_i32_e32 vcc_lo, 32, v2
	v_cndmask_b32_e32 v2, v1, v2, vcc_lo
	v_cmp_gt_i32_e32 vcc_lo, 32, v8
	v_lshlrev_b32_e32 v2, 2, v2
	v_cndmask_b32_e32 v8, v1, v8, vcc_lo
	ds_bpermute_b32 v5, v2, v12
	ds_bpermute_b32 v6, v2, v27
	ds_bpermute_b32 v7, v2, v26
	ds_bpermute_b32 v2, v2, v25
	v_lshlrev_b32_e32 v8, 2, v8
	s_waitcnt lgkmcnt(3)
	v_add_f32_e32 v5, v12, v5
	s_waitcnt lgkmcnt(2)
	v_add_f32_e32 v6, v27, v6
	s_waitcnt lgkmcnt(1)
	v_add_f32_e32 v7, v26, v7
	s_waitcnt lgkmcnt(0)
	v_add_f32_e32 v2, v25, v2
	v_xor_b32_e32 v12, 4, v1
	ds_bpermute_b32 v9, v8, v5
	ds_bpermute_b32 v10, v8, v6
	;; [unrolled: 1-line block ×4, first 2 shown]
	v_cmp_gt_i32_e32 vcc_lo, 32, v12
	v_cndmask_b32_e32 v12, v1, v12, vcc_lo
	v_lshlrev_b32_e32 v12, 2, v12
	s_waitcnt lgkmcnt(3)
	v_add_f32_e32 v5, v5, v9
	s_waitcnt lgkmcnt(2)
	v_add_f32_e32 v6, v6, v10
	;; [unrolled: 2-line block ×4, first 2 shown]
	ds_bpermute_b32 v8, v12, v5
	ds_bpermute_b32 v9, v12, v6
	;; [unrolled: 1-line block ×4, first 2 shown]
	v_xor_b32_e32 v12, 2, v1
	v_cmp_gt_i32_e32 vcc_lo, 32, v12
	v_cndmask_b32_e32 v12, v1, v12, vcc_lo
	v_lshlrev_b32_e32 v12, 2, v12
	s_waitcnt lgkmcnt(3)
	v_add_f32_e32 v5, v5, v8
	s_waitcnt lgkmcnt(2)
	v_add_f32_e32 v6, v6, v9
	;; [unrolled: 2-line block ×4, first 2 shown]
	ds_bpermute_b32 v2, v12, v5
	ds_bpermute_b32 v9, v12, v6
	;; [unrolled: 1-line block ×4, first 2 shown]
	v_xor_b32_e32 v12, 1, v1
	v_cmp_gt_i32_e32 vcc_lo, 32, v12
	v_cndmask_b32_e32 v1, v1, v12, vcc_lo
	v_cmp_eq_u32_e32 vcc_lo, 31, v0
	v_lshlrev_b32_e32 v12, 2, v1
	s_waitcnt lgkmcnt(3)
	v_add_f32_e32 v1, v5, v2
	s_waitcnt lgkmcnt(2)
	v_add_f32_e32 v2, v6, v9
	;; [unrolled: 2-line block ×4, first 2 shown]
	ds_bpermute_b32 v7, v12, v1
	ds_bpermute_b32 v8, v12, v2
	;; [unrolled: 1-line block ×4, first 2 shown]
	s_and_b32 exec_lo, exec_lo, vcc_lo
	s_cbranch_execz .LBB103_10
; %bb.40:
	s_load_dwordx2 s[0:1], s[4:5], 0x58
	s_waitcnt lgkmcnt(0)
	v_add_f32_e32 v0, v1, v7
	v_add_f32_e32 v1, v2, v8
	v_add_f32_e32 v2, v5, v9
	v_add_f32_e32 v6, v6, v10
	v_cmp_eq_f32_e64 s4, s2, 0
	v_lshlrev_b64 v[4:5], 4, v[3:4]
	v_mul_f32_e32 v0, s16, v0
	v_mul_f32_e32 v1, s16, v1
	;; [unrolled: 1-line block ×4, first 2 shown]
	s_and_b32 vcc_lo, exec_lo, s4
	s_cbranch_vccz .LBB103_42
; %bb.41:
	v_add_co_u32 v6, vcc_lo, s0, v4
	v_add_co_ci_u32_e64 v7, null, s1, v5, vcc_lo
	s_mov_b32 s3, 0
	global_store_dwordx4 v[6:7], v[0:3], off
.LBB103_42:
	s_andn2_b32 vcc_lo, exec_lo, s3
	s_cbranch_vccnz .LBB103_10
; %bb.43:
	v_add_co_u32 v8, vcc_lo, s0, v4
	v_add_co_ci_u32_e64 v9, null, s1, v5, vcc_lo
	global_load_dwordx4 v[4:7], v[8:9], off
	s_waitcnt vmcnt(0)
	v_fmac_f32_e32 v0, s2, v4
	v_fmac_f32_e32 v1, s2, v5
	v_fmac_f32_e32 v2, s2, v6
	v_fmac_f32_e32 v3, s2, v7
	global_store_dwordx4 v[8:9], v[0:3], off
	s_endpgm
	.section	.rodata,"a",@progbits
	.p2align	6, 0x0
	.amdhsa_kernel _ZN9rocsparseL18bsrxmvn_4x4_kernelILj128ELj32EfllDF16_DF16_fEEvT3_20rocsparse_direction_NS_24const_host_device_scalarIT1_EES1_PKS1_PKT2_SA_S7_PKT4_PKT5_S5_PT6_21rocsparse_index_base_b
		.amdhsa_group_segment_fixed_size 0
		.amdhsa_private_segment_fixed_size 0
		.amdhsa_kernarg_size 104
		.amdhsa_user_sgpr_count 6
		.amdhsa_user_sgpr_private_segment_buffer 1
		.amdhsa_user_sgpr_dispatch_ptr 0
		.amdhsa_user_sgpr_queue_ptr 0
		.amdhsa_user_sgpr_kernarg_segment_ptr 1
		.amdhsa_user_sgpr_dispatch_id 0
		.amdhsa_user_sgpr_flat_scratch_init 0
		.amdhsa_user_sgpr_private_segment_size 0
		.amdhsa_wavefront_size32 1
		.amdhsa_uses_dynamic_stack 0
		.amdhsa_system_sgpr_private_segment_wavefront_offset 0
		.amdhsa_system_sgpr_workgroup_id_x 1
		.amdhsa_system_sgpr_workgroup_id_y 0
		.amdhsa_system_sgpr_workgroup_id_z 0
		.amdhsa_system_sgpr_workgroup_info 0
		.amdhsa_system_vgpr_workitem_id 0
		.amdhsa_next_free_vgpr 64
		.amdhsa_next_free_sgpr 20
		.amdhsa_reserve_vcc 1
		.amdhsa_reserve_flat_scratch 0
		.amdhsa_float_round_mode_32 0
		.amdhsa_float_round_mode_16_64 0
		.amdhsa_float_denorm_mode_32 3
		.amdhsa_float_denorm_mode_16_64 3
		.amdhsa_dx10_clamp 1
		.amdhsa_ieee_mode 1
		.amdhsa_fp16_overflow 0
		.amdhsa_workgroup_processor_mode 1
		.amdhsa_memory_ordered 1
		.amdhsa_forward_progress 1
		.amdhsa_shared_vgpr_count 0
		.amdhsa_exception_fp_ieee_invalid_op 0
		.amdhsa_exception_fp_denorm_src 0
		.amdhsa_exception_fp_ieee_div_zero 0
		.amdhsa_exception_fp_ieee_overflow 0
		.amdhsa_exception_fp_ieee_underflow 0
		.amdhsa_exception_fp_ieee_inexact 0
		.amdhsa_exception_int_div_zero 0
	.end_amdhsa_kernel
	.section	.text._ZN9rocsparseL18bsrxmvn_4x4_kernelILj128ELj32EfllDF16_DF16_fEEvT3_20rocsparse_direction_NS_24const_host_device_scalarIT1_EES1_PKS1_PKT2_SA_S7_PKT4_PKT5_S5_PT6_21rocsparse_index_base_b,"axG",@progbits,_ZN9rocsparseL18bsrxmvn_4x4_kernelILj128ELj32EfllDF16_DF16_fEEvT3_20rocsparse_direction_NS_24const_host_device_scalarIT1_EES1_PKS1_PKT2_SA_S7_PKT4_PKT5_S5_PT6_21rocsparse_index_base_b,comdat
.Lfunc_end103:
	.size	_ZN9rocsparseL18bsrxmvn_4x4_kernelILj128ELj32EfllDF16_DF16_fEEvT3_20rocsparse_direction_NS_24const_host_device_scalarIT1_EES1_PKS1_PKT2_SA_S7_PKT4_PKT5_S5_PT6_21rocsparse_index_base_b, .Lfunc_end103-_ZN9rocsparseL18bsrxmvn_4x4_kernelILj128ELj32EfllDF16_DF16_fEEvT3_20rocsparse_direction_NS_24const_host_device_scalarIT1_EES1_PKS1_PKT2_SA_S7_PKT4_PKT5_S5_PT6_21rocsparse_index_base_b
                                        ; -- End function
	.set _ZN9rocsparseL18bsrxmvn_4x4_kernelILj128ELj32EfllDF16_DF16_fEEvT3_20rocsparse_direction_NS_24const_host_device_scalarIT1_EES1_PKS1_PKT2_SA_S7_PKT4_PKT5_S5_PT6_21rocsparse_index_base_b.num_vgpr, 64
	.set _ZN9rocsparseL18bsrxmvn_4x4_kernelILj128ELj32EfllDF16_DF16_fEEvT3_20rocsparse_direction_NS_24const_host_device_scalarIT1_EES1_PKS1_PKT2_SA_S7_PKT4_PKT5_S5_PT6_21rocsparse_index_base_b.num_agpr, 0
	.set _ZN9rocsparseL18bsrxmvn_4x4_kernelILj128ELj32EfllDF16_DF16_fEEvT3_20rocsparse_direction_NS_24const_host_device_scalarIT1_EES1_PKS1_PKT2_SA_S7_PKT4_PKT5_S5_PT6_21rocsparse_index_base_b.numbered_sgpr, 20
	.set _ZN9rocsparseL18bsrxmvn_4x4_kernelILj128ELj32EfllDF16_DF16_fEEvT3_20rocsparse_direction_NS_24const_host_device_scalarIT1_EES1_PKS1_PKT2_SA_S7_PKT4_PKT5_S5_PT6_21rocsparse_index_base_b.num_named_barrier, 0
	.set _ZN9rocsparseL18bsrxmvn_4x4_kernelILj128ELj32EfllDF16_DF16_fEEvT3_20rocsparse_direction_NS_24const_host_device_scalarIT1_EES1_PKS1_PKT2_SA_S7_PKT4_PKT5_S5_PT6_21rocsparse_index_base_b.private_seg_size, 0
	.set _ZN9rocsparseL18bsrxmvn_4x4_kernelILj128ELj32EfllDF16_DF16_fEEvT3_20rocsparse_direction_NS_24const_host_device_scalarIT1_EES1_PKS1_PKT2_SA_S7_PKT4_PKT5_S5_PT6_21rocsparse_index_base_b.uses_vcc, 1
	.set _ZN9rocsparseL18bsrxmvn_4x4_kernelILj128ELj32EfllDF16_DF16_fEEvT3_20rocsparse_direction_NS_24const_host_device_scalarIT1_EES1_PKS1_PKT2_SA_S7_PKT4_PKT5_S5_PT6_21rocsparse_index_base_b.uses_flat_scratch, 0
	.set _ZN9rocsparseL18bsrxmvn_4x4_kernelILj128ELj32EfllDF16_DF16_fEEvT3_20rocsparse_direction_NS_24const_host_device_scalarIT1_EES1_PKS1_PKT2_SA_S7_PKT4_PKT5_S5_PT6_21rocsparse_index_base_b.has_dyn_sized_stack, 0
	.set _ZN9rocsparseL18bsrxmvn_4x4_kernelILj128ELj32EfllDF16_DF16_fEEvT3_20rocsparse_direction_NS_24const_host_device_scalarIT1_EES1_PKS1_PKT2_SA_S7_PKT4_PKT5_S5_PT6_21rocsparse_index_base_b.has_recursion, 0
	.set _ZN9rocsparseL18bsrxmvn_4x4_kernelILj128ELj32EfllDF16_DF16_fEEvT3_20rocsparse_direction_NS_24const_host_device_scalarIT1_EES1_PKS1_PKT2_SA_S7_PKT4_PKT5_S5_PT6_21rocsparse_index_base_b.has_indirect_call, 0
	.section	.AMDGPU.csdata,"",@progbits
; Kernel info:
; codeLenInByte = 4264
; TotalNumSgprs: 22
; NumVgprs: 64
; ScratchSize: 0
; MemoryBound: 0
; FloatMode: 240
; IeeeMode: 1
; LDSByteSize: 0 bytes/workgroup (compile time only)
; SGPRBlocks: 0
; VGPRBlocks: 7
; NumSGPRsForWavesPerEU: 22
; NumVGPRsForWavesPerEU: 64
; Occupancy: 16
; WaveLimiterHint : 1
; COMPUTE_PGM_RSRC2:SCRATCH_EN: 0
; COMPUTE_PGM_RSRC2:USER_SGPR: 6
; COMPUTE_PGM_RSRC2:TRAP_HANDLER: 0
; COMPUTE_PGM_RSRC2:TGID_X_EN: 1
; COMPUTE_PGM_RSRC2:TGID_Y_EN: 0
; COMPUTE_PGM_RSRC2:TGID_Z_EN: 0
; COMPUTE_PGM_RSRC2:TIDIG_COMP_CNT: 0
	.section	.text._ZN9rocsparseL18bsrxmvn_4x4_kernelILj128ELj64EfllDF16_DF16_fEEvT3_20rocsparse_direction_NS_24const_host_device_scalarIT1_EES1_PKS1_PKT2_SA_S7_PKT4_PKT5_S5_PT6_21rocsparse_index_base_b,"axG",@progbits,_ZN9rocsparseL18bsrxmvn_4x4_kernelILj128ELj64EfllDF16_DF16_fEEvT3_20rocsparse_direction_NS_24const_host_device_scalarIT1_EES1_PKS1_PKT2_SA_S7_PKT4_PKT5_S5_PT6_21rocsparse_index_base_b,comdat
	.globl	_ZN9rocsparseL18bsrxmvn_4x4_kernelILj128ELj64EfllDF16_DF16_fEEvT3_20rocsparse_direction_NS_24const_host_device_scalarIT1_EES1_PKS1_PKT2_SA_S7_PKT4_PKT5_S5_PT6_21rocsparse_index_base_b ; -- Begin function _ZN9rocsparseL18bsrxmvn_4x4_kernelILj128ELj64EfllDF16_DF16_fEEvT3_20rocsparse_direction_NS_24const_host_device_scalarIT1_EES1_PKS1_PKT2_SA_S7_PKT4_PKT5_S5_PT6_21rocsparse_index_base_b
	.p2align	8
	.type	_ZN9rocsparseL18bsrxmvn_4x4_kernelILj128ELj64EfllDF16_DF16_fEEvT3_20rocsparse_direction_NS_24const_host_device_scalarIT1_EES1_PKS1_PKT2_SA_S7_PKT4_PKT5_S5_PT6_21rocsparse_index_base_b,@function
_ZN9rocsparseL18bsrxmvn_4x4_kernelILj128ELj64EfllDF16_DF16_fEEvT3_20rocsparse_direction_NS_24const_host_device_scalarIT1_EES1_PKS1_PKT2_SA_S7_PKT4_PKT5_S5_PT6_21rocsparse_index_base_b: ; @_ZN9rocsparseL18bsrxmvn_4x4_kernelILj128ELj64EfllDF16_DF16_fEEvT3_20rocsparse_direction_NS_24const_host_device_scalarIT1_EES1_PKS1_PKT2_SA_S7_PKT4_PKT5_S5_PT6_21rocsparse_index_base_b
; %bb.0:
	s_clause 0x2
	s_load_dwordx2 s[0:1], s[4:5], 0x60
	s_load_dwordx4 s[16:19], s[4:5], 0x10
	s_load_dwordx2 s[2:3], s[4:5], 0x50
	s_waitcnt lgkmcnt(0)
	s_bitcmp1_b32 s1, 0
	s_cselect_b32 s1, -1, 0
	s_and_b32 vcc_lo, exec_lo, s1
	s_xor_b32 s1, s1, -1
	s_cbranch_vccnz .LBB104_2
; %bb.1:
	s_load_dword s16, s[16:17], 0x0
.LBB104_2:
	s_andn2_b32 vcc_lo, exec_lo, s1
	s_cbranch_vccnz .LBB104_4
; %bb.3:
	s_load_dword s2, s[2:3], 0x0
.LBB104_4:
	s_waitcnt lgkmcnt(0)
	v_cmp_neq_f32_e64 s1, s16, 0
	v_cmp_neq_f32_e64 s3, s2, 1.0
	s_or_b32 s1, s1, s3
	s_mov_b32 s3, 0
	s_andn2_b32 vcc_lo, exec_lo, s1
	s_cbranch_vccnz .LBB104_10
; %bb.5:
	s_load_dwordx2 s[8:9], s[4:5], 0x20
	v_lshrrev_b32_e32 v1, 6, v0
	v_mov_b32_e32 v6, 0
	v_lshl_or_b32 v5, s6, 1, v1
	s_waitcnt lgkmcnt(0)
	s_cmp_lg_u64 s[8:9], 0
	s_cbranch_scc0 .LBB104_11
; %bb.6:
	s_mov_b32 s6, 0
                                        ; implicit-def: $vgpr3_vgpr4
                                        ; implicit-def: $vgpr1_vgpr2
	s_mov_b32 s1, exec_lo
	v_cmpx_gt_i64_e64 s[18:19], v[5:6]
	s_xor_b32 s7, exec_lo, s1
	s_cbranch_execz .LBB104_8
; %bb.7:
	v_lshlrev_b64 v[1:2], 3, v[5:6]
	s_mov_b32 s1, 0
	s_mov_b32 s3, exec_lo
	v_add_co_u32 v1, vcc_lo, s8, v1
	v_add_co_ci_u32_e64 v2, null, s9, v2, vcc_lo
	global_load_dwordx2 v[1:2], v[1:2], off
	s_waitcnt vmcnt(0)
	v_sub_co_u32 v3, vcc_lo, v1, s0
	v_subrev_co_ci_u32_e64 v4, null, 0, v2, vcc_lo
	v_mov_b32_e32 v2, s1
	v_mov_b32_e32 v1, s0
.LBB104_8:
	s_or_b32 exec_lo, exec_lo, s7
	s_and_b32 vcc_lo, exec_lo, s6
	s_cbranch_vccnz .LBB104_12
.LBB104_9:
	s_and_saveexec_b32 s0, s3
	s_cbranch_execnz .LBB104_15
.LBB104_10:
	s_endpgm
.LBB104_11:
                                        ; implicit-def: $vgpr3_vgpr4
                                        ; implicit-def: $vgpr1_vgpr2
	s_cbranch_execz .LBB104_9
.LBB104_12:
	s_load_dwordx2 s[6:7], s[4:5], 0x0
	s_waitcnt lgkmcnt(0)
	v_cmp_gt_i64_e32 vcc_lo, s[6:7], v[5:6]
	s_and_saveexec_b32 s6, vcc_lo
; %bb.13:
	s_mov_b32 s1, 0
	s_or_b32 s3, s3, exec_lo
; %bb.14:
	s_or_b32 exec_lo, exec_lo, s6
	v_mov_b32_e32 v2, s1
	v_mov_b32_e32 v3, v5
	;; [unrolled: 1-line block ×4, first 2 shown]
	s_and_saveexec_b32 s0, s3
	s_cbranch_execz .LBB104_10
.LBB104_15:
	s_load_dwordx8 s[8:15], s[4:5], 0x28
	v_lshlrev_b64 v[5:6], 3, v[3:4]
	v_and_b32_e32 v0, 63, v0
	s_clause 0x1
	s_load_dword s1, s[4:5], 0x8
	s_load_dwordx2 s[6:7], s[4:5], 0x48
	v_mov_b32_e32 v25, 0
	s_waitcnt lgkmcnt(0)
	v_add_co_u32 v7, vcc_lo, s8, v5
	v_add_co_ci_u32_e64 v8, null, s9, v6, vcc_lo
	v_add_co_u32 v5, vcc_lo, s10, v5
	v_add_co_ci_u32_e64 v6, null, s11, v6, vcc_lo
	v_add_co_u32 v9, vcc_lo, v7, 8
	global_load_dwordx2 v[13:14], v[7:8], off
	v_add_co_ci_u32_e64 v10, null, 0, v8, vcc_lo
	s_cmp_eq_u64 s[10:11], 0
	s_cselect_b32 vcc_lo, -1, 0
	s_cmp_eq_u32 s1, 1
	v_cndmask_b32_e32 v6, v6, v10, vcc_lo
	v_cndmask_b32_e32 v5, v5, v9, vcc_lo
	global_load_dwordx2 v[7:8], v[5:6], off
	s_waitcnt vmcnt(1)
	v_sub_co_u32 v5, vcc_lo, v13, v1
	v_sub_co_ci_u32_e64 v6, null, v14, v2, vcc_lo
	v_add_co_u32 v5, vcc_lo, v5, v0
	v_add_co_ci_u32_e64 v6, null, 0, v6, vcc_lo
	v_lshlrev_b64 v[9:10], 5, v[5:6]
	s_waitcnt vmcnt(0)
	v_sub_co_u32 v7, vcc_lo, v7, v1
	v_sub_co_ci_u32_e64 v8, null, v8, v2, vcc_lo
	v_add_co_u32 v9, vcc_lo, s14, v9
	v_cmp_lt_i64_e64 s0, v[5:6], v[7:8]
	v_add_co_ci_u32_e64 v10, null, s15, v10, vcc_lo
	s_cbranch_scc1 .LBB104_27
; %bb.16:
	v_mov_b32_e32 v26, 0
	v_mov_b32_e32 v27, 0
	;; [unrolled: 1-line block ×3, first 2 shown]
	s_and_saveexec_b32 s3, s0
	s_cbranch_execz .LBB104_26
; %bb.17:
	v_or_b32_e32 v11, 64, v0
	v_not_b32_e32 v16, v13
	v_sub_co_u32 v17, s1, v1, v0
	v_not_b32_e32 v15, v14
	v_sub_co_u32 v11, vcc_lo, v11, v1
	v_sub_co_ci_u32_e64 v12, null, 0, v2, vcc_lo
	v_subrev_co_ci_u32_e64 v18, null, 0, v2, s1
	v_add_co_u32 v11, vcc_lo, v11, v13
	v_add_co_ci_u32_e64 v12, null, v12, v14, vcc_lo
	s_mov_b32 s1, exec_lo
	v_cmp_gt_i64_e32 vcc_lo, v[11:12], v[7:8]
	v_cndmask_b32_e32 v20, v8, v12, vcc_lo
	v_cndmask_b32_e32 v11, v7, v11, vcc_lo
	v_add_co_u32 v12, vcc_lo, v17, v16
	v_add_co_ci_u32_e64 v15, null, v18, v15, vcc_lo
	v_mov_b32_e32 v18, v10
	v_add_co_u32 v19, vcc_lo, v12, v11
	v_mov_b32_e32 v12, 0
	v_add_co_ci_u32_e64 v20, null, v15, v20, vcc_lo
	v_mov_b32_e32 v16, v6
	v_and_b32_e32 v11, 0xc0, v19
	v_mov_b32_e32 v27, v12
	v_mov_b32_e32 v26, v12
	;; [unrolled: 1-line block ×5, first 2 shown]
	v_cmpx_ne_u64_e32 0xc0, v[11:12]
	s_cbranch_execz .LBB104_21
; %bb.18:
	v_lshrrev_b32_e32 v11, 6, v19
	v_mov_b32_e32 v18, v10
	v_mov_b32_e32 v16, v6
	;; [unrolled: 1-line block ×4, first 2 shown]
	v_add_nc_u32_e32 v21, 1, v11
	v_lshlrev_b64 v[11:12], 3, v[5:6]
	v_mov_b32_e32 v15, v5
	v_mov_b32_e32 v26, 0
	;; [unrolled: 1-line block ×3, first 2 shown]
	v_and_b32_e32 v23, 3, v21
	v_add_co_u32 v21, vcc_lo, s12, v11
	v_add_co_ci_u32_e64 v22, null, s13, v12, vcc_lo
	v_sub_co_u32 v23, s8, 0, v23
	v_sub_co_ci_u32_e64 v24, null, 0, 0, s8
	v_mov_b32_e32 v12, 0
	s_mov_b32 s8, 0
.LBB104_19:                             ; =>This Inner Loop Header: Depth=1
	global_load_dwordx2 v[36:37], v[21:22], off
	s_clause 0x1
	global_load_dwordx4 v[28:31], v[17:18], off
	global_load_dwordx4 v[32:35], v[17:18], off offset:16
	s_waitcnt vmcnt(2)
	v_sub_co_u32 v36, vcc_lo, v36, v1
	v_sub_co_ci_u32_e64 v37, null, v37, v2, vcc_lo
	v_lshlrev_b64 v[36:37], 3, v[36:37]
	v_add_co_u32 v36, vcc_lo, s6, v36
	v_add_co_ci_u32_e64 v37, null, s7, v37, vcc_lo
	v_add_co_u32 v17, vcc_lo, 0x800, v17
	v_add_co_ci_u32_e64 v18, null, 0, v18, vcc_lo
	global_load_dwordx2 v[36:37], v[36:37], off
	v_add_co_u32 v15, vcc_lo, v15, 64
	v_add_co_ci_u32_e64 v16, null, 0, v16, vcc_lo
	v_add_co_u32 v21, vcc_lo, 0x200, v21
	v_add_co_ci_u32_e64 v22, null, 0, v22, vcc_lo
	;; [unrolled: 2-line block ×3, first 2 shown]
	v_cmp_eq_u64_e32 vcc_lo, 0, v[23:24]
	s_or_b32 s8, vcc_lo, s8
	s_waitcnt vmcnt(0)
	v_fma_mix_f32 v11, v28, v36, v12 op_sel_hi:[1,1,0]
	v_fma_mix_f32 v12, v30, v36, v27 op_sel_hi:[1,1,0]
	;; [unrolled: 1-line block ×4, first 2 shown]
	v_fma_mix_f32 v11, v28, v36, v11 op_sel:[1,1,0] op_sel_hi:[1,1,0]
	v_fma_mix_f32 v12, v30, v36, v12 op_sel:[1,1,0] op_sel_hi:[1,1,0]
	;; [unrolled: 1-line block ×4, first 2 shown]
	v_fma_mix_f32 v11, v29, v37, v11 op_sel_hi:[1,1,0]
	v_fma_mix_f32 v27, v31, v37, v12 op_sel_hi:[1,1,0]
	;; [unrolled: 1-line block ×4, first 2 shown]
	v_fma_mix_f32 v12, v29, v37, v11 op_sel:[1,1,0] op_sel_hi:[1,1,0]
	v_fma_mix_f32 v27, v31, v37, v27 op_sel:[1,1,0] op_sel_hi:[1,1,0]
	;; [unrolled: 1-line block ×4, first 2 shown]
	s_andn2_b32 exec_lo, exec_lo, s8
	s_cbranch_execnz .LBB104_19
; %bb.20:
	s_or_b32 exec_lo, exec_lo, s8
.LBB104_21:
	s_or_b32 exec_lo, exec_lo, s1
	s_mov_b32 s8, exec_lo
	v_cmpx_lt_u64_e32 0xbf, v[19:20]
	s_cbranch_execz .LBB104_25
; %bb.22:
	v_lshlrev_b64 v[19:20], 3, v[15:16]
	s_mov_b32 s9, 0
	v_add_co_u32 v11, vcc_lo, s12, v19
	v_add_co_ci_u32_e64 v20, null, s13, v20, vcc_lo
	v_add_co_u32 v19, vcc_lo, 0x400, v11
	v_add_co_ci_u32_e64 v20, null, 0, v20, vcc_lo
.LBB104_23:                             ; =>This Inner Loop Header: Depth=1
	s_clause 0x3
	global_load_dwordx2 v[56:57], v[19:20], off offset:-1024
	global_load_dwordx2 v[58:59], v[19:20], off offset:-512
	global_load_dwordx2 v[60:61], v[19:20], off
	global_load_dwordx2 v[62:63], v[19:20], off offset:512
	s_clause 0x1
	global_load_dwordx4 v[21:24], v[17:18], off
	global_load_dwordx4 v[28:31], v[17:18], off offset:16
	v_add_co_u32 v32, vcc_lo, 0x800, v17
	v_add_co_ci_u32_e64 v33, null, 0, v18, vcc_lo
	v_add_co_u32 v40, vcc_lo, v17, 0x1000
	v_add_co_ci_u32_e64 v41, null, 0, v18, vcc_lo
	;; [unrolled: 2-line block ×4, first 2 shown]
	s_clause 0x5
	global_load_dwordx4 v[32:35], v[32:33], off offset:16
	global_load_dwordx4 v[36:39], v[40:41], off offset:-2048
	global_load_dwordx4 v[40:43], v[40:41], off
	global_load_dwordx4 v[44:47], v[44:45], off offset:16
	global_load_dwordx4 v[48:51], v[52:53], off
	global_load_dwordx4 v[52:55], v[52:53], off offset:16
	s_waitcnt vmcnt(11)
	v_sub_co_u32 v56, vcc_lo, v56, v1
	v_sub_co_ci_u32_e64 v57, null, v57, v2, vcc_lo
	s_waitcnt vmcnt(10)
	v_sub_co_u32 v58, vcc_lo, v58, v1
	v_sub_co_ci_u32_e64 v59, null, v59, v2, vcc_lo
	v_lshlrev_b64 v[56:57], 3, v[56:57]
	s_waitcnt vmcnt(9)
	v_sub_co_u32 v60, vcc_lo, v60, v1
	v_lshlrev_b64 v[58:59], 3, v[58:59]
	v_sub_co_ci_u32_e64 v61, null, v61, v2, vcc_lo
	v_add_co_u32 v56, s1, s6, v56
	v_add_co_ci_u32_e64 v57, null, s7, v57, s1
	v_add_co_u32 v58, vcc_lo, s6, v58
	v_add_co_ci_u32_e64 v59, null, s7, v59, vcc_lo
	global_load_dwordx2 v[56:57], v[56:57], off
	v_lshlrev_b64 v[60:61], 3, v[60:61]
	s_waitcnt vmcnt(9)
	v_sub_co_u32 v62, vcc_lo, v62, v1
	global_load_dwordx2 v[58:59], v[58:59], off
	v_sub_co_ci_u32_e64 v63, null, v63, v2, vcc_lo
	v_add_co_u32 v60, s1, s6, v60
	v_add_co_ci_u32_e64 v61, null, s7, v61, s1
	v_lshlrev_b64 v[62:63], 3, v[62:63]
	v_add_co_u32 v15, s1, 0x100, v15
	global_load_dwordx2 v[60:61], v[60:61], off
	v_add_co_ci_u32_e64 v16, null, 0, v16, s1
	v_add_co_u32 v62, vcc_lo, s6, v62
	v_add_co_ci_u32_e64 v63, null, s7, v63, vcc_lo
	v_add_co_u32 v17, vcc_lo, 0x2000, v17
	v_add_co_ci_u32_e64 v18, null, 0, v18, vcc_lo
	global_load_dwordx2 v[62:63], v[62:63], off
	v_cmp_ge_i64_e32 vcc_lo, v[15:16], v[7:8]
	v_add_co_u32 v19, s1, 0x800, v19
	v_add_co_ci_u32_e64 v20, null, 0, v20, s1
	s_or_b32 s9, vcc_lo, s9
	s_waitcnt vmcnt(3)
	v_fma_mix_f32 v11, v21, v56, v12 op_sel_hi:[1,1,0]
	v_fma_mix_f32 v12, v23, v56, v27 op_sel_hi:[1,1,0]
	v_fma_mix_f32 v26, v28, v56, v26 op_sel_hi:[1,1,0]
	v_fma_mix_f32 v25, v30, v56, v25 op_sel_hi:[1,1,0]
	v_fma_mix_f32 v11, v21, v56, v11 op_sel:[1,1,0] op_sel_hi:[1,1,0]
	v_fma_mix_f32 v12, v23, v56, v12 op_sel:[1,1,0] op_sel_hi:[1,1,0]
	v_fma_mix_f32 v21, v28, v56, v26 op_sel:[1,1,0] op_sel_hi:[1,1,0]
	v_fma_mix_f32 v23, v30, v56, v25 op_sel:[1,1,0] op_sel_hi:[1,1,0]
	v_fma_mix_f32 v11, v22, v57, v11 op_sel_hi:[1,1,0]
	v_fma_mix_f32 v12, v24, v57, v12 op_sel_hi:[1,1,0]
	v_fma_mix_f32 v21, v29, v57, v21 op_sel_hi:[1,1,0]
	v_fma_mix_f32 v23, v31, v57, v23 op_sel_hi:[1,1,0]
	v_fma_mix_f32 v11, v22, v57, v11 op_sel:[1,1,0] op_sel_hi:[1,1,0]
	v_fma_mix_f32 v12, v24, v57, v12 op_sel:[1,1,0] op_sel_hi:[1,1,0]
	v_fma_mix_f32 v21, v29, v57, v21 op_sel:[1,1,0] op_sel_hi:[1,1,0]
	v_fma_mix_f32 v22, v31, v57, v23 op_sel:[1,1,0] op_sel_hi:[1,1,0]
	s_waitcnt vmcnt(2)
	v_fma_mix_f32 v11, v36, v58, v11 op_sel_hi:[1,1,0]
	v_fma_mix_f32 v12, v38, v58, v12 op_sel_hi:[1,1,0]
	v_fma_mix_f32 v21, v32, v58, v21 op_sel_hi:[1,1,0]
	v_fma_mix_f32 v22, v34, v58, v22 op_sel_hi:[1,1,0]
	v_fma_mix_f32 v11, v36, v58, v11 op_sel:[1,1,0] op_sel_hi:[1,1,0]
	v_fma_mix_f32 v12, v38, v58, v12 op_sel:[1,1,0] op_sel_hi:[1,1,0]
	v_fma_mix_f32 v21, v32, v58, v21 op_sel:[1,1,0] op_sel_hi:[1,1,0]
	v_fma_mix_f32 v22, v34, v58, v22 op_sel:[1,1,0] op_sel_hi:[1,1,0]
	v_fma_mix_f32 v11, v37, v59, v11 op_sel_hi:[1,1,0]
	v_fma_mix_f32 v12, v39, v59, v12 op_sel_hi:[1,1,0]
	v_fma_mix_f32 v21, v33, v59, v21 op_sel_hi:[1,1,0]
	v_fma_mix_f32 v22, v35, v59, v22 op_sel_hi:[1,1,0]
	v_fma_mix_f32 v11, v37, v59, v11 op_sel:[1,1,0] op_sel_hi:[1,1,0]
	v_fma_mix_f32 v12, v39, v59, v12 op_sel:[1,1,0] op_sel_hi:[1,1,0]
	v_fma_mix_f32 v21, v33, v59, v21 op_sel:[1,1,0] op_sel_hi:[1,1,0]
	v_fma_mix_f32 v22, v35, v59, v22 op_sel:[1,1,0] op_sel_hi:[1,1,0]
	s_waitcnt vmcnt(1)
	v_fma_mix_f32 v11, v40, v60, v11 op_sel_hi:[1,1,0]
	v_fma_mix_f32 v12, v42, v60, v12 op_sel_hi:[1,1,0]
	v_fma_mix_f32 v21, v44, v60, v21 op_sel_hi:[1,1,0]
	v_fma_mix_f32 v22, v46, v60, v22 op_sel_hi:[1,1,0]
	v_fma_mix_f32 v11, v40, v60, v11 op_sel:[1,1,0] op_sel_hi:[1,1,0]
	v_fma_mix_f32 v12, v42, v60, v12 op_sel:[1,1,0] op_sel_hi:[1,1,0]
	v_fma_mix_f32 v21, v44, v60, v21 op_sel:[1,1,0] op_sel_hi:[1,1,0]
	v_fma_mix_f32 v22, v46, v60, v22 op_sel:[1,1,0] op_sel_hi:[1,1,0]
	v_fma_mix_f32 v11, v41, v61, v11 op_sel_hi:[1,1,0]
	v_fma_mix_f32 v12, v43, v61, v12 op_sel_hi:[1,1,0]
	v_fma_mix_f32 v21, v45, v61, v21 op_sel_hi:[1,1,0]
	v_fma_mix_f32 v22, v47, v61, v22 op_sel_hi:[1,1,0]
	v_fma_mix_f32 v11, v41, v61, v11 op_sel:[1,1,0] op_sel_hi:[1,1,0]
	v_fma_mix_f32 v12, v43, v61, v12 op_sel:[1,1,0] op_sel_hi:[1,1,0]
	v_fma_mix_f32 v21, v45, v61, v21 op_sel:[1,1,0] op_sel_hi:[1,1,0]
	v_fma_mix_f32 v22, v47, v61, v22 op_sel:[1,1,0] op_sel_hi:[1,1,0]
	s_waitcnt vmcnt(0)
	v_fma_mix_f32 v11, v48, v62, v11 op_sel_hi:[1,1,0]
	v_fma_mix_f32 v12, v50, v62, v12 op_sel_hi:[1,1,0]
	v_fma_mix_f32 v21, v52, v62, v21 op_sel_hi:[1,1,0]
	v_fma_mix_f32 v22, v54, v62, v22 op_sel_hi:[1,1,0]
	v_fma_mix_f32 v11, v48, v62, v11 op_sel:[1,1,0] op_sel_hi:[1,1,0]
	v_fma_mix_f32 v12, v50, v62, v12 op_sel:[1,1,0] op_sel_hi:[1,1,0]
	v_fma_mix_f32 v21, v52, v62, v21 op_sel:[1,1,0] op_sel_hi:[1,1,0]
	v_fma_mix_f32 v22, v54, v62, v22 op_sel:[1,1,0] op_sel_hi:[1,1,0]
	v_fma_mix_f32 v11, v49, v63, v11 op_sel_hi:[1,1,0]
	v_fma_mix_f32 v23, v51, v63, v12 op_sel_hi:[1,1,0]
	v_fma_mix_f32 v21, v53, v63, v21 op_sel_hi:[1,1,0]
	v_fma_mix_f32 v22, v55, v63, v22 op_sel_hi:[1,1,0]
	v_fma_mix_f32 v12, v49, v63, v11 op_sel:[1,1,0] op_sel_hi:[1,1,0]
	v_fma_mix_f32 v27, v51, v63, v23 op_sel:[1,1,0] op_sel_hi:[1,1,0]
	v_fma_mix_f32 v26, v53, v63, v21 op_sel:[1,1,0] op_sel_hi:[1,1,0]
	v_fma_mix_f32 v25, v55, v63, v22 op_sel:[1,1,0] op_sel_hi:[1,1,0]
	s_andn2_b32 exec_lo, exec_lo, s9
	s_cbranch_execnz .LBB104_23
; %bb.24:
	s_or_b32 exec_lo, exec_lo, s9
.LBB104_25:
	s_or_b32 exec_lo, exec_lo, s8
.LBB104_26:
	s_or_b32 exec_lo, exec_lo, s3
	s_cbranch_execz .LBB104_28
	s_branch .LBB104_39
.LBB104_27:
                                        ; implicit-def: $vgpr25
                                        ; implicit-def: $vgpr26
                                        ; implicit-def: $vgpr27
                                        ; implicit-def: $vgpr12
.LBB104_28:
	v_mov_b32_e32 v25, 0
	v_mov_b32_e32 v26, 0
	;; [unrolled: 1-line block ×4, first 2 shown]
	s_and_saveexec_b32 s1, s0
	s_cbranch_execz .LBB104_38
; %bb.29:
	v_or_b32_e32 v11, 64, v0
	v_sub_co_u32 v15, s0, v1, v0
	v_subrev_co_ci_u32_e64 v16, null, 0, v2, s0
	v_sub_co_u32 v11, vcc_lo, v11, v1
	v_sub_co_ci_u32_e64 v12, null, 0, v2, vcc_lo
	s_mov_b32 s0, exec_lo
	v_add_co_u32 v11, vcc_lo, v11, v13
	v_add_co_ci_u32_e64 v12, null, v12, v14, vcc_lo
	v_not_b32_e32 v13, v13
	v_not_b32_e32 v14, v14
	v_cmp_gt_i64_e32 vcc_lo, v[11:12], v[7:8]
	v_cndmask_b32_e32 v17, v8, v12, vcc_lo
	v_cndmask_b32_e32 v11, v7, v11, vcc_lo
	v_add_co_u32 v12, vcc_lo, v15, v13
	v_add_co_ci_u32_e64 v14, null, v16, v14, vcc_lo
	v_add_co_u32 v13, vcc_lo, v12, v11
	v_mov_b32_e32 v12, 0
	v_add_co_ci_u32_e64 v14, null, v14, v17, vcc_lo
	v_and_b32_e32 v11, 0xc0, v13
	v_mov_b32_e32 v27, v12
	v_mov_b32_e32 v26, v12
	;; [unrolled: 1-line block ×3, first 2 shown]
	v_cmpx_ne_u64_e32 0xc0, v[11:12]
	s_cbranch_execz .LBB104_33
; %bb.30:
	v_lshrrev_b32_e32 v11, 6, v13
	v_mov_b32_e32 v25, 0
	v_mov_b32_e32 v26, 0
	;; [unrolled: 1-line block ×3, first 2 shown]
	v_add_nc_u32_e32 v15, 1, v11
	v_lshlrev_b64 v[11:12], 3, v[5:6]
	v_and_b32_e32 v17, 3, v15
	v_add_co_u32 v15, vcc_lo, s12, v11
	v_add_co_ci_u32_e64 v16, null, s13, v12, vcc_lo
	v_sub_co_u32 v17, s3, 0, v17
	v_sub_co_ci_u32_e64 v18, null, 0, 0, s3
	v_mov_b32_e32 v12, 0
	s_mov_b32 s3, 0
.LBB104_31:                             ; =>This Inner Loop Header: Depth=1
	global_load_dwordx2 v[23:24], v[15:16], off
	global_load_dwordx4 v[19:22], v[9:10], off
	s_waitcnt vmcnt(1)
	v_sub_co_u32 v23, vcc_lo, v23, v1
	v_sub_co_ci_u32_e64 v24, null, v24, v2, vcc_lo
	v_lshlrev_b64 v[23:24], 3, v[23:24]
	v_add_co_u32 v23, vcc_lo, s6, v23
	v_add_co_ci_u32_e64 v24, null, s7, v24, vcc_lo
	global_load_dwordx2 v[23:24], v[23:24], off
	global_load_dwordx4 v[28:31], v[9:10], off offset:16
	v_add_co_u32 v9, vcc_lo, 0x800, v9
	v_add_co_ci_u32_e64 v10, null, 0, v10, vcc_lo
	v_add_co_u32 v5, vcc_lo, v5, 64
	v_add_co_ci_u32_e64 v6, null, 0, v6, vcc_lo
	;; [unrolled: 2-line block ×4, first 2 shown]
	v_cmp_eq_u64_e32 vcc_lo, 0, v[17:18]
	s_or_b32 s3, vcc_lo, s3
	s_waitcnt vmcnt(1)
	v_fma_mix_f32 v11, v19, v23, v12 op_sel_hi:[1,1,0]
	v_fma_mix_f32 v12, v19, v23, v27 op_sel:[1,0,0] op_sel_hi:[1,1,0]
	v_fma_mix_f32 v19, v20, v23, v26 op_sel_hi:[1,1,0]
	v_fma_mix_f32 v20, v20, v23, v25 op_sel:[1,0,0] op_sel_hi:[1,1,0]
	v_fma_mix_f32 v11, v21, v23, v11 op_sel:[0,1,0] op_sel_hi:[1,1,0]
	;; [unrolled: 1-line block ×5, first 2 shown]
	s_waitcnt vmcnt(0)
	v_fma_mix_f32 v11, v28, v24, v11 op_sel_hi:[1,1,0]
	v_fma_mix_f32 v21, v28, v24, v12 op_sel:[1,0,0] op_sel_hi:[1,1,0]
	v_fma_mix_f32 v19, v29, v24, v19 op_sel_hi:[1,1,0]
	v_fma_mix_f32 v20, v29, v24, v20 op_sel:[1,0,0] op_sel_hi:[1,1,0]
	v_fma_mix_f32 v12, v30, v24, v11 op_sel:[0,1,0] op_sel_hi:[1,1,0]
	;; [unrolled: 1-line block ×5, first 2 shown]
	s_andn2_b32 exec_lo, exec_lo, s3
	s_cbranch_execnz .LBB104_31
; %bb.32:
	s_or_b32 exec_lo, exec_lo, s3
.LBB104_33:
	s_or_b32 exec_lo, exec_lo, s0
	s_mov_b32 s3, exec_lo
	v_cmpx_lt_u64_e32 0xbf, v[13:14]
	s_cbranch_execz .LBB104_37
; %bb.34:
	v_lshlrev_b64 v[13:14], 3, v[5:6]
	s_mov_b32 s8, 0
	v_add_co_u32 v11, vcc_lo, s12, v13
	v_add_co_ci_u32_e64 v14, null, s13, v14, vcc_lo
	v_add_co_u32 v13, vcc_lo, 0x400, v11
	v_add_co_ci_u32_e64 v14, null, 0, v14, vcc_lo
.LBB104_35:                             ; =>This Inner Loop Header: Depth=1
	s_clause 0x3
	global_load_dwordx2 v[23:24], v[13:14], off offset:-1024
	global_load_dwordx2 v[48:49], v[13:14], off offset:-512
	global_load_dwordx2 v[50:51], v[13:14], off
	global_load_dwordx2 v[52:53], v[13:14], off offset:512
	s_clause 0x1
	global_load_dwordx4 v[15:18], v[9:10], off
	global_load_dwordx4 v[19:22], v[9:10], off offset:16
	v_add_co_u32 v28, vcc_lo, 0x800, v9
	v_add_co_ci_u32_e64 v29, null, 0, v10, vcc_lo
	v_add_co_u32 v36, vcc_lo, v9, 0x1000
	v_add_co_ci_u32_e64 v37, null, 0, v10, vcc_lo
	;; [unrolled: 2-line block ×4, first 2 shown]
	s_clause 0x4
	global_load_dwordx4 v[28:31], v[28:29], off offset:16
	global_load_dwordx4 v[32:35], v[36:37], off offset:-2048
	global_load_dwordx4 v[36:39], v[36:37], off
	global_load_dwordx4 v[40:43], v[40:41], off offset:16
	global_load_dwordx4 v[44:47], v[54:55], off
	s_waitcnt vmcnt(10)
	v_sub_co_u32 v23, vcc_lo, v23, v1
	v_sub_co_ci_u32_e64 v24, null, v24, v2, vcc_lo
	s_waitcnt vmcnt(9)
	v_sub_co_u32 v48, vcc_lo, v48, v1
	v_sub_co_ci_u32_e64 v49, null, v49, v2, vcc_lo
	v_lshlrev_b64 v[23:24], 3, v[23:24]
	s_waitcnt vmcnt(8)
	v_sub_co_u32 v50, vcc_lo, v50, v1
	v_lshlrev_b64 v[48:49], 3, v[48:49]
	v_sub_co_ci_u32_e64 v51, null, v51, v2, vcc_lo
	v_add_co_u32 v23, s0, s6, v23
	v_add_co_ci_u32_e64 v24, null, s7, v24, s0
	v_add_co_u32 v48, vcc_lo, s6, v48
	v_add_co_ci_u32_e64 v49, null, s7, v49, vcc_lo
	s_clause 0x1
	global_load_dwordx2 v[23:24], v[23:24], off
	global_load_dwordx2 v[56:57], v[48:49], off
	v_lshlrev_b64 v[49:50], 3, v[50:51]
	s_waitcnt vmcnt(9)
	v_sub_co_u32 v48, vcc_lo, v52, v1
	v_add_co_u32 v49, s0, s6, v49
	v_add_co_ci_u32_e64 v50, null, s7, v50, s0
	global_load_dwordx2 v[58:59], v[49:50], off
	v_sub_co_ci_u32_e64 v49, null, v53, v2, vcc_lo
	v_lshlrev_b64 v[48:49], 3, v[48:49]
	v_add_co_u32 v48, vcc_lo, s6, v48
	v_add_co_ci_u32_e64 v49, null, s7, v49, vcc_lo
	global_load_dwordx2 v[52:53], v[48:49], off
	global_load_dwordx4 v[48:51], v[54:55], off offset:16
	v_add_co_u32 v5, vcc_lo, 0x100, v5
	v_add_co_ci_u32_e64 v6, null, 0, v6, vcc_lo
	v_add_co_u32 v13, vcc_lo, 0x800, v13
	v_add_co_ci_u32_e64 v14, null, 0, v14, vcc_lo
	v_add_co_u32 v9, vcc_lo, 0x2000, v9
	v_add_co_ci_u32_e64 v10, null, 0, v10, vcc_lo
	v_cmp_ge_i64_e32 vcc_lo, v[5:6], v[7:8]
	s_or_b32 s8, vcc_lo, s8
	s_waitcnt vmcnt(4)
	v_fma_mix_f32 v11, v15, v23, v12 op_sel_hi:[1,1,0]
	v_fma_mix_f32 v12, v15, v23, v27 op_sel:[1,0,0] op_sel_hi:[1,1,0]
	v_fma_mix_f32 v15, v16, v23, v26 op_sel_hi:[1,1,0]
	v_fma_mix_f32 v16, v16, v23, v25 op_sel:[1,0,0] op_sel_hi:[1,1,0]
	v_fma_mix_f32 v11, v17, v23, v11 op_sel:[0,1,0] op_sel_hi:[1,1,0]
	v_fma_mix_f32 v12, v17, v23, v12 op_sel:[1,1,0] op_sel_hi:[1,1,0]
	v_fma_mix_f32 v15, v18, v23, v15 op_sel:[0,1,0] op_sel_hi:[1,1,0]
	v_fma_mix_f32 v16, v18, v23, v16 op_sel:[1,1,0] op_sel_hi:[1,1,0]
	v_fma_mix_f32 v11, v19, v24, v11 op_sel_hi:[1,1,0]
	v_fma_mix_f32 v12, v19, v24, v12 op_sel:[1,0,0] op_sel_hi:[1,1,0]
	v_fma_mix_f32 v15, v20, v24, v15 op_sel_hi:[1,1,0]
	v_fma_mix_f32 v16, v20, v24, v16 op_sel:[1,0,0] op_sel_hi:[1,1,0]
	v_fma_mix_f32 v11, v21, v24, v11 op_sel:[0,1,0] op_sel_hi:[1,1,0]
	v_fma_mix_f32 v12, v21, v24, v12 op_sel:[1,1,0] op_sel_hi:[1,1,0]
	v_fma_mix_f32 v15, v22, v24, v15 op_sel:[0,1,0] op_sel_hi:[1,1,0]
	v_fma_mix_f32 v16, v22, v24, v16 op_sel:[1,1,0] op_sel_hi:[1,1,0]
	s_waitcnt vmcnt(3)
	v_fma_mix_f32 v11, v32, v56, v11 op_sel_hi:[1,1,0]
	v_fma_mix_f32 v12, v32, v56, v12 op_sel:[1,0,0] op_sel_hi:[1,1,0]
	v_fma_mix_f32 v15, v33, v56, v15 op_sel_hi:[1,1,0]
	v_fma_mix_f32 v16, v33, v56, v16 op_sel:[1,0,0] op_sel_hi:[1,1,0]
	v_fma_mix_f32 v11, v34, v56, v11 op_sel:[0,1,0] op_sel_hi:[1,1,0]
	v_fma_mix_f32 v12, v34, v56, v12 op_sel:[1,1,0] op_sel_hi:[1,1,0]
	v_fma_mix_f32 v15, v35, v56, v15 op_sel:[0,1,0] op_sel_hi:[1,1,0]
	v_fma_mix_f32 v16, v35, v56, v16 op_sel:[1,1,0] op_sel_hi:[1,1,0]
	v_fma_mix_f32 v11, v28, v57, v11 op_sel_hi:[1,1,0]
	v_fma_mix_f32 v12, v28, v57, v12 op_sel:[1,0,0] op_sel_hi:[1,1,0]
	v_fma_mix_f32 v15, v29, v57, v15 op_sel_hi:[1,1,0]
	v_fma_mix_f32 v16, v29, v57, v16 op_sel:[1,0,0] op_sel_hi:[1,1,0]
	v_fma_mix_f32 v11, v30, v57, v11 op_sel:[0,1,0] op_sel_hi:[1,1,0]
	v_fma_mix_f32 v12, v30, v57, v12 op_sel:[1,1,0] op_sel_hi:[1,1,0]
	v_fma_mix_f32 v15, v31, v57, v15 op_sel:[0,1,0] op_sel_hi:[1,1,0]
	v_fma_mix_f32 v16, v31, v57, v16 op_sel:[1,1,0] op_sel_hi:[1,1,0]
	;; [unrolled: 17-line block ×3, first 2 shown]
	s_waitcnt vmcnt(1)
	v_fma_mix_f32 v11, v44, v52, v11 op_sel_hi:[1,1,0]
	v_fma_mix_f32 v12, v44, v52, v12 op_sel:[1,0,0] op_sel_hi:[1,1,0]
	v_fma_mix_f32 v15, v45, v52, v15 op_sel_hi:[1,1,0]
	v_fma_mix_f32 v16, v45, v52, v16 op_sel:[1,0,0] op_sel_hi:[1,1,0]
	v_fma_mix_f32 v11, v46, v52, v11 op_sel:[0,1,0] op_sel_hi:[1,1,0]
	;; [unrolled: 1-line block ×5, first 2 shown]
	s_waitcnt vmcnt(0)
	v_fma_mix_f32 v11, v48, v53, v11 op_sel_hi:[1,1,0]
	v_fma_mix_f32 v17, v48, v53, v12 op_sel:[1,0,0] op_sel_hi:[1,1,0]
	v_fma_mix_f32 v15, v49, v53, v15 op_sel_hi:[1,1,0]
	v_fma_mix_f32 v16, v49, v53, v16 op_sel:[1,0,0] op_sel_hi:[1,1,0]
	v_fma_mix_f32 v12, v50, v53, v11 op_sel:[0,1,0] op_sel_hi:[1,1,0]
	;; [unrolled: 1-line block ×5, first 2 shown]
	s_andn2_b32 exec_lo, exec_lo, s8
	s_cbranch_execnz .LBB104_35
; %bb.36:
	s_or_b32 exec_lo, exec_lo, s8
.LBB104_37:
	s_or_b32 exec_lo, exec_lo, s3
.LBB104_38:
	s_or_b32 exec_lo, exec_lo, s1
.LBB104_39:
	v_mbcnt_lo_u32_b32 v1, -1, 0
	s_mov_b32 s3, -1
	v_or_b32_e32 v2, 32, v1
	v_xor_b32_e32 v8, 16, v1
	v_cmp_gt_i32_e32 vcc_lo, 32, v2
	v_cndmask_b32_e32 v2, v1, v2, vcc_lo
	v_cmp_gt_i32_e32 vcc_lo, 32, v8
	v_lshlrev_b32_e32 v2, 2, v2
	v_cndmask_b32_e32 v8, v1, v8, vcc_lo
	ds_bpermute_b32 v5, v2, v12
	ds_bpermute_b32 v6, v2, v27
	;; [unrolled: 1-line block ×4, first 2 shown]
	v_lshlrev_b32_e32 v8, 2, v8
	s_waitcnt lgkmcnt(3)
	v_add_f32_e32 v5, v12, v5
	s_waitcnt lgkmcnt(2)
	v_add_f32_e32 v6, v27, v6
	;; [unrolled: 2-line block ×4, first 2 shown]
	v_xor_b32_e32 v12, 8, v1
	ds_bpermute_b32 v9, v8, v5
	ds_bpermute_b32 v10, v8, v6
	;; [unrolled: 1-line block ×4, first 2 shown]
	v_cmp_gt_i32_e32 vcc_lo, 32, v12
	v_cndmask_b32_e32 v12, v1, v12, vcc_lo
	v_lshlrev_b32_e32 v12, 2, v12
	s_waitcnt lgkmcnt(3)
	v_add_f32_e32 v5, v5, v9
	s_waitcnt lgkmcnt(2)
	v_add_f32_e32 v6, v6, v10
	s_waitcnt lgkmcnt(1)
	v_add_f32_e32 v7, v7, v11
	s_waitcnt lgkmcnt(0)
	v_add_f32_e32 v2, v2, v8
	ds_bpermute_b32 v8, v12, v5
	ds_bpermute_b32 v9, v12, v6
	ds_bpermute_b32 v10, v12, v7
	ds_bpermute_b32 v11, v12, v2
	v_xor_b32_e32 v12, 4, v1
	v_cmp_gt_i32_e32 vcc_lo, 32, v12
	v_cndmask_b32_e32 v12, v1, v12, vcc_lo
	v_lshlrev_b32_e32 v12, 2, v12
	s_waitcnt lgkmcnt(3)
	v_add_f32_e32 v5, v5, v8
	s_waitcnt lgkmcnt(2)
	v_add_f32_e32 v6, v6, v9
	s_waitcnt lgkmcnt(1)
	v_add_f32_e32 v7, v7, v10
	s_waitcnt lgkmcnt(0)
	v_add_f32_e32 v2, v2, v11
	ds_bpermute_b32 v8, v12, v5
	ds_bpermute_b32 v9, v12, v6
	ds_bpermute_b32 v10, v12, v7
	ds_bpermute_b32 v11, v12, v2
	v_xor_b32_e32 v12, 2, v1
	;; [unrolled: 16-line block ×3, first 2 shown]
	v_cmp_gt_i32_e32 vcc_lo, 32, v12
	v_cndmask_b32_e32 v1, v1, v12, vcc_lo
	v_cmp_eq_u32_e32 vcc_lo, 63, v0
	v_lshlrev_b32_e32 v12, 2, v1
	s_waitcnt lgkmcnt(3)
	v_add_f32_e32 v1, v5, v2
	s_waitcnt lgkmcnt(2)
	v_add_f32_e32 v2, v6, v9
	;; [unrolled: 2-line block ×4, first 2 shown]
	ds_bpermute_b32 v7, v12, v1
	ds_bpermute_b32 v8, v12, v2
	;; [unrolled: 1-line block ×4, first 2 shown]
	s_and_b32 exec_lo, exec_lo, vcc_lo
	s_cbranch_execz .LBB104_10
; %bb.40:
	s_load_dwordx2 s[0:1], s[4:5], 0x58
	s_waitcnt lgkmcnt(0)
	v_add_f32_e32 v0, v1, v7
	v_add_f32_e32 v1, v2, v8
	v_add_f32_e32 v2, v5, v9
	v_add_f32_e32 v6, v6, v10
	v_cmp_eq_f32_e64 s4, s2, 0
	v_lshlrev_b64 v[4:5], 4, v[3:4]
	v_mul_f32_e32 v0, s16, v0
	v_mul_f32_e32 v1, s16, v1
	;; [unrolled: 1-line block ×4, first 2 shown]
	s_and_b32 vcc_lo, exec_lo, s4
	s_cbranch_vccz .LBB104_42
; %bb.41:
	v_add_co_u32 v6, vcc_lo, s0, v4
	v_add_co_ci_u32_e64 v7, null, s1, v5, vcc_lo
	s_mov_b32 s3, 0
	global_store_dwordx4 v[6:7], v[0:3], off
.LBB104_42:
	s_andn2_b32 vcc_lo, exec_lo, s3
	s_cbranch_vccnz .LBB104_10
; %bb.43:
	v_add_co_u32 v8, vcc_lo, s0, v4
	v_add_co_ci_u32_e64 v9, null, s1, v5, vcc_lo
	global_load_dwordx4 v[4:7], v[8:9], off
	s_waitcnt vmcnt(0)
	v_fmac_f32_e32 v0, s2, v4
	v_fmac_f32_e32 v1, s2, v5
	;; [unrolled: 1-line block ×4, first 2 shown]
	global_store_dwordx4 v[8:9], v[0:3], off
	s_endpgm
	.section	.rodata,"a",@progbits
	.p2align	6, 0x0
	.amdhsa_kernel _ZN9rocsparseL18bsrxmvn_4x4_kernelILj128ELj64EfllDF16_DF16_fEEvT3_20rocsparse_direction_NS_24const_host_device_scalarIT1_EES1_PKS1_PKT2_SA_S7_PKT4_PKT5_S5_PT6_21rocsparse_index_base_b
		.amdhsa_group_segment_fixed_size 0
		.amdhsa_private_segment_fixed_size 0
		.amdhsa_kernarg_size 104
		.amdhsa_user_sgpr_count 6
		.amdhsa_user_sgpr_private_segment_buffer 1
		.amdhsa_user_sgpr_dispatch_ptr 0
		.amdhsa_user_sgpr_queue_ptr 0
		.amdhsa_user_sgpr_kernarg_segment_ptr 1
		.amdhsa_user_sgpr_dispatch_id 0
		.amdhsa_user_sgpr_flat_scratch_init 0
		.amdhsa_user_sgpr_private_segment_size 0
		.amdhsa_wavefront_size32 1
		.amdhsa_uses_dynamic_stack 0
		.amdhsa_system_sgpr_private_segment_wavefront_offset 0
		.amdhsa_system_sgpr_workgroup_id_x 1
		.amdhsa_system_sgpr_workgroup_id_y 0
		.amdhsa_system_sgpr_workgroup_id_z 0
		.amdhsa_system_sgpr_workgroup_info 0
		.amdhsa_system_vgpr_workitem_id 0
		.amdhsa_next_free_vgpr 64
		.amdhsa_next_free_sgpr 20
		.amdhsa_reserve_vcc 1
		.amdhsa_reserve_flat_scratch 0
		.amdhsa_float_round_mode_32 0
		.amdhsa_float_round_mode_16_64 0
		.amdhsa_float_denorm_mode_32 3
		.amdhsa_float_denorm_mode_16_64 3
		.amdhsa_dx10_clamp 1
		.amdhsa_ieee_mode 1
		.amdhsa_fp16_overflow 0
		.amdhsa_workgroup_processor_mode 1
		.amdhsa_memory_ordered 1
		.amdhsa_forward_progress 1
		.amdhsa_shared_vgpr_count 0
		.amdhsa_exception_fp_ieee_invalid_op 0
		.amdhsa_exception_fp_denorm_src 0
		.amdhsa_exception_fp_ieee_div_zero 0
		.amdhsa_exception_fp_ieee_overflow 0
		.amdhsa_exception_fp_ieee_underflow 0
		.amdhsa_exception_fp_ieee_inexact 0
		.amdhsa_exception_int_div_zero 0
	.end_amdhsa_kernel
	.section	.text._ZN9rocsparseL18bsrxmvn_4x4_kernelILj128ELj64EfllDF16_DF16_fEEvT3_20rocsparse_direction_NS_24const_host_device_scalarIT1_EES1_PKS1_PKT2_SA_S7_PKT4_PKT5_S5_PT6_21rocsparse_index_base_b,"axG",@progbits,_ZN9rocsparseL18bsrxmvn_4x4_kernelILj128ELj64EfllDF16_DF16_fEEvT3_20rocsparse_direction_NS_24const_host_device_scalarIT1_EES1_PKS1_PKT2_SA_S7_PKT4_PKT5_S5_PT6_21rocsparse_index_base_b,comdat
.Lfunc_end104:
	.size	_ZN9rocsparseL18bsrxmvn_4x4_kernelILj128ELj64EfllDF16_DF16_fEEvT3_20rocsparse_direction_NS_24const_host_device_scalarIT1_EES1_PKS1_PKT2_SA_S7_PKT4_PKT5_S5_PT6_21rocsparse_index_base_b, .Lfunc_end104-_ZN9rocsparseL18bsrxmvn_4x4_kernelILj128ELj64EfllDF16_DF16_fEEvT3_20rocsparse_direction_NS_24const_host_device_scalarIT1_EES1_PKS1_PKT2_SA_S7_PKT4_PKT5_S5_PT6_21rocsparse_index_base_b
                                        ; -- End function
	.set _ZN9rocsparseL18bsrxmvn_4x4_kernelILj128ELj64EfllDF16_DF16_fEEvT3_20rocsparse_direction_NS_24const_host_device_scalarIT1_EES1_PKS1_PKT2_SA_S7_PKT4_PKT5_S5_PT6_21rocsparse_index_base_b.num_vgpr, 64
	.set _ZN9rocsparseL18bsrxmvn_4x4_kernelILj128ELj64EfllDF16_DF16_fEEvT3_20rocsparse_direction_NS_24const_host_device_scalarIT1_EES1_PKS1_PKT2_SA_S7_PKT4_PKT5_S5_PT6_21rocsparse_index_base_b.num_agpr, 0
	.set _ZN9rocsparseL18bsrxmvn_4x4_kernelILj128ELj64EfllDF16_DF16_fEEvT3_20rocsparse_direction_NS_24const_host_device_scalarIT1_EES1_PKS1_PKT2_SA_S7_PKT4_PKT5_S5_PT6_21rocsparse_index_base_b.numbered_sgpr, 20
	.set _ZN9rocsparseL18bsrxmvn_4x4_kernelILj128ELj64EfllDF16_DF16_fEEvT3_20rocsparse_direction_NS_24const_host_device_scalarIT1_EES1_PKS1_PKT2_SA_S7_PKT4_PKT5_S5_PT6_21rocsparse_index_base_b.num_named_barrier, 0
	.set _ZN9rocsparseL18bsrxmvn_4x4_kernelILj128ELj64EfllDF16_DF16_fEEvT3_20rocsparse_direction_NS_24const_host_device_scalarIT1_EES1_PKS1_PKT2_SA_S7_PKT4_PKT5_S5_PT6_21rocsparse_index_base_b.private_seg_size, 0
	.set _ZN9rocsparseL18bsrxmvn_4x4_kernelILj128ELj64EfllDF16_DF16_fEEvT3_20rocsparse_direction_NS_24const_host_device_scalarIT1_EES1_PKS1_PKT2_SA_S7_PKT4_PKT5_S5_PT6_21rocsparse_index_base_b.uses_vcc, 1
	.set _ZN9rocsparseL18bsrxmvn_4x4_kernelILj128ELj64EfllDF16_DF16_fEEvT3_20rocsparse_direction_NS_24const_host_device_scalarIT1_EES1_PKS1_PKT2_SA_S7_PKT4_PKT5_S5_PT6_21rocsparse_index_base_b.uses_flat_scratch, 0
	.set _ZN9rocsparseL18bsrxmvn_4x4_kernelILj128ELj64EfllDF16_DF16_fEEvT3_20rocsparse_direction_NS_24const_host_device_scalarIT1_EES1_PKS1_PKT2_SA_S7_PKT4_PKT5_S5_PT6_21rocsparse_index_base_b.has_dyn_sized_stack, 0
	.set _ZN9rocsparseL18bsrxmvn_4x4_kernelILj128ELj64EfllDF16_DF16_fEEvT3_20rocsparse_direction_NS_24const_host_device_scalarIT1_EES1_PKS1_PKT2_SA_S7_PKT4_PKT5_S5_PT6_21rocsparse_index_base_b.has_recursion, 0
	.set _ZN9rocsparseL18bsrxmvn_4x4_kernelILj128ELj64EfllDF16_DF16_fEEvT3_20rocsparse_direction_NS_24const_host_device_scalarIT1_EES1_PKS1_PKT2_SA_S7_PKT4_PKT5_S5_PT6_21rocsparse_index_base_b.has_indirect_call, 0
	.section	.AMDGPU.csdata,"",@progbits
; Kernel info:
; codeLenInByte = 4472
; TotalNumSgprs: 22
; NumVgprs: 64
; ScratchSize: 0
; MemoryBound: 0
; FloatMode: 240
; IeeeMode: 1
; LDSByteSize: 0 bytes/workgroup (compile time only)
; SGPRBlocks: 0
; VGPRBlocks: 7
; NumSGPRsForWavesPerEU: 22
; NumVGPRsForWavesPerEU: 64
; Occupancy: 16
; WaveLimiterHint : 1
; COMPUTE_PGM_RSRC2:SCRATCH_EN: 0
; COMPUTE_PGM_RSRC2:USER_SGPR: 6
; COMPUTE_PGM_RSRC2:TRAP_HANDLER: 0
; COMPUTE_PGM_RSRC2:TGID_X_EN: 1
; COMPUTE_PGM_RSRC2:TGID_Y_EN: 0
; COMPUTE_PGM_RSRC2:TGID_Z_EN: 0
; COMPUTE_PGM_RSRC2:TIDIG_COMP_CNT: 0
	.section	.text._ZN9rocsparseL18bsrxmvn_4x4_kernelILj128ELj4Efii18rocsparse_bfloat16S1_fEEvT3_20rocsparse_direction_NS_24const_host_device_scalarIT1_EES2_PKS2_PKT2_SB_S8_PKT4_PKT5_S6_PT6_21rocsparse_index_base_b,"axG",@progbits,_ZN9rocsparseL18bsrxmvn_4x4_kernelILj128ELj4Efii18rocsparse_bfloat16S1_fEEvT3_20rocsparse_direction_NS_24const_host_device_scalarIT1_EES2_PKS2_PKT2_SB_S8_PKT4_PKT5_S6_PT6_21rocsparse_index_base_b,comdat
	.globl	_ZN9rocsparseL18bsrxmvn_4x4_kernelILj128ELj4Efii18rocsparse_bfloat16S1_fEEvT3_20rocsparse_direction_NS_24const_host_device_scalarIT1_EES2_PKS2_PKT2_SB_S8_PKT4_PKT5_S6_PT6_21rocsparse_index_base_b ; -- Begin function _ZN9rocsparseL18bsrxmvn_4x4_kernelILj128ELj4Efii18rocsparse_bfloat16S1_fEEvT3_20rocsparse_direction_NS_24const_host_device_scalarIT1_EES2_PKS2_PKT2_SB_S8_PKT4_PKT5_S6_PT6_21rocsparse_index_base_b
	.p2align	8
	.type	_ZN9rocsparseL18bsrxmvn_4x4_kernelILj128ELj4Efii18rocsparse_bfloat16S1_fEEvT3_20rocsparse_direction_NS_24const_host_device_scalarIT1_EES2_PKS2_PKT2_SB_S8_PKT4_PKT5_S6_PT6_21rocsparse_index_base_b,@function
_ZN9rocsparseL18bsrxmvn_4x4_kernelILj128ELj4Efii18rocsparse_bfloat16S1_fEEvT3_20rocsparse_direction_NS_24const_host_device_scalarIT1_EES2_PKS2_PKT2_SB_S8_PKT4_PKT5_S6_PT6_21rocsparse_index_base_b: ; @_ZN9rocsparseL18bsrxmvn_4x4_kernelILj128ELj4Efii18rocsparse_bfloat16S1_fEEvT3_20rocsparse_direction_NS_24const_host_device_scalarIT1_EES2_PKS2_PKT2_SB_S8_PKT4_PKT5_S6_PT6_21rocsparse_index_base_b
; %bb.0:
	s_clause 0x2
	s_load_dwordx2 s[18:19], s[4:5], 0x58
	s_load_dwordx2 s[16:17], s[4:5], 0x8
	;; [unrolled: 1-line block ×3, first 2 shown]
	s_waitcnt lgkmcnt(0)
	s_bitcmp1_b32 s19, 0
	s_cselect_b32 s0, -1, 0
	s_and_b32 vcc_lo, exec_lo, s0
	s_xor_b32 s0, s0, -1
	s_cbranch_vccnz .LBB105_2
; %bb.1:
	s_load_dword s16, s[16:17], 0x0
.LBB105_2:
	s_andn2_b32 vcc_lo, exec_lo, s0
	s_cbranch_vccnz .LBB105_4
; %bb.3:
	s_load_dword s2, s[2:3], 0x0
.LBB105_4:
	s_waitcnt lgkmcnt(0)
	v_cmp_neq_f32_e64 s0, s16, 0
	v_cmp_neq_f32_e64 s1, s2, 1.0
	s_mov_b32 s3, 0
	s_or_b32 s0, s0, s1
	s_andn2_b32 vcc_lo, exec_lo, s0
	s_cbranch_vccnz .LBB105_10
; %bb.5:
	s_clause 0x1
	s_load_dwordx2 s[8:9], s[4:5], 0x18
	s_load_dwordx2 s[0:1], s[4:5], 0x0
	v_lshrrev_b32_e32 v1, 2, v0
	v_lshl_or_b32 v4, s6, 5, v1
	s_waitcnt lgkmcnt(0)
	s_cmp_lg_u64 s[8:9], 0
	s_cbranch_scc0 .LBB105_11
; %bb.6:
	s_load_dword s3, s[4:5], 0x10
	s_mov_b32 s6, 0
                                        ; implicit-def: $vgpr1
	s_waitcnt lgkmcnt(0)
	v_cmp_gt_i32_e32 vcc_lo, s3, v4
	s_mov_b32 s3, 0
	s_and_saveexec_b32 s7, vcc_lo
	s_xor_b32 s7, exec_lo, s7
	s_cbranch_execz .LBB105_8
; %bb.7:
	v_ashrrev_i32_e32 v5, 31, v4
	s_mov_b32 s3, exec_lo
	v_lshlrev_b64 v[1:2], 2, v[4:5]
	v_add_co_u32 v1, vcc_lo, s8, v1
	v_add_co_ci_u32_e64 v2, null, s9, v2, vcc_lo
	global_load_dword v1, v[1:2], off
	s_waitcnt vmcnt(0)
	v_subrev_nc_u32_e32 v1, s18, v1
.LBB105_8:
	s_or_b32 exec_lo, exec_lo, s7
	s_and_b32 vcc_lo, exec_lo, s6
	s_cbranch_vccz .LBB105_12
.LBB105_9:
	v_cmp_gt_i32_e32 vcc_lo, s0, v4
	s_andn2_b32 s0, s3, exec_lo
	s_and_b32 s3, vcc_lo, exec_lo
	s_or_b32 s3, s0, s3
	s_and_saveexec_b32 s0, s3
	s_cbranch_execnz .LBB105_13
.LBB105_10:
	s_endpgm
.LBB105_11:
                                        ; implicit-def: $vgpr1
	s_cbranch_execnz .LBB105_9
.LBB105_12:
	v_mov_b32_e32 v4, v1
	s_and_saveexec_b32 s0, s3
	s_cbranch_execz .LBB105_10
.LBB105_13:
	s_load_dwordx8 s[8:15], s[4:5], 0x20
	v_ashrrev_i32_e32 v5, 31, v4
	v_and_b32_e32 v9, 3, v0
	s_load_dwordx2 s[6:7], s[4:5], 0x40
	v_lshlrev_b64 v[1:2], 2, v[4:5]
	s_waitcnt lgkmcnt(0)
	v_add_co_u32 v5, vcc_lo, s8, v1
	v_add_co_ci_u32_e64 v6, null, s9, v2, vcc_lo
	v_add_co_u32 v1, vcc_lo, s10, v1
	v_add_co_ci_u32_e64 v2, null, s11, v2, vcc_lo
	global_load_dword v15, v[5:6], off
	v_add_co_u32 v3, vcc_lo, v5, 4
	v_add_co_ci_u32_e64 v5, null, 0, v6, vcc_lo
	s_cmp_eq_u64 s[10:11], 0
	s_cselect_b32 vcc_lo, -1, 0
	s_cmp_eq_u32 s1, 1
	v_cndmask_b32_e32 v2, v2, v5, vcc_lo
	v_cndmask_b32_e32 v1, v1, v3, vcc_lo
	global_load_dword v5, v[1:2], off
	s_waitcnt vmcnt(1)
	v_subrev_nc_u32_e32 v0, s18, v15
	v_add_nc_u32_e32 v0, v0, v9
	v_ashrrev_i32_e32 v1, 31, v0
	s_waitcnt vmcnt(0)
	v_subrev_nc_u32_e32 v10, s18, v5
	v_lshlrev_b64 v[2:3], 5, v[0:1]
	v_cmp_lt_i32_e64 s0, v0, v10
	v_add_co_u32 v2, vcc_lo, s14, v2
	v_add_co_ci_u32_e64 v3, null, s15, v3, vcc_lo
	s_cbranch_scc1 .LBB105_25
; %bb.14:
	v_mov_b32_e32 v11, 0
	v_mov_b32_e32 v13, 0
	;; [unrolled: 1-line block ×4, first 2 shown]
	s_and_saveexec_b32 s1, s0
	s_cbranch_execz .LBB105_24
; %bb.15:
	v_add_nc_u32_e32 v1, v15, v9
	v_not_b32_e32 v5, v15
	v_mov_b32_e32 v8, v3
	v_mov_b32_e32 v12, 0
	;; [unrolled: 1-line block ×3, first 2 shown]
	v_subrev_nc_u32_e32 v1, s18, v1
	v_mov_b32_e32 v13, 0
	v_mov_b32_e32 v11, 0
	;; [unrolled: 1-line block ×3, first 2 shown]
	s_mov_b32 s3, exec_lo
	v_add_nc_u32_e32 v1, 4, v1
	v_max_i32_e32 v1, v1, v10
	v_add3_u32 v1, s18, v1, v5
	v_mov_b32_e32 v5, v0
	v_sub_nc_u32_e32 v1, v1, v9
	v_and_b32_e32 v6, 12, v1
	v_cmpx_ne_u32_e32 12, v6
	s_cbranch_execz .LBB105_19
; %bb.16:
	v_lshrrev_b32_e32 v5, 2, v1
	v_mov_b32_e32 v8, v3
	v_mov_b32_e32 v11, 0
	;; [unrolled: 1-line block ×4, first 2 shown]
	v_add_nc_u32_e32 v5, 1, v5
	v_mov_b32_e32 v14, 0
	v_mov_b32_e32 v12, 0
	s_mov_b32 s8, 0
	v_and_b32_e32 v6, 3, v5
	v_mov_b32_e32 v5, v0
	v_sub_nc_u32_e32 v16, 0, v6
.LBB105_17:                             ; =>This Inner Loop Header: Depth=1
	v_ashrrev_i32_e32 v6, 31, v5
	v_add_co_u32 v16, s9, v16, 1
	s_or_b32 s8, s9, s8
	v_lshlrev_b64 v[17:18], 2, v[5:6]
	v_add_nc_u32_e32 v5, 4, v5
	v_add_co_u32 v17, vcc_lo, s12, v17
	v_add_co_ci_u32_e64 v18, null, s13, v18, vcc_lo
	global_load_dword v6, v[17:18], off
	global_load_dwordx4 v[17:20], v[7:8], off
	s_waitcnt vmcnt(1)
	v_subrev_nc_u32_e32 v6, s18, v6
	s_waitcnt vmcnt(0)
	v_lshlrev_b32_e32 v28, 16, v19
	v_and_b32_e32 v19, 0xffff0000, v19
	v_lshlrev_b32_e32 v27, 16, v18
	v_lshlrev_b32_e32 v29, 16, v20
	;; [unrolled: 1-line block ×4, first 2 shown]
	v_and_b32_e32 v17, 0xffff0000, v17
	v_and_b32_e32 v18, 0xffff0000, v18
	v_and_b32_e32 v20, 0xffff0000, v20
	v_ashrrev_i32_e32 v22, 31, v21
	v_lshlrev_b64 v[21:22], 1, v[21:22]
	v_add_co_u32 v25, vcc_lo, s6, v21
	v_add_co_ci_u32_e64 v26, null, s7, v22, vcc_lo
	global_load_dwordx4 v[21:24], v[7:8], off offset:16
	global_load_dwordx2 v[25:26], v[25:26], off
	v_add_co_u32 v7, vcc_lo, 0x80, v7
	v_add_co_ci_u32_e64 v8, null, 0, v8, vcc_lo
	s_waitcnt vmcnt(1)
	v_lshlrev_b32_e32 v30, 16, v21
	v_lshlrev_b32_e32 v32, 16, v23
	s_waitcnt vmcnt(0)
	v_lshlrev_b32_e32 v34, 16, v25
	v_and_b32_e32 v21, 0xffff0000, v21
	v_and_b32_e32 v23, 0xffff0000, v23
	;; [unrolled: 1-line block ×3, first 2 shown]
	v_lshlrev_b32_e32 v31, 16, v22
	v_fmac_f32_e32 v12, v6, v34
	v_fmac_f32_e32 v14, v28, v34
	;; [unrolled: 1-line block ×4, first 2 shown]
	v_lshlrev_b32_e32 v33, 16, v24
	v_lshlrev_b32_e32 v6, 16, v26
	v_fmac_f32_e32 v12, v17, v25
	v_fmac_f32_e32 v14, v19, v25
	;; [unrolled: 1-line block ×4, first 2 shown]
	v_and_b32_e32 v22, 0xffff0000, v22
	v_and_b32_e32 v24, 0xffff0000, v24
	;; [unrolled: 1-line block ×3, first 2 shown]
	v_fmac_f32_e32 v12, v27, v6
	v_fmac_f32_e32 v14, v29, v6
	;; [unrolled: 1-line block ×8, first 2 shown]
	s_andn2_b32 exec_lo, exec_lo, s8
	s_cbranch_execnz .LBB105_17
; %bb.18:
	s_or_b32 exec_lo, exec_lo, s8
.LBB105_19:
	s_or_b32 exec_lo, exec_lo, s3
	s_mov_b32 s3, exec_lo
	v_cmpx_lt_u32_e32 11, v1
	s_cbranch_execz .LBB105_23
; %bb.20:
	s_mov_b32 s8, 0
.LBB105_21:                             ; =>This Inner Loop Header: Depth=1
	v_ashrrev_i32_e32 v6, 31, v5
	v_lshlrev_b64 v[16:17], 2, v[5:6]
	v_add_nc_u32_e32 v5, 16, v5
	v_add_co_u32 v16, vcc_lo, s12, v16
	v_add_co_ci_u32_e64 v17, null, s13, v17, vcc_lo
	s_clause 0x3
	global_load_dword v1, v[16:17], off
	global_load_dword v6, v[16:17], off offset:16
	global_load_dword v48, v[16:17], off offset:32
	;; [unrolled: 1-line block ×3, first 2 shown]
	s_clause 0x7
	global_load_dwordx4 v[16:19], v[7:8], off
	global_load_dwordx4 v[20:23], v[7:8], off offset:16
	global_load_dwordx4 v[24:27], v[7:8], off offset:128
	;; [unrolled: 1-line block ×7, first 2 shown]
	s_waitcnt vmcnt(11)
	v_subrev_nc_u32_e32 v1, s18, v1
	s_waitcnt vmcnt(10)
	v_subrev_nc_u32_e32 v6, s18, v6
	;; [unrolled: 2-line block ×4, first 2 shown]
	s_waitcnt vmcnt(7)
	v_lshlrev_b32_e32 v56, 16, v18
	v_lshlrev_b32_e32 v48, 2, v1
	;; [unrolled: 1-line block ×6, first 2 shown]
	v_ashrrev_i32_e32 v49, 31, v48
	v_ashrrev_i32_e32 v51, 31, v50
	v_ashrrev_i32_e32 v53, 31, v52
	v_ashrrev_i32_e32 v55, 31, v54
	s_waitcnt vmcnt(6)
	v_lshlrev_b32_e32 v58, 16, v20
	v_lshlrev_b64 v[48:49], 1, v[48:49]
	v_lshlrev_b64 v[50:51], 1, v[50:51]
	;; [unrolled: 1-line block ×4, first 2 shown]
	v_lshlrev_b32_e32 v60, 16, v22
	v_and_b32_e32 v6, 0xffff0000, v16
	v_add_co_u32 v48, vcc_lo, s6, v48
	v_add_co_ci_u32_e64 v49, null, s7, v49, vcc_lo
	v_add_co_u32 v50, vcc_lo, s6, v50
	v_add_co_ci_u32_e64 v51, null, s7, v51, vcc_lo
	global_load_dwordx2 v[48:49], v[48:49], off
	v_add_co_u32 v52, vcc_lo, s6, v52
	global_load_dwordx2 v[50:51], v[50:51], off
	v_add_co_ci_u32_e64 v53, null, s7, v53, vcc_lo
	v_add_co_u32 v54, vcc_lo, s6, v54
	v_add_co_ci_u32_e64 v55, null, s7, v55, vcc_lo
	global_load_dwordx2 v[52:53], v[52:53], off
	v_and_b32_e32 v18, 0xffff0000, v18
	v_and_b32_e32 v20, 0xffff0000, v20
	global_load_dwordx2 v[54:55], v[54:55], off
	v_and_b32_e32 v22, 0xffff0000, v22
	v_lshlrev_b32_e32 v16, 16, v17
	v_lshlrev_b32_e32 v57, 16, v19
	v_lshlrev_b32_e32 v59, 16, v21
	v_lshlrev_b32_e32 v61, 16, v23
	v_and_b32_e32 v17, 0xffff0000, v17
	v_and_b32_e32 v19, 0xffff0000, v19
	v_and_b32_e32 v21, 0xffff0000, v21
	v_and_b32_e32 v23, 0xffff0000, v23
	s_waitcnt vmcnt(9)
	v_lshlrev_b32_e32 v62, 16, v24
	v_lshlrev_b32_e32 v64, 16, v26
	s_waitcnt vmcnt(8)
	v_lshlrev_b32_e32 v66, 16, v28
	v_lshlrev_b32_e32 v68, 16, v30
	v_and_b32_e32 v24, 0xffff0000, v24
	v_and_b32_e32 v26, 0xffff0000, v26
	v_and_b32_e32 v28, 0xffff0000, v28
	v_and_b32_e32 v30, 0xffff0000, v30
	v_lshlrev_b32_e32 v63, 16, v25
	v_lshlrev_b32_e32 v65, 16, v27
	v_lshlrev_b32_e32 v67, 16, v29
	v_lshlrev_b32_e32 v69, 16, v31
	v_and_b32_e32 v25, 0xffff0000, v25
	v_and_b32_e32 v27, 0xffff0000, v27
	v_and_b32_e32 v29, 0xffff0000, v29
	v_and_b32_e32 v31, 0xffff0000, v31
	s_waitcnt vmcnt(7)
	v_lshlrev_b32_e32 v70, 16, v32
	v_lshlrev_b32_e32 v72, 16, v34
	s_waitcnt vmcnt(6)
	v_lshlrev_b32_e32 v74, 16, v36
	v_lshlrev_b32_e32 v76, 16, v38
	v_and_b32_e32 v32, 0xffff0000, v32
	v_and_b32_e32 v34, 0xffff0000, v34
	v_and_b32_e32 v36, 0xffff0000, v36
	;; [unrolled: 18-line block ×3, first 2 shown]
	v_and_b32_e32 v46, 0xffff0000, v46
	v_lshlrev_b32_e32 v79, 16, v41
	v_lshlrev_b32_e32 v81, 16, v43
	;; [unrolled: 1-line block ×4, first 2 shown]
	v_and_b32_e32 v41, 0xffff0000, v41
	v_and_b32_e32 v43, 0xffff0000, v43
	;; [unrolled: 1-line block ×4, first 2 shown]
	v_add_co_u32 v7, vcc_lo, 0x200, v7
	v_add_co_ci_u32_e64 v8, null, 0, v8, vcc_lo
	v_cmp_ge_i32_e32 vcc_lo, v5, v10
	s_or_b32 s8, vcc_lo, s8
	s_waitcnt vmcnt(3)
	v_lshlrev_b32_e32 v86, 16, v48
	v_and_b32_e32 v48, 0xffff0000, v48
	v_fmac_f32_e32 v12, v1, v86
	v_fmac_f32_e32 v14, v56, v86
	v_fmac_f32_e32 v13, v58, v86
	v_fmac_f32_e32 v11, v60, v86
	v_lshlrev_b32_e32 v1, 16, v49
	v_fmac_f32_e32 v12, v6, v48
	v_fmac_f32_e32 v14, v18, v48
	v_fmac_f32_e32 v13, v20, v48
	v_fmac_f32_e32 v11, v22, v48
	v_and_b32_e32 v6, 0xffff0000, v49
	v_fmac_f32_e32 v12, v16, v1
	v_fmac_f32_e32 v14, v57, v1
	v_fmac_f32_e32 v13, v59, v1
	v_fmac_f32_e32 v11, v61, v1
	s_waitcnt vmcnt(2)
	v_lshlrev_b32_e32 v1, 16, v50
	v_fmac_f32_e32 v12, v17, v6
	v_fmac_f32_e32 v14, v19, v6
	v_fmac_f32_e32 v13, v21, v6
	v_fmac_f32_e32 v11, v23, v6
	v_and_b32_e32 v6, 0xffff0000, v50
	v_fmac_f32_e32 v12, v62, v1
	v_fmac_f32_e32 v14, v64, v1
	v_fmac_f32_e32 v13, v66, v1
	v_fmac_f32_e32 v11, v68, v1
	v_lshlrev_b32_e32 v1, 16, v51
	v_fmac_f32_e32 v12, v24, v6
	v_fmac_f32_e32 v14, v26, v6
	v_fmac_f32_e32 v13, v28, v6
	v_fmac_f32_e32 v11, v30, v6
	v_and_b32_e32 v6, 0xffff0000, v51
	v_fmac_f32_e32 v12, v63, v1
	v_fmac_f32_e32 v14, v65, v1
	v_fmac_f32_e32 v13, v67, v1
	v_fmac_f32_e32 v11, v69, v1
	s_waitcnt vmcnt(1)
	v_lshlrev_b32_e32 v1, 16, v52
	v_fmac_f32_e32 v12, v25, v6
	v_fmac_f32_e32 v14, v27, v6
	v_fmac_f32_e32 v13, v29, v6
	v_fmac_f32_e32 v11, v31, v6
	;; [unrolled: 21-line block ×3, first 2 shown]
	v_and_b32_e32 v6, 0xffff0000, v54
	v_fmac_f32_e32 v12, v78, v1
	v_fmac_f32_e32 v14, v80, v1
	v_fmac_f32_e32 v13, v82, v1
	v_fmac_f32_e32 v11, v84, v1
	v_lshlrev_b32_e32 v1, 16, v55
	v_fmac_f32_e32 v12, v40, v6
	v_fmac_f32_e32 v14, v42, v6
	;; [unrolled: 1-line block ×4, first 2 shown]
	v_and_b32_e32 v6, 0xffff0000, v55
	v_fmac_f32_e32 v12, v79, v1
	v_fmac_f32_e32 v14, v81, v1
	;; [unrolled: 1-line block ×8, first 2 shown]
	s_andn2_b32 exec_lo, exec_lo, s8
	s_cbranch_execnz .LBB105_21
; %bb.22:
	s_or_b32 exec_lo, exec_lo, s8
.LBB105_23:
	s_or_b32 exec_lo, exec_lo, s3
.LBB105_24:
	s_or_b32 exec_lo, exec_lo, s1
	s_cbranch_execz .LBB105_26
	s_branch .LBB105_37
.LBB105_25:
                                        ; implicit-def: $vgpr11
                                        ; implicit-def: $vgpr13
                                        ; implicit-def: $vgpr14
                                        ; implicit-def: $vgpr12
.LBB105_26:
	v_mov_b32_e32 v11, 0
	v_mov_b32_e32 v13, 0
	v_mov_b32_e32 v14, 0
	v_mov_b32_e32 v12, 0
	s_and_saveexec_b32 s1, s0
	s_cbranch_execz .LBB105_36
; %bb.27:
	v_add_nc_u32_e32 v1, v15, v9
	v_not_b32_e32 v5, v15
	v_mov_b32_e32 v12, 0
	v_mov_b32_e32 v14, 0
	;; [unrolled: 1-line block ×3, first 2 shown]
	v_subrev_nc_u32_e32 v1, s18, v1
	v_mov_b32_e32 v11, 0
	s_mov_b32 s0, exec_lo
	v_add_nc_u32_e32 v1, 4, v1
	v_max_i32_e32 v1, v1, v10
	v_add3_u32 v1, s18, v1, v5
	v_sub_nc_u32_e32 v5, v1, v9
	v_and_b32_e32 v1, 12, v5
	v_cmpx_ne_u32_e32 12, v1
	s_cbranch_execz .LBB105_31
; %bb.28:
	v_lshrrev_b32_e32 v1, 2, v5
	v_mov_b32_e32 v11, 0
	v_mov_b32_e32 v13, 0
	;; [unrolled: 1-line block ×4, first 2 shown]
	v_add_nc_u32_e32 v1, 1, v1
	s_mov_b32 s3, 0
	v_and_b32_e32 v1, 3, v1
	v_sub_nc_u32_e32 v6, 0, v1
.LBB105_29:                             ; =>This Inner Loop Header: Depth=1
	v_ashrrev_i32_e32 v1, 31, v0
	v_add_co_u32 v6, s8, v6, 1
	s_or_b32 s3, s8, s3
	v_lshlrev_b64 v[7:8], 2, v[0:1]
	v_add_nc_u32_e32 v0, 4, v0
	v_add_co_u32 v7, vcc_lo, s12, v7
	v_add_co_ci_u32_e64 v8, null, s13, v8, vcc_lo
	global_load_dword v1, v[7:8], off
	global_load_dwordx4 v[15:18], v[2:3], off
	s_waitcnt vmcnt(1)
	v_subrev_nc_u32_e32 v1, s18, v1
	s_waitcnt vmcnt(0)
	v_lshlrev_b32_e32 v23, 16, v16
	v_and_b32_e32 v16, 0xffff0000, v16
	v_lshlrev_b32_e32 v24, 16, v17
	v_and_b32_e32 v17, 0xffff0000, v17
	v_lshlrev_b32_e32 v7, 2, v1
	v_lshlrev_b32_e32 v1, 16, v15
	v_and_b32_e32 v15, 0xffff0000, v15
	v_lshlrev_b32_e32 v25, 16, v18
	v_and_b32_e32 v18, 0xffff0000, v18
	v_ashrrev_i32_e32 v8, 31, v7
	v_lshlrev_b64 v[7:8], 1, v[7:8]
	v_add_co_u32 v7, vcc_lo, s6, v7
	v_add_co_ci_u32_e64 v8, null, s7, v8, vcc_lo
	global_load_dwordx2 v[7:8], v[7:8], off
	global_load_dwordx4 v[19:22], v[2:3], off offset:16
	v_add_co_u32 v2, vcc_lo, 0x80, v2
	v_add_co_ci_u32_e64 v3, null, 0, v3, vcc_lo
	s_waitcnt vmcnt(1)
	v_lshlrev_b32_e32 v30, 16, v7
	v_and_b32_e32 v7, 0xffff0000, v7
	s_waitcnt vmcnt(0)
	v_lshlrev_b32_e32 v26, 16, v19
	v_and_b32_e32 v19, 0xffff0000, v19
	v_lshlrev_b32_e32 v27, 16, v20
	v_fmac_f32_e32 v12, v1, v30
	v_fmac_f32_e32 v14, v15, v30
	;; [unrolled: 1-line block ×4, first 2 shown]
	v_and_b32_e32 v20, 0xffff0000, v20
	v_lshlrev_b32_e32 v1, 16, v8
	v_fmac_f32_e32 v12, v24, v7
	v_fmac_f32_e32 v14, v17, v7
	;; [unrolled: 1-line block ×4, first 2 shown]
	v_lshlrev_b32_e32 v28, 16, v21
	v_and_b32_e32 v21, 0xffff0000, v21
	v_lshlrev_b32_e32 v29, 16, v22
	v_and_b32_e32 v22, 0xffff0000, v22
	v_and_b32_e32 v7, 0xffff0000, v8
	v_fmac_f32_e32 v12, v26, v1
	v_fmac_f32_e32 v14, v19, v1
	;; [unrolled: 1-line block ×8, first 2 shown]
	s_andn2_b32 exec_lo, exec_lo, s3
	s_cbranch_execnz .LBB105_29
; %bb.30:
	s_or_b32 exec_lo, exec_lo, s3
.LBB105_31:
	s_or_b32 exec_lo, exec_lo, s0
	s_mov_b32 s0, exec_lo
	v_cmpx_lt_u32_e32 11, v5
	s_cbranch_execz .LBB105_35
; %bb.32:
	s_mov_b32 s3, 0
.LBB105_33:                             ; =>This Inner Loop Header: Depth=1
	v_ashrrev_i32_e32 v1, 31, v0
	v_lshlrev_b64 v[5:6], 2, v[0:1]
	v_add_nc_u32_e32 v0, 16, v0
	v_add_co_u32 v5, vcc_lo, s12, v5
	v_add_co_ci_u32_e64 v6, null, s13, v6, vcc_lo
	s_clause 0x3
	global_load_dword v1, v[5:6], off
	global_load_dword v39, v[5:6], off offset:16
	global_load_dword v40, v[5:6], off offset:32
	;; [unrolled: 1-line block ×3, first 2 shown]
	s_clause 0x6
	global_load_dwordx4 v[5:8], v[2:3], off
	global_load_dwordx4 v[15:18], v[2:3], off offset:16
	global_load_dwordx4 v[19:22], v[2:3], off offset:128
	;; [unrolled: 1-line block ×6, first 2 shown]
	s_waitcnt vmcnt(10)
	v_subrev_nc_u32_e32 v1, s18, v1
	s_waitcnt vmcnt(9)
	v_subrev_nc_u32_e32 v42, s18, v39
	;; [unrolled: 2-line block ×4, first 2 shown]
	s_waitcnt vmcnt(6)
	v_lshlrev_b32_e32 v51, 16, v6
	v_lshlrev_b32_e32 v39, 2, v1
	;; [unrolled: 1-line block ×6, first 2 shown]
	v_ashrrev_i32_e32 v40, 31, v39
	v_ashrrev_i32_e32 v42, 31, v41
	;; [unrolled: 1-line block ×4, first 2 shown]
	v_and_b32_e32 v5, 0xffff0000, v5
	v_lshlrev_b64 v[39:40], 1, v[39:40]
	v_lshlrev_b64 v[41:42], 1, v[41:42]
	;; [unrolled: 1-line block ×4, first 2 shown]
	v_and_b32_e32 v6, 0xffff0000, v6
	v_lshlrev_b32_e32 v52, 16, v7
	v_add_co_u32 v39, vcc_lo, s6, v39
	v_add_co_ci_u32_e64 v40, null, s7, v40, vcc_lo
	v_add_co_u32 v41, vcc_lo, s6, v41
	v_add_co_ci_u32_e64 v42, null, s7, v42, vcc_lo
	;; [unrolled: 2-line block ×4, first 2 shown]
	s_clause 0x3
	global_load_dwordx2 v[47:48], v[39:40], off
	global_load_dwordx2 v[49:50], v[41:42], off
	global_load_dwordx2 v[43:44], v[43:44], off
	global_load_dwordx2 v[45:46], v[45:46], off
	global_load_dwordx4 v[39:42], v[2:3], off offset:400
	v_and_b32_e32 v7, 0xffff0000, v7
	v_lshlrev_b32_e32 v53, 16, v8
	v_and_b32_e32 v8, 0xffff0000, v8
	s_waitcnt vmcnt(10)
	v_lshlrev_b32_e32 v54, 16, v15
	v_and_b32_e32 v15, 0xffff0000, v15
	v_lshlrev_b32_e32 v55, 16, v16
	v_and_b32_e32 v16, 0xffff0000, v16
	v_lshlrev_b32_e32 v56, 16, v17
	v_and_b32_e32 v17, 0xffff0000, v17
	v_lshlrev_b32_e32 v57, 16, v18
	v_and_b32_e32 v18, 0xffff0000, v18
	s_waitcnt vmcnt(9)
	v_lshlrev_b32_e32 v58, 16, v19
	v_and_b32_e32 v19, 0xffff0000, v19
	v_lshlrev_b32_e32 v59, 16, v20
	v_and_b32_e32 v20, 0xffff0000, v20
	v_lshlrev_b32_e32 v60, 16, v21
	;; [unrolled: 9-line block ×6, first 2 shown]
	v_and_b32_e32 v37, 0xffff0000, v37
	v_lshlrev_b32_e32 v77, 16, v38
	v_and_b32_e32 v38, 0xffff0000, v38
	v_add_co_u32 v2, vcc_lo, 0x200, v2
	v_add_co_ci_u32_e64 v3, null, 0, v3, vcc_lo
	v_cmp_ge_i32_e32 vcc_lo, v0, v10
	s_or_b32 s3, vcc_lo, s3
	s_waitcnt vmcnt(4)
	v_lshlrev_b32_e32 v82, 16, v47
	v_and_b32_e32 v47, 0xffff0000, v47
	s_waitcnt vmcnt(0)
	v_lshlrev_b32_e32 v78, 16, v39
	v_fmac_f32_e32 v12, v1, v82
	v_fmac_f32_e32 v14, v5, v82
	v_fmac_f32_e32 v13, v51, v82
	v_fmac_f32_e32 v11, v6, v82
	v_lshlrev_b32_e32 v1, 16, v48
	v_fmac_f32_e32 v12, v52, v47
	v_fmac_f32_e32 v14, v7, v47
	v_fmac_f32_e32 v13, v53, v47
	v_fmac_f32_e32 v11, v8, v47
	v_and_b32_e32 v5, 0xffff0000, v48
	v_fmac_f32_e32 v12, v54, v1
	v_fmac_f32_e32 v14, v15, v1
	v_fmac_f32_e32 v13, v55, v1
	v_fmac_f32_e32 v11, v16, v1
	v_lshlrev_b32_e32 v1, 16, v49
	v_fmac_f32_e32 v12, v56, v5
	v_fmac_f32_e32 v14, v17, v5
	v_fmac_f32_e32 v13, v57, v5
	v_fmac_f32_e32 v11, v18, v5
	v_and_b32_e32 v5, 0xffff0000, v49
	;; [unrolled: 10-line block ×6, first 2 shown]
	v_fmac_f32_e32 v12, v74, v1
	v_fmac_f32_e32 v14, v35, v1
	;; [unrolled: 1-line block ×4, first 2 shown]
	v_and_b32_e32 v39, 0xffff0000, v39
	v_lshlrev_b32_e32 v79, 16, v40
	v_and_b32_e32 v40, 0xffff0000, v40
	v_lshlrev_b32_e32 v1, 16, v46
	v_fmac_f32_e32 v12, v76, v5
	v_fmac_f32_e32 v14, v37, v5
	;; [unrolled: 1-line block ×4, first 2 shown]
	v_lshlrev_b32_e32 v80, 16, v41
	v_and_b32_e32 v41, 0xffff0000, v41
	v_lshlrev_b32_e32 v81, 16, v42
	v_and_b32_e32 v42, 0xffff0000, v42
	v_and_b32_e32 v5, 0xffff0000, v46
	v_fmac_f32_e32 v12, v78, v1
	v_fmac_f32_e32 v14, v39, v1
	;; [unrolled: 1-line block ×8, first 2 shown]
	s_andn2_b32 exec_lo, exec_lo, s3
	s_cbranch_execnz .LBB105_33
; %bb.34:
	s_or_b32 exec_lo, exec_lo, s3
.LBB105_35:
	s_or_b32 exec_lo, exec_lo, s0
.LBB105_36:
	s_or_b32 exec_lo, exec_lo, s1
.LBB105_37:
	v_mbcnt_lo_u32_b32 v0, -1, 0
	s_mov_b32 s3, -1
	v_xor_b32_e32 v1, 2, v0
	v_cmp_gt_i32_e32 vcc_lo, 32, v1
	v_cndmask_b32_e32 v1, v0, v1, vcc_lo
	v_lshlrev_b32_e32 v1, 2, v1
	ds_bpermute_b32 v2, v1, v12
	ds_bpermute_b32 v3, v1, v14
	;; [unrolled: 1-line block ×4, first 2 shown]
	v_xor_b32_e32 v1, 1, v0
	v_cmp_gt_i32_e32 vcc_lo, 32, v1
	v_cndmask_b32_e32 v0, v0, v1, vcc_lo
	v_cmp_eq_u32_e32 vcc_lo, 3, v9
	v_lshlrev_b32_e32 v8, 2, v0
	s_waitcnt lgkmcnt(3)
	v_add_f32_e32 v0, v12, v2
	s_waitcnt lgkmcnt(2)
	v_add_f32_e32 v1, v14, v3
	;; [unrolled: 2-line block ×4, first 2 shown]
	ds_bpermute_b32 v5, v8, v0
	ds_bpermute_b32 v6, v8, v1
	;; [unrolled: 1-line block ×4, first 2 shown]
	s_and_b32 exec_lo, exec_lo, vcc_lo
	s_cbranch_execz .LBB105_10
; %bb.38:
	s_load_dwordx2 s[0:1], s[4:5], 0x50
	s_waitcnt lgkmcnt(0)
	v_add_f32_e32 v0, v0, v5
	v_add_f32_e32 v1, v1, v6
	;; [unrolled: 1-line block ×4, first 2 shown]
	v_cmp_eq_f32_e64 s4, s2, 0
	v_mul_f32_e32 v0, s16, v0
	v_mul_f32_e32 v1, s16, v1
	;; [unrolled: 1-line block ×4, first 2 shown]
	v_lshlrev_b32_e32 v4, 2, v4
	s_and_b32 vcc_lo, exec_lo, s4
	s_cbranch_vccz .LBB105_40
; %bb.39:
	v_ashrrev_i32_e32 v5, 31, v4
	s_mov_b32 s3, 0
	v_lshlrev_b64 v[5:6], 2, v[4:5]
	v_add_co_u32 v5, vcc_lo, s0, v5
	v_add_co_ci_u32_e64 v6, null, s1, v6, vcc_lo
	global_store_dwordx4 v[5:6], v[0:3], off
.LBB105_40:
	s_andn2_b32 vcc_lo, exec_lo, s3
	s_cbranch_vccnz .LBB105_10
; %bb.41:
	v_ashrrev_i32_e32 v5, 31, v4
	v_lshlrev_b64 v[4:5], 2, v[4:5]
	v_add_co_u32 v8, vcc_lo, s0, v4
	v_add_co_ci_u32_e64 v9, null, s1, v5, vcc_lo
	global_load_dwordx4 v[4:7], v[8:9], off
	s_waitcnt vmcnt(0)
	v_fmac_f32_e32 v0, s2, v4
	v_fmac_f32_e32 v1, s2, v5
	;; [unrolled: 1-line block ×4, first 2 shown]
	global_store_dwordx4 v[8:9], v[0:3], off
	s_endpgm
	.section	.rodata,"a",@progbits
	.p2align	6, 0x0
	.amdhsa_kernel _ZN9rocsparseL18bsrxmvn_4x4_kernelILj128ELj4Efii18rocsparse_bfloat16S1_fEEvT3_20rocsparse_direction_NS_24const_host_device_scalarIT1_EES2_PKS2_PKT2_SB_S8_PKT4_PKT5_S6_PT6_21rocsparse_index_base_b
		.amdhsa_group_segment_fixed_size 0
		.amdhsa_private_segment_fixed_size 0
		.amdhsa_kernarg_size 96
		.amdhsa_user_sgpr_count 6
		.amdhsa_user_sgpr_private_segment_buffer 1
		.amdhsa_user_sgpr_dispatch_ptr 0
		.amdhsa_user_sgpr_queue_ptr 0
		.amdhsa_user_sgpr_kernarg_segment_ptr 1
		.amdhsa_user_sgpr_dispatch_id 0
		.amdhsa_user_sgpr_flat_scratch_init 0
		.amdhsa_user_sgpr_private_segment_size 0
		.amdhsa_wavefront_size32 1
		.amdhsa_uses_dynamic_stack 0
		.amdhsa_system_sgpr_private_segment_wavefront_offset 0
		.amdhsa_system_sgpr_workgroup_id_x 1
		.amdhsa_system_sgpr_workgroup_id_y 0
		.amdhsa_system_sgpr_workgroup_id_z 0
		.amdhsa_system_sgpr_workgroup_info 0
		.amdhsa_system_vgpr_workitem_id 0
		.amdhsa_next_free_vgpr 87
		.amdhsa_next_free_sgpr 20
		.amdhsa_reserve_vcc 1
		.amdhsa_reserve_flat_scratch 0
		.amdhsa_float_round_mode_32 0
		.amdhsa_float_round_mode_16_64 0
		.amdhsa_float_denorm_mode_32 3
		.amdhsa_float_denorm_mode_16_64 3
		.amdhsa_dx10_clamp 1
		.amdhsa_ieee_mode 1
		.amdhsa_fp16_overflow 0
		.amdhsa_workgroup_processor_mode 1
		.amdhsa_memory_ordered 1
		.amdhsa_forward_progress 1
		.amdhsa_shared_vgpr_count 0
		.amdhsa_exception_fp_ieee_invalid_op 0
		.amdhsa_exception_fp_denorm_src 0
		.amdhsa_exception_fp_ieee_div_zero 0
		.amdhsa_exception_fp_ieee_overflow 0
		.amdhsa_exception_fp_ieee_underflow 0
		.amdhsa_exception_fp_ieee_inexact 0
		.amdhsa_exception_int_div_zero 0
	.end_amdhsa_kernel
	.section	.text._ZN9rocsparseL18bsrxmvn_4x4_kernelILj128ELj4Efii18rocsparse_bfloat16S1_fEEvT3_20rocsparse_direction_NS_24const_host_device_scalarIT1_EES2_PKS2_PKT2_SB_S8_PKT4_PKT5_S6_PT6_21rocsparse_index_base_b,"axG",@progbits,_ZN9rocsparseL18bsrxmvn_4x4_kernelILj128ELj4Efii18rocsparse_bfloat16S1_fEEvT3_20rocsparse_direction_NS_24const_host_device_scalarIT1_EES2_PKS2_PKT2_SB_S8_PKT4_PKT5_S6_PT6_21rocsparse_index_base_b,comdat
.Lfunc_end105:
	.size	_ZN9rocsparseL18bsrxmvn_4x4_kernelILj128ELj4Efii18rocsparse_bfloat16S1_fEEvT3_20rocsparse_direction_NS_24const_host_device_scalarIT1_EES2_PKS2_PKT2_SB_S8_PKT4_PKT5_S6_PT6_21rocsparse_index_base_b, .Lfunc_end105-_ZN9rocsparseL18bsrxmvn_4x4_kernelILj128ELj4Efii18rocsparse_bfloat16S1_fEEvT3_20rocsparse_direction_NS_24const_host_device_scalarIT1_EES2_PKS2_PKT2_SB_S8_PKT4_PKT5_S6_PT6_21rocsparse_index_base_b
                                        ; -- End function
	.set _ZN9rocsparseL18bsrxmvn_4x4_kernelILj128ELj4Efii18rocsparse_bfloat16S1_fEEvT3_20rocsparse_direction_NS_24const_host_device_scalarIT1_EES2_PKS2_PKT2_SB_S8_PKT4_PKT5_S6_PT6_21rocsparse_index_base_b.num_vgpr, 87
	.set _ZN9rocsparseL18bsrxmvn_4x4_kernelILj128ELj4Efii18rocsparse_bfloat16S1_fEEvT3_20rocsparse_direction_NS_24const_host_device_scalarIT1_EES2_PKS2_PKT2_SB_S8_PKT4_PKT5_S6_PT6_21rocsparse_index_base_b.num_agpr, 0
	.set _ZN9rocsparseL18bsrxmvn_4x4_kernelILj128ELj4Efii18rocsparse_bfloat16S1_fEEvT3_20rocsparse_direction_NS_24const_host_device_scalarIT1_EES2_PKS2_PKT2_SB_S8_PKT4_PKT5_S6_PT6_21rocsparse_index_base_b.numbered_sgpr, 20
	.set _ZN9rocsparseL18bsrxmvn_4x4_kernelILj128ELj4Efii18rocsparse_bfloat16S1_fEEvT3_20rocsparse_direction_NS_24const_host_device_scalarIT1_EES2_PKS2_PKT2_SB_S8_PKT4_PKT5_S6_PT6_21rocsparse_index_base_b.num_named_barrier, 0
	.set _ZN9rocsparseL18bsrxmvn_4x4_kernelILj128ELj4Efii18rocsparse_bfloat16S1_fEEvT3_20rocsparse_direction_NS_24const_host_device_scalarIT1_EES2_PKS2_PKT2_SB_S8_PKT4_PKT5_S6_PT6_21rocsparse_index_base_b.private_seg_size, 0
	.set _ZN9rocsparseL18bsrxmvn_4x4_kernelILj128ELj4Efii18rocsparse_bfloat16S1_fEEvT3_20rocsparse_direction_NS_24const_host_device_scalarIT1_EES2_PKS2_PKT2_SB_S8_PKT4_PKT5_S6_PT6_21rocsparse_index_base_b.uses_vcc, 1
	.set _ZN9rocsparseL18bsrxmvn_4x4_kernelILj128ELj4Efii18rocsparse_bfloat16S1_fEEvT3_20rocsparse_direction_NS_24const_host_device_scalarIT1_EES2_PKS2_PKT2_SB_S8_PKT4_PKT5_S6_PT6_21rocsparse_index_base_b.uses_flat_scratch, 0
	.set _ZN9rocsparseL18bsrxmvn_4x4_kernelILj128ELj4Efii18rocsparse_bfloat16S1_fEEvT3_20rocsparse_direction_NS_24const_host_device_scalarIT1_EES2_PKS2_PKT2_SB_S8_PKT4_PKT5_S6_PT6_21rocsparse_index_base_b.has_dyn_sized_stack, 0
	.set _ZN9rocsparseL18bsrxmvn_4x4_kernelILj128ELj4Efii18rocsparse_bfloat16S1_fEEvT3_20rocsparse_direction_NS_24const_host_device_scalarIT1_EES2_PKS2_PKT2_SB_S8_PKT4_PKT5_S6_PT6_21rocsparse_index_base_b.has_recursion, 0
	.set _ZN9rocsparseL18bsrxmvn_4x4_kernelILj128ELj4Efii18rocsparse_bfloat16S1_fEEvT3_20rocsparse_direction_NS_24const_host_device_scalarIT1_EES2_PKS2_PKT2_SB_S8_PKT4_PKT5_S6_PT6_21rocsparse_index_base_b.has_indirect_call, 0
	.section	.AMDGPU.csdata,"",@progbits
; Kernel info:
; codeLenInByte = 4128
; TotalNumSgprs: 22
; NumVgprs: 87
; ScratchSize: 0
; MemoryBound: 0
; FloatMode: 240
; IeeeMode: 1
; LDSByteSize: 0 bytes/workgroup (compile time only)
; SGPRBlocks: 0
; VGPRBlocks: 10
; NumSGPRsForWavesPerEU: 22
; NumVGPRsForWavesPerEU: 87
; Occupancy: 10
; WaveLimiterHint : 1
; COMPUTE_PGM_RSRC2:SCRATCH_EN: 0
; COMPUTE_PGM_RSRC2:USER_SGPR: 6
; COMPUTE_PGM_RSRC2:TRAP_HANDLER: 0
; COMPUTE_PGM_RSRC2:TGID_X_EN: 1
; COMPUTE_PGM_RSRC2:TGID_Y_EN: 0
; COMPUTE_PGM_RSRC2:TGID_Z_EN: 0
; COMPUTE_PGM_RSRC2:TIDIG_COMP_CNT: 0
	.section	.text._ZN9rocsparseL18bsrxmvn_4x4_kernelILj128ELj8Efii18rocsparse_bfloat16S1_fEEvT3_20rocsparse_direction_NS_24const_host_device_scalarIT1_EES2_PKS2_PKT2_SB_S8_PKT4_PKT5_S6_PT6_21rocsparse_index_base_b,"axG",@progbits,_ZN9rocsparseL18bsrxmvn_4x4_kernelILj128ELj8Efii18rocsparse_bfloat16S1_fEEvT3_20rocsparse_direction_NS_24const_host_device_scalarIT1_EES2_PKS2_PKT2_SB_S8_PKT4_PKT5_S6_PT6_21rocsparse_index_base_b,comdat
	.globl	_ZN9rocsparseL18bsrxmvn_4x4_kernelILj128ELj8Efii18rocsparse_bfloat16S1_fEEvT3_20rocsparse_direction_NS_24const_host_device_scalarIT1_EES2_PKS2_PKT2_SB_S8_PKT4_PKT5_S6_PT6_21rocsparse_index_base_b ; -- Begin function _ZN9rocsparseL18bsrxmvn_4x4_kernelILj128ELj8Efii18rocsparse_bfloat16S1_fEEvT3_20rocsparse_direction_NS_24const_host_device_scalarIT1_EES2_PKS2_PKT2_SB_S8_PKT4_PKT5_S6_PT6_21rocsparse_index_base_b
	.p2align	8
	.type	_ZN9rocsparseL18bsrxmvn_4x4_kernelILj128ELj8Efii18rocsparse_bfloat16S1_fEEvT3_20rocsparse_direction_NS_24const_host_device_scalarIT1_EES2_PKS2_PKT2_SB_S8_PKT4_PKT5_S6_PT6_21rocsparse_index_base_b,@function
_ZN9rocsparseL18bsrxmvn_4x4_kernelILj128ELj8Efii18rocsparse_bfloat16S1_fEEvT3_20rocsparse_direction_NS_24const_host_device_scalarIT1_EES2_PKS2_PKT2_SB_S8_PKT4_PKT5_S6_PT6_21rocsparse_index_base_b: ; @_ZN9rocsparseL18bsrxmvn_4x4_kernelILj128ELj8Efii18rocsparse_bfloat16S1_fEEvT3_20rocsparse_direction_NS_24const_host_device_scalarIT1_EES2_PKS2_PKT2_SB_S8_PKT4_PKT5_S6_PT6_21rocsparse_index_base_b
; %bb.0:
	s_clause 0x2
	s_load_dwordx2 s[18:19], s[4:5], 0x58
	s_load_dwordx2 s[16:17], s[4:5], 0x8
	;; [unrolled: 1-line block ×3, first 2 shown]
	s_waitcnt lgkmcnt(0)
	s_bitcmp1_b32 s19, 0
	s_cselect_b32 s0, -1, 0
	s_and_b32 vcc_lo, exec_lo, s0
	s_xor_b32 s0, s0, -1
	s_cbranch_vccnz .LBB106_2
; %bb.1:
	s_load_dword s16, s[16:17], 0x0
.LBB106_2:
	s_andn2_b32 vcc_lo, exec_lo, s0
	s_cbranch_vccnz .LBB106_4
; %bb.3:
	s_load_dword s2, s[2:3], 0x0
.LBB106_4:
	s_waitcnt lgkmcnt(0)
	v_cmp_neq_f32_e64 s0, s16, 0
	v_cmp_neq_f32_e64 s1, s2, 1.0
	s_mov_b32 s3, 0
	s_or_b32 s0, s0, s1
	s_andn2_b32 vcc_lo, exec_lo, s0
	s_cbranch_vccnz .LBB106_10
; %bb.5:
	s_clause 0x1
	s_load_dwordx2 s[8:9], s[4:5], 0x18
	s_load_dwordx2 s[0:1], s[4:5], 0x0
	v_lshrrev_b32_e32 v1, 3, v0
	v_lshl_or_b32 v4, s6, 4, v1
	s_waitcnt lgkmcnt(0)
	s_cmp_lg_u64 s[8:9], 0
	s_cbranch_scc0 .LBB106_11
; %bb.6:
	s_load_dword s3, s[4:5], 0x10
	s_mov_b32 s6, 0
                                        ; implicit-def: $vgpr1
	s_waitcnt lgkmcnt(0)
	v_cmp_gt_i32_e32 vcc_lo, s3, v4
	s_mov_b32 s3, 0
	s_and_saveexec_b32 s7, vcc_lo
	s_xor_b32 s7, exec_lo, s7
	s_cbranch_execz .LBB106_8
; %bb.7:
	v_ashrrev_i32_e32 v5, 31, v4
	s_mov_b32 s3, exec_lo
	v_lshlrev_b64 v[1:2], 2, v[4:5]
	v_add_co_u32 v1, vcc_lo, s8, v1
	v_add_co_ci_u32_e64 v2, null, s9, v2, vcc_lo
	global_load_dword v1, v[1:2], off
	s_waitcnt vmcnt(0)
	v_subrev_nc_u32_e32 v1, s18, v1
.LBB106_8:
	s_or_b32 exec_lo, exec_lo, s7
	s_and_b32 vcc_lo, exec_lo, s6
	s_cbranch_vccz .LBB106_12
.LBB106_9:
	v_cmp_gt_i32_e32 vcc_lo, s0, v4
	s_andn2_b32 s0, s3, exec_lo
	s_and_b32 s3, vcc_lo, exec_lo
	s_or_b32 s3, s0, s3
	s_and_saveexec_b32 s0, s3
	s_cbranch_execnz .LBB106_13
.LBB106_10:
	s_endpgm
.LBB106_11:
                                        ; implicit-def: $vgpr1
	s_cbranch_execnz .LBB106_9
.LBB106_12:
	v_mov_b32_e32 v4, v1
	s_and_saveexec_b32 s0, s3
	s_cbranch_execz .LBB106_10
.LBB106_13:
	s_load_dwordx8 s[8:15], s[4:5], 0x20
	v_ashrrev_i32_e32 v5, 31, v4
	v_and_b32_e32 v9, 7, v0
	s_load_dwordx2 s[6:7], s[4:5], 0x40
	v_lshlrev_b64 v[1:2], 2, v[4:5]
	s_waitcnt lgkmcnt(0)
	v_add_co_u32 v5, vcc_lo, s8, v1
	v_add_co_ci_u32_e64 v6, null, s9, v2, vcc_lo
	v_add_co_u32 v1, vcc_lo, s10, v1
	v_add_co_ci_u32_e64 v2, null, s11, v2, vcc_lo
	global_load_dword v15, v[5:6], off
	v_add_co_u32 v3, vcc_lo, v5, 4
	v_add_co_ci_u32_e64 v5, null, 0, v6, vcc_lo
	s_cmp_eq_u64 s[10:11], 0
	s_cselect_b32 vcc_lo, -1, 0
	s_cmp_eq_u32 s1, 1
	v_cndmask_b32_e32 v2, v2, v5, vcc_lo
	v_cndmask_b32_e32 v1, v1, v3, vcc_lo
	global_load_dword v5, v[1:2], off
	s_waitcnt vmcnt(1)
	v_subrev_nc_u32_e32 v0, s18, v15
	v_add_nc_u32_e32 v0, v0, v9
	v_ashrrev_i32_e32 v1, 31, v0
	s_waitcnt vmcnt(0)
	v_subrev_nc_u32_e32 v11, s18, v5
	v_lshlrev_b64 v[2:3], 5, v[0:1]
	v_cmp_lt_i32_e64 s0, v0, v11
	v_add_co_u32 v2, vcc_lo, s14, v2
	v_add_co_ci_u32_e64 v3, null, s15, v3, vcc_lo
	s_cbranch_scc1 .LBB106_25
; %bb.14:
	v_mov_b32_e32 v10, 0
	v_mov_b32_e32 v13, 0
	v_mov_b32_e32 v14, 0
	v_mov_b32_e32 v12, 0
	s_and_saveexec_b32 s1, s0
	s_cbranch_execz .LBB106_24
; %bb.15:
	v_add_nc_u32_e32 v1, v15, v9
	v_not_b32_e32 v5, v15
	v_mov_b32_e32 v8, v3
	v_mov_b32_e32 v12, 0
	;; [unrolled: 1-line block ×3, first 2 shown]
	v_subrev_nc_u32_e32 v1, s18, v1
	v_mov_b32_e32 v13, 0
	v_mov_b32_e32 v10, 0
	;; [unrolled: 1-line block ×3, first 2 shown]
	s_mov_b32 s3, exec_lo
	v_add_nc_u32_e32 v1, 8, v1
	v_max_i32_e32 v1, v1, v11
	v_add3_u32 v1, s18, v1, v5
	v_mov_b32_e32 v5, v0
	v_sub_nc_u32_e32 v1, v1, v9
	v_and_b32_e32 v6, 24, v1
	v_cmpx_ne_u32_e32 24, v6
	s_cbranch_execz .LBB106_19
; %bb.16:
	v_lshrrev_b32_e32 v5, 3, v1
	v_mov_b32_e32 v8, v3
	v_mov_b32_e32 v10, 0
	;; [unrolled: 1-line block ×4, first 2 shown]
	v_add_nc_u32_e32 v5, 1, v5
	v_mov_b32_e32 v14, 0
	v_mov_b32_e32 v12, 0
	s_mov_b32 s8, 0
	v_and_b32_e32 v6, 3, v5
	v_mov_b32_e32 v5, v0
	v_sub_nc_u32_e32 v16, 0, v6
.LBB106_17:                             ; =>This Inner Loop Header: Depth=1
	v_ashrrev_i32_e32 v6, 31, v5
	v_add_co_u32 v16, s9, v16, 1
	s_or_b32 s8, s9, s8
	v_lshlrev_b64 v[17:18], 2, v[5:6]
	v_add_nc_u32_e32 v5, 8, v5
	v_add_co_u32 v17, vcc_lo, s12, v17
	v_add_co_ci_u32_e64 v18, null, s13, v18, vcc_lo
	global_load_dword v6, v[17:18], off
	global_load_dwordx4 v[17:20], v[7:8], off
	s_waitcnt vmcnt(1)
	v_subrev_nc_u32_e32 v6, s18, v6
	s_waitcnt vmcnt(0)
	v_lshlrev_b32_e32 v28, 16, v19
	v_and_b32_e32 v19, 0xffff0000, v19
	v_lshlrev_b32_e32 v27, 16, v18
	v_lshlrev_b32_e32 v29, 16, v20
	;; [unrolled: 1-line block ×4, first 2 shown]
	v_and_b32_e32 v17, 0xffff0000, v17
	v_and_b32_e32 v18, 0xffff0000, v18
	;; [unrolled: 1-line block ×3, first 2 shown]
	v_ashrrev_i32_e32 v22, 31, v21
	v_lshlrev_b64 v[21:22], 1, v[21:22]
	v_add_co_u32 v25, vcc_lo, s6, v21
	v_add_co_ci_u32_e64 v26, null, s7, v22, vcc_lo
	global_load_dwordx4 v[21:24], v[7:8], off offset:16
	global_load_dwordx2 v[25:26], v[25:26], off
	v_add_co_u32 v7, vcc_lo, 0x100, v7
	v_add_co_ci_u32_e64 v8, null, 0, v8, vcc_lo
	s_waitcnt vmcnt(1)
	v_lshlrev_b32_e32 v30, 16, v21
	v_lshlrev_b32_e32 v32, 16, v23
	s_waitcnt vmcnt(0)
	v_lshlrev_b32_e32 v34, 16, v25
	v_and_b32_e32 v21, 0xffff0000, v21
	v_and_b32_e32 v23, 0xffff0000, v23
	;; [unrolled: 1-line block ×3, first 2 shown]
	v_lshlrev_b32_e32 v31, 16, v22
	v_fmac_f32_e32 v12, v6, v34
	v_fmac_f32_e32 v14, v28, v34
	;; [unrolled: 1-line block ×4, first 2 shown]
	v_lshlrev_b32_e32 v33, 16, v24
	v_lshlrev_b32_e32 v6, 16, v26
	v_fmac_f32_e32 v12, v17, v25
	v_fmac_f32_e32 v14, v19, v25
	;; [unrolled: 1-line block ×4, first 2 shown]
	v_and_b32_e32 v22, 0xffff0000, v22
	v_and_b32_e32 v24, 0xffff0000, v24
	;; [unrolled: 1-line block ×3, first 2 shown]
	v_fmac_f32_e32 v12, v27, v6
	v_fmac_f32_e32 v14, v29, v6
	v_fmac_f32_e32 v13, v31, v6
	v_fmac_f32_e32 v10, v33, v6
	v_fmac_f32_e32 v12, v18, v17
	v_fmac_f32_e32 v14, v20, v17
	v_fmac_f32_e32 v13, v22, v17
	v_fmac_f32_e32 v10, v24, v17
	s_andn2_b32 exec_lo, exec_lo, s8
	s_cbranch_execnz .LBB106_17
; %bb.18:
	s_or_b32 exec_lo, exec_lo, s8
.LBB106_19:
	s_or_b32 exec_lo, exec_lo, s3
	s_mov_b32 s3, exec_lo
	v_cmpx_lt_u32_e32 23, v1
	s_cbranch_execz .LBB106_23
; %bb.20:
	s_mov_b32 s8, 0
.LBB106_21:                             ; =>This Inner Loop Header: Depth=1
	v_ashrrev_i32_e32 v6, 31, v5
	v_lshlrev_b64 v[16:17], 2, v[5:6]
	v_add_nc_u32_e32 v5, 32, v5
	v_add_co_u32 v16, vcc_lo, s12, v16
	v_add_co_ci_u32_e64 v17, null, s13, v17, vcc_lo
	s_clause 0x3
	global_load_dword v1, v[16:17], off
	global_load_dword v6, v[16:17], off offset:32
	global_load_dword v48, v[16:17], off offset:64
	;; [unrolled: 1-line block ×3, first 2 shown]
	s_clause 0x7
	global_load_dwordx4 v[16:19], v[7:8], off
	global_load_dwordx4 v[20:23], v[7:8], off offset:16
	global_load_dwordx4 v[24:27], v[7:8], off offset:256
	;; [unrolled: 1-line block ×7, first 2 shown]
	s_waitcnt vmcnt(11)
	v_subrev_nc_u32_e32 v1, s18, v1
	s_waitcnt vmcnt(10)
	v_subrev_nc_u32_e32 v6, s18, v6
	;; [unrolled: 2-line block ×4, first 2 shown]
	s_waitcnt vmcnt(7)
	v_lshlrev_b32_e32 v56, 16, v18
	v_lshlrev_b32_e32 v48, 2, v1
	;; [unrolled: 1-line block ×6, first 2 shown]
	v_ashrrev_i32_e32 v49, 31, v48
	v_ashrrev_i32_e32 v51, 31, v50
	;; [unrolled: 1-line block ×4, first 2 shown]
	s_waitcnt vmcnt(6)
	v_lshlrev_b32_e32 v58, 16, v20
	v_lshlrev_b64 v[48:49], 1, v[48:49]
	v_lshlrev_b64 v[50:51], 1, v[50:51]
	;; [unrolled: 1-line block ×4, first 2 shown]
	v_lshlrev_b32_e32 v60, 16, v22
	v_and_b32_e32 v6, 0xffff0000, v16
	v_add_co_u32 v48, vcc_lo, s6, v48
	v_add_co_ci_u32_e64 v49, null, s7, v49, vcc_lo
	v_add_co_u32 v50, vcc_lo, s6, v50
	v_add_co_ci_u32_e64 v51, null, s7, v51, vcc_lo
	global_load_dwordx2 v[48:49], v[48:49], off
	v_add_co_u32 v52, vcc_lo, s6, v52
	global_load_dwordx2 v[50:51], v[50:51], off
	v_add_co_ci_u32_e64 v53, null, s7, v53, vcc_lo
	v_add_co_u32 v54, vcc_lo, s6, v54
	v_add_co_ci_u32_e64 v55, null, s7, v55, vcc_lo
	global_load_dwordx2 v[52:53], v[52:53], off
	v_and_b32_e32 v18, 0xffff0000, v18
	v_and_b32_e32 v20, 0xffff0000, v20
	global_load_dwordx2 v[54:55], v[54:55], off
	v_and_b32_e32 v22, 0xffff0000, v22
	v_lshlrev_b32_e32 v16, 16, v17
	v_lshlrev_b32_e32 v57, 16, v19
	v_lshlrev_b32_e32 v59, 16, v21
	v_lshlrev_b32_e32 v61, 16, v23
	v_and_b32_e32 v17, 0xffff0000, v17
	v_and_b32_e32 v19, 0xffff0000, v19
	v_and_b32_e32 v21, 0xffff0000, v21
	v_and_b32_e32 v23, 0xffff0000, v23
	s_waitcnt vmcnt(9)
	v_lshlrev_b32_e32 v62, 16, v24
	v_lshlrev_b32_e32 v64, 16, v26
	s_waitcnt vmcnt(8)
	v_lshlrev_b32_e32 v66, 16, v28
	v_lshlrev_b32_e32 v68, 16, v30
	v_and_b32_e32 v24, 0xffff0000, v24
	v_and_b32_e32 v26, 0xffff0000, v26
	v_and_b32_e32 v28, 0xffff0000, v28
	v_and_b32_e32 v30, 0xffff0000, v30
	v_lshlrev_b32_e32 v63, 16, v25
	v_lshlrev_b32_e32 v65, 16, v27
	v_lshlrev_b32_e32 v67, 16, v29
	v_lshlrev_b32_e32 v69, 16, v31
	v_and_b32_e32 v25, 0xffff0000, v25
	v_and_b32_e32 v27, 0xffff0000, v27
	v_and_b32_e32 v29, 0xffff0000, v29
	v_and_b32_e32 v31, 0xffff0000, v31
	s_waitcnt vmcnt(7)
	v_lshlrev_b32_e32 v70, 16, v32
	v_lshlrev_b32_e32 v72, 16, v34
	s_waitcnt vmcnt(6)
	v_lshlrev_b32_e32 v74, 16, v36
	v_lshlrev_b32_e32 v76, 16, v38
	v_and_b32_e32 v32, 0xffff0000, v32
	v_and_b32_e32 v34, 0xffff0000, v34
	v_and_b32_e32 v36, 0xffff0000, v36
	v_and_b32_e32 v38, 0xffff0000, v38
	v_lshlrev_b32_e32 v71, 16, v33
	v_lshlrev_b32_e32 v73, 16, v35
	v_lshlrev_b32_e32 v75, 16, v37
	v_lshlrev_b32_e32 v77, 16, v39
	v_and_b32_e32 v33, 0xffff0000, v33
	v_and_b32_e32 v35, 0xffff0000, v35
	v_and_b32_e32 v37, 0xffff0000, v37
	v_and_b32_e32 v39, 0xffff0000, v39
	s_waitcnt vmcnt(5)
	v_lshlrev_b32_e32 v78, 16, v40
	v_lshlrev_b32_e32 v80, 16, v42
	s_waitcnt vmcnt(4)
	v_lshlrev_b32_e32 v82, 16, v44
	v_lshlrev_b32_e32 v84, 16, v46
	v_and_b32_e32 v40, 0xffff0000, v40
	v_and_b32_e32 v42, 0xffff0000, v42
	v_and_b32_e32 v44, 0xffff0000, v44
	v_and_b32_e32 v46, 0xffff0000, v46
	v_lshlrev_b32_e32 v79, 16, v41
	v_lshlrev_b32_e32 v81, 16, v43
	;; [unrolled: 1-line block ×4, first 2 shown]
	v_and_b32_e32 v41, 0xffff0000, v41
	v_and_b32_e32 v43, 0xffff0000, v43
	;; [unrolled: 1-line block ×4, first 2 shown]
	v_add_co_u32 v7, vcc_lo, 0x400, v7
	v_add_co_ci_u32_e64 v8, null, 0, v8, vcc_lo
	v_cmp_ge_i32_e32 vcc_lo, v5, v11
	s_or_b32 s8, vcc_lo, s8
	s_waitcnt vmcnt(3)
	v_lshlrev_b32_e32 v86, 16, v48
	v_and_b32_e32 v48, 0xffff0000, v48
	v_fmac_f32_e32 v12, v1, v86
	v_fmac_f32_e32 v14, v56, v86
	v_fmac_f32_e32 v13, v58, v86
	v_fmac_f32_e32 v10, v60, v86
	v_lshlrev_b32_e32 v1, 16, v49
	v_fmac_f32_e32 v12, v6, v48
	v_fmac_f32_e32 v14, v18, v48
	v_fmac_f32_e32 v13, v20, v48
	v_fmac_f32_e32 v10, v22, v48
	v_and_b32_e32 v6, 0xffff0000, v49
	v_fmac_f32_e32 v12, v16, v1
	v_fmac_f32_e32 v14, v57, v1
	v_fmac_f32_e32 v13, v59, v1
	v_fmac_f32_e32 v10, v61, v1
	s_waitcnt vmcnt(2)
	v_lshlrev_b32_e32 v1, 16, v50
	v_fmac_f32_e32 v12, v17, v6
	v_fmac_f32_e32 v14, v19, v6
	v_fmac_f32_e32 v13, v21, v6
	v_fmac_f32_e32 v10, v23, v6
	v_and_b32_e32 v6, 0xffff0000, v50
	v_fmac_f32_e32 v12, v62, v1
	v_fmac_f32_e32 v14, v64, v1
	v_fmac_f32_e32 v13, v66, v1
	v_fmac_f32_e32 v10, v68, v1
	v_lshlrev_b32_e32 v1, 16, v51
	v_fmac_f32_e32 v12, v24, v6
	v_fmac_f32_e32 v14, v26, v6
	v_fmac_f32_e32 v13, v28, v6
	v_fmac_f32_e32 v10, v30, v6
	v_and_b32_e32 v6, 0xffff0000, v51
	v_fmac_f32_e32 v12, v63, v1
	v_fmac_f32_e32 v14, v65, v1
	v_fmac_f32_e32 v13, v67, v1
	v_fmac_f32_e32 v10, v69, v1
	s_waitcnt vmcnt(1)
	v_lshlrev_b32_e32 v1, 16, v52
	v_fmac_f32_e32 v12, v25, v6
	v_fmac_f32_e32 v14, v27, v6
	v_fmac_f32_e32 v13, v29, v6
	v_fmac_f32_e32 v10, v31, v6
	;; [unrolled: 21-line block ×3, first 2 shown]
	v_and_b32_e32 v6, 0xffff0000, v54
	v_fmac_f32_e32 v12, v78, v1
	v_fmac_f32_e32 v14, v80, v1
	;; [unrolled: 1-line block ×4, first 2 shown]
	v_lshlrev_b32_e32 v1, 16, v55
	v_fmac_f32_e32 v12, v40, v6
	v_fmac_f32_e32 v14, v42, v6
	;; [unrolled: 1-line block ×4, first 2 shown]
	v_and_b32_e32 v6, 0xffff0000, v55
	v_fmac_f32_e32 v12, v79, v1
	v_fmac_f32_e32 v14, v81, v1
	;; [unrolled: 1-line block ×8, first 2 shown]
	s_andn2_b32 exec_lo, exec_lo, s8
	s_cbranch_execnz .LBB106_21
; %bb.22:
	s_or_b32 exec_lo, exec_lo, s8
.LBB106_23:
	s_or_b32 exec_lo, exec_lo, s3
.LBB106_24:
	s_or_b32 exec_lo, exec_lo, s1
	s_cbranch_execz .LBB106_26
	s_branch .LBB106_37
.LBB106_25:
                                        ; implicit-def: $vgpr10
                                        ; implicit-def: $vgpr13
                                        ; implicit-def: $vgpr14
                                        ; implicit-def: $vgpr12
.LBB106_26:
	v_mov_b32_e32 v10, 0
	v_mov_b32_e32 v13, 0
	;; [unrolled: 1-line block ×4, first 2 shown]
	s_and_saveexec_b32 s1, s0
	s_cbranch_execz .LBB106_36
; %bb.27:
	v_add_nc_u32_e32 v1, v15, v9
	v_not_b32_e32 v5, v15
	v_mov_b32_e32 v12, 0
	v_mov_b32_e32 v14, 0
	;; [unrolled: 1-line block ×3, first 2 shown]
	v_subrev_nc_u32_e32 v1, s18, v1
	v_mov_b32_e32 v10, 0
	s_mov_b32 s0, exec_lo
	v_add_nc_u32_e32 v1, 8, v1
	v_max_i32_e32 v1, v1, v11
	v_add3_u32 v1, s18, v1, v5
	v_sub_nc_u32_e32 v5, v1, v9
	v_and_b32_e32 v1, 24, v5
	v_cmpx_ne_u32_e32 24, v1
	s_cbranch_execz .LBB106_31
; %bb.28:
	v_lshrrev_b32_e32 v1, 3, v5
	v_mov_b32_e32 v10, 0
	v_mov_b32_e32 v13, 0
	;; [unrolled: 1-line block ×4, first 2 shown]
	v_add_nc_u32_e32 v1, 1, v1
	s_mov_b32 s3, 0
	v_and_b32_e32 v1, 3, v1
	v_sub_nc_u32_e32 v6, 0, v1
.LBB106_29:                             ; =>This Inner Loop Header: Depth=1
	v_ashrrev_i32_e32 v1, 31, v0
	v_add_co_u32 v6, s8, v6, 1
	s_or_b32 s3, s8, s3
	v_lshlrev_b64 v[7:8], 2, v[0:1]
	v_add_nc_u32_e32 v0, 8, v0
	v_add_co_u32 v7, vcc_lo, s12, v7
	v_add_co_ci_u32_e64 v8, null, s13, v8, vcc_lo
	global_load_dword v1, v[7:8], off
	global_load_dwordx4 v[15:18], v[2:3], off
	s_waitcnt vmcnt(1)
	v_subrev_nc_u32_e32 v1, s18, v1
	s_waitcnt vmcnt(0)
	v_lshlrev_b32_e32 v23, 16, v16
	v_and_b32_e32 v16, 0xffff0000, v16
	v_lshlrev_b32_e32 v24, 16, v17
	v_and_b32_e32 v17, 0xffff0000, v17
	v_lshlrev_b32_e32 v7, 2, v1
	v_lshlrev_b32_e32 v1, 16, v15
	v_and_b32_e32 v15, 0xffff0000, v15
	v_lshlrev_b32_e32 v25, 16, v18
	v_and_b32_e32 v18, 0xffff0000, v18
	v_ashrrev_i32_e32 v8, 31, v7
	v_lshlrev_b64 v[7:8], 1, v[7:8]
	v_add_co_u32 v7, vcc_lo, s6, v7
	v_add_co_ci_u32_e64 v8, null, s7, v8, vcc_lo
	global_load_dwordx2 v[7:8], v[7:8], off
	global_load_dwordx4 v[19:22], v[2:3], off offset:16
	v_add_co_u32 v2, vcc_lo, 0x100, v2
	v_add_co_ci_u32_e64 v3, null, 0, v3, vcc_lo
	s_waitcnt vmcnt(1)
	v_lshlrev_b32_e32 v30, 16, v7
	v_and_b32_e32 v7, 0xffff0000, v7
	s_waitcnt vmcnt(0)
	v_lshlrev_b32_e32 v26, 16, v19
	v_and_b32_e32 v19, 0xffff0000, v19
	v_lshlrev_b32_e32 v27, 16, v20
	v_fmac_f32_e32 v12, v1, v30
	v_fmac_f32_e32 v14, v15, v30
	;; [unrolled: 1-line block ×4, first 2 shown]
	v_and_b32_e32 v20, 0xffff0000, v20
	v_lshlrev_b32_e32 v1, 16, v8
	v_fmac_f32_e32 v12, v24, v7
	v_fmac_f32_e32 v14, v17, v7
	;; [unrolled: 1-line block ×4, first 2 shown]
	v_lshlrev_b32_e32 v28, 16, v21
	v_and_b32_e32 v21, 0xffff0000, v21
	v_lshlrev_b32_e32 v29, 16, v22
	v_and_b32_e32 v22, 0xffff0000, v22
	v_and_b32_e32 v7, 0xffff0000, v8
	v_fmac_f32_e32 v12, v26, v1
	v_fmac_f32_e32 v14, v19, v1
	;; [unrolled: 1-line block ×8, first 2 shown]
	s_andn2_b32 exec_lo, exec_lo, s3
	s_cbranch_execnz .LBB106_29
; %bb.30:
	s_or_b32 exec_lo, exec_lo, s3
.LBB106_31:
	s_or_b32 exec_lo, exec_lo, s0
	s_mov_b32 s0, exec_lo
	v_cmpx_lt_u32_e32 23, v5
	s_cbranch_execz .LBB106_35
; %bb.32:
	s_mov_b32 s3, 0
.LBB106_33:                             ; =>This Inner Loop Header: Depth=1
	v_ashrrev_i32_e32 v1, 31, v0
	v_lshlrev_b64 v[5:6], 2, v[0:1]
	v_add_nc_u32_e32 v0, 32, v0
	v_add_co_u32 v5, vcc_lo, s12, v5
	v_add_co_ci_u32_e64 v6, null, s13, v6, vcc_lo
	s_clause 0x3
	global_load_dword v1, v[5:6], off
	global_load_dword v39, v[5:6], off offset:32
	global_load_dword v40, v[5:6], off offset:64
	;; [unrolled: 1-line block ×3, first 2 shown]
	s_clause 0x6
	global_load_dwordx4 v[5:8], v[2:3], off
	global_load_dwordx4 v[15:18], v[2:3], off offset:16
	global_load_dwordx4 v[19:22], v[2:3], off offset:256
	;; [unrolled: 1-line block ×6, first 2 shown]
	s_waitcnt vmcnt(10)
	v_subrev_nc_u32_e32 v1, s18, v1
	s_waitcnt vmcnt(9)
	v_subrev_nc_u32_e32 v42, s18, v39
	;; [unrolled: 2-line block ×4, first 2 shown]
	s_waitcnt vmcnt(6)
	v_lshlrev_b32_e32 v51, 16, v6
	v_lshlrev_b32_e32 v39, 2, v1
	;; [unrolled: 1-line block ×6, first 2 shown]
	v_ashrrev_i32_e32 v40, 31, v39
	v_ashrrev_i32_e32 v42, 31, v41
	;; [unrolled: 1-line block ×4, first 2 shown]
	v_and_b32_e32 v5, 0xffff0000, v5
	v_lshlrev_b64 v[39:40], 1, v[39:40]
	v_lshlrev_b64 v[41:42], 1, v[41:42]
	;; [unrolled: 1-line block ×4, first 2 shown]
	v_and_b32_e32 v6, 0xffff0000, v6
	v_lshlrev_b32_e32 v52, 16, v7
	v_add_co_u32 v39, vcc_lo, s6, v39
	v_add_co_ci_u32_e64 v40, null, s7, v40, vcc_lo
	v_add_co_u32 v41, vcc_lo, s6, v41
	v_add_co_ci_u32_e64 v42, null, s7, v42, vcc_lo
	;; [unrolled: 2-line block ×4, first 2 shown]
	s_clause 0x3
	global_load_dwordx2 v[47:48], v[39:40], off
	global_load_dwordx2 v[49:50], v[41:42], off
	;; [unrolled: 1-line block ×4, first 2 shown]
	global_load_dwordx4 v[39:42], v[2:3], off offset:784
	v_and_b32_e32 v7, 0xffff0000, v7
	v_lshlrev_b32_e32 v53, 16, v8
	v_and_b32_e32 v8, 0xffff0000, v8
	s_waitcnt vmcnt(10)
	v_lshlrev_b32_e32 v54, 16, v15
	v_and_b32_e32 v15, 0xffff0000, v15
	v_lshlrev_b32_e32 v55, 16, v16
	v_and_b32_e32 v16, 0xffff0000, v16
	v_lshlrev_b32_e32 v56, 16, v17
	v_and_b32_e32 v17, 0xffff0000, v17
	v_lshlrev_b32_e32 v57, 16, v18
	v_and_b32_e32 v18, 0xffff0000, v18
	s_waitcnt vmcnt(9)
	v_lshlrev_b32_e32 v58, 16, v19
	v_and_b32_e32 v19, 0xffff0000, v19
	v_lshlrev_b32_e32 v59, 16, v20
	v_and_b32_e32 v20, 0xffff0000, v20
	v_lshlrev_b32_e32 v60, 16, v21
	;; [unrolled: 9-line block ×6, first 2 shown]
	v_and_b32_e32 v37, 0xffff0000, v37
	v_lshlrev_b32_e32 v77, 16, v38
	v_and_b32_e32 v38, 0xffff0000, v38
	v_add_co_u32 v2, vcc_lo, 0x400, v2
	v_add_co_ci_u32_e64 v3, null, 0, v3, vcc_lo
	v_cmp_ge_i32_e32 vcc_lo, v0, v11
	s_or_b32 s3, vcc_lo, s3
	s_waitcnt vmcnt(4)
	v_lshlrev_b32_e32 v82, 16, v47
	v_and_b32_e32 v47, 0xffff0000, v47
	s_waitcnt vmcnt(0)
	v_lshlrev_b32_e32 v78, 16, v39
	v_fmac_f32_e32 v12, v1, v82
	v_fmac_f32_e32 v14, v5, v82
	v_fmac_f32_e32 v13, v51, v82
	v_fmac_f32_e32 v10, v6, v82
	v_lshlrev_b32_e32 v1, 16, v48
	v_fmac_f32_e32 v12, v52, v47
	v_fmac_f32_e32 v14, v7, v47
	v_fmac_f32_e32 v13, v53, v47
	v_fmac_f32_e32 v10, v8, v47
	v_and_b32_e32 v5, 0xffff0000, v48
	v_fmac_f32_e32 v12, v54, v1
	v_fmac_f32_e32 v14, v15, v1
	v_fmac_f32_e32 v13, v55, v1
	v_fmac_f32_e32 v10, v16, v1
	v_lshlrev_b32_e32 v1, 16, v49
	v_fmac_f32_e32 v12, v56, v5
	v_fmac_f32_e32 v14, v17, v5
	v_fmac_f32_e32 v13, v57, v5
	v_fmac_f32_e32 v10, v18, v5
	v_and_b32_e32 v5, 0xffff0000, v49
	;; [unrolled: 10-line block ×6, first 2 shown]
	v_fmac_f32_e32 v12, v74, v1
	v_fmac_f32_e32 v14, v35, v1
	;; [unrolled: 1-line block ×4, first 2 shown]
	v_and_b32_e32 v39, 0xffff0000, v39
	v_lshlrev_b32_e32 v79, 16, v40
	v_and_b32_e32 v40, 0xffff0000, v40
	v_lshlrev_b32_e32 v1, 16, v46
	v_fmac_f32_e32 v12, v76, v5
	v_fmac_f32_e32 v14, v37, v5
	;; [unrolled: 1-line block ×4, first 2 shown]
	v_lshlrev_b32_e32 v80, 16, v41
	v_and_b32_e32 v41, 0xffff0000, v41
	v_lshlrev_b32_e32 v81, 16, v42
	v_and_b32_e32 v42, 0xffff0000, v42
	v_and_b32_e32 v5, 0xffff0000, v46
	v_fmac_f32_e32 v12, v78, v1
	v_fmac_f32_e32 v14, v39, v1
	;; [unrolled: 1-line block ×8, first 2 shown]
	s_andn2_b32 exec_lo, exec_lo, s3
	s_cbranch_execnz .LBB106_33
; %bb.34:
	s_or_b32 exec_lo, exec_lo, s3
.LBB106_35:
	s_or_b32 exec_lo, exec_lo, s0
.LBB106_36:
	s_or_b32 exec_lo, exec_lo, s1
.LBB106_37:
	v_mbcnt_lo_u32_b32 v0, -1, 0
	s_mov_b32 s3, -1
	v_xor_b32_e32 v1, 4, v0
	v_xor_b32_e32 v6, 2, v0
	;; [unrolled: 1-line block ×3, first 2 shown]
	v_cmp_gt_i32_e32 vcc_lo, 32, v1
	v_cndmask_b32_e32 v1, v0, v1, vcc_lo
	v_cmp_gt_i32_e32 vcc_lo, 32, v6
	v_lshlrev_b32_e32 v1, 2, v1
	v_cndmask_b32_e32 v6, v0, v6, vcc_lo
	v_cmp_gt_i32_e32 vcc_lo, 32, v11
	ds_bpermute_b32 v2, v1, v12
	ds_bpermute_b32 v3, v1, v14
	;; [unrolled: 1-line block ×4, first 2 shown]
	v_lshlrev_b32_e32 v6, 2, v6
	v_cndmask_b32_e32 v0, v0, v11, vcc_lo
	v_cmp_eq_u32_e32 vcc_lo, 7, v9
	v_lshlrev_b32_e32 v11, 2, v0
	s_waitcnt lgkmcnt(3)
	v_add_f32_e32 v2, v12, v2
	s_waitcnt lgkmcnt(2)
	v_add_f32_e32 v3, v14, v3
	;; [unrolled: 2-line block ×4, first 2 shown]
	ds_bpermute_b32 v1, v6, v2
	ds_bpermute_b32 v8, v6, v3
	;; [unrolled: 1-line block ×4, first 2 shown]
	s_waitcnt lgkmcnt(3)
	v_add_f32_e32 v0, v2, v1
	s_waitcnt lgkmcnt(2)
	v_add_f32_e32 v1, v3, v8
	;; [unrolled: 2-line block ×4, first 2 shown]
	ds_bpermute_b32 v5, v11, v0
	ds_bpermute_b32 v6, v11, v1
	;; [unrolled: 1-line block ×4, first 2 shown]
	s_and_b32 exec_lo, exec_lo, vcc_lo
	s_cbranch_execz .LBB106_10
; %bb.38:
	s_load_dwordx2 s[0:1], s[4:5], 0x50
	s_waitcnt lgkmcnt(0)
	v_add_f32_e32 v0, v0, v5
	v_add_f32_e32 v1, v1, v6
	;; [unrolled: 1-line block ×4, first 2 shown]
	v_cmp_eq_f32_e64 s4, s2, 0
	v_mul_f32_e32 v0, s16, v0
	v_mul_f32_e32 v1, s16, v1
	;; [unrolled: 1-line block ×4, first 2 shown]
	v_lshlrev_b32_e32 v4, 2, v4
	s_and_b32 vcc_lo, exec_lo, s4
	s_cbranch_vccz .LBB106_40
; %bb.39:
	v_ashrrev_i32_e32 v5, 31, v4
	s_mov_b32 s3, 0
	v_lshlrev_b64 v[5:6], 2, v[4:5]
	v_add_co_u32 v5, vcc_lo, s0, v5
	v_add_co_ci_u32_e64 v6, null, s1, v6, vcc_lo
	global_store_dwordx4 v[5:6], v[0:3], off
.LBB106_40:
	s_andn2_b32 vcc_lo, exec_lo, s3
	s_cbranch_vccnz .LBB106_10
; %bb.41:
	v_ashrrev_i32_e32 v5, 31, v4
	v_lshlrev_b64 v[4:5], 2, v[4:5]
	v_add_co_u32 v8, vcc_lo, s0, v4
	v_add_co_ci_u32_e64 v9, null, s1, v5, vcc_lo
	global_load_dwordx4 v[4:7], v[8:9], off
	s_waitcnt vmcnt(0)
	v_fmac_f32_e32 v0, s2, v4
	v_fmac_f32_e32 v1, s2, v5
	;; [unrolled: 1-line block ×4, first 2 shown]
	global_store_dwordx4 v[8:9], v[0:3], off
	s_endpgm
	.section	.rodata,"a",@progbits
	.p2align	6, 0x0
	.amdhsa_kernel _ZN9rocsparseL18bsrxmvn_4x4_kernelILj128ELj8Efii18rocsparse_bfloat16S1_fEEvT3_20rocsparse_direction_NS_24const_host_device_scalarIT1_EES2_PKS2_PKT2_SB_S8_PKT4_PKT5_S6_PT6_21rocsparse_index_base_b
		.amdhsa_group_segment_fixed_size 0
		.amdhsa_private_segment_fixed_size 0
		.amdhsa_kernarg_size 96
		.amdhsa_user_sgpr_count 6
		.amdhsa_user_sgpr_private_segment_buffer 1
		.amdhsa_user_sgpr_dispatch_ptr 0
		.amdhsa_user_sgpr_queue_ptr 0
		.amdhsa_user_sgpr_kernarg_segment_ptr 1
		.amdhsa_user_sgpr_dispatch_id 0
		.amdhsa_user_sgpr_flat_scratch_init 0
		.amdhsa_user_sgpr_private_segment_size 0
		.amdhsa_wavefront_size32 1
		.amdhsa_uses_dynamic_stack 0
		.amdhsa_system_sgpr_private_segment_wavefront_offset 0
		.amdhsa_system_sgpr_workgroup_id_x 1
		.amdhsa_system_sgpr_workgroup_id_y 0
		.amdhsa_system_sgpr_workgroup_id_z 0
		.amdhsa_system_sgpr_workgroup_info 0
		.amdhsa_system_vgpr_workitem_id 0
		.amdhsa_next_free_vgpr 87
		.amdhsa_next_free_sgpr 20
		.amdhsa_reserve_vcc 1
		.amdhsa_reserve_flat_scratch 0
		.amdhsa_float_round_mode_32 0
		.amdhsa_float_round_mode_16_64 0
		.amdhsa_float_denorm_mode_32 3
		.amdhsa_float_denorm_mode_16_64 3
		.amdhsa_dx10_clamp 1
		.amdhsa_ieee_mode 1
		.amdhsa_fp16_overflow 0
		.amdhsa_workgroup_processor_mode 1
		.amdhsa_memory_ordered 1
		.amdhsa_forward_progress 1
		.amdhsa_shared_vgpr_count 0
		.amdhsa_exception_fp_ieee_invalid_op 0
		.amdhsa_exception_fp_denorm_src 0
		.amdhsa_exception_fp_ieee_div_zero 0
		.amdhsa_exception_fp_ieee_overflow 0
		.amdhsa_exception_fp_ieee_underflow 0
		.amdhsa_exception_fp_ieee_inexact 0
		.amdhsa_exception_int_div_zero 0
	.end_amdhsa_kernel
	.section	.text._ZN9rocsparseL18bsrxmvn_4x4_kernelILj128ELj8Efii18rocsparse_bfloat16S1_fEEvT3_20rocsparse_direction_NS_24const_host_device_scalarIT1_EES2_PKS2_PKT2_SB_S8_PKT4_PKT5_S6_PT6_21rocsparse_index_base_b,"axG",@progbits,_ZN9rocsparseL18bsrxmvn_4x4_kernelILj128ELj8Efii18rocsparse_bfloat16S1_fEEvT3_20rocsparse_direction_NS_24const_host_device_scalarIT1_EES2_PKS2_PKT2_SB_S8_PKT4_PKT5_S6_PT6_21rocsparse_index_base_b,comdat
.Lfunc_end106:
	.size	_ZN9rocsparseL18bsrxmvn_4x4_kernelILj128ELj8Efii18rocsparse_bfloat16S1_fEEvT3_20rocsparse_direction_NS_24const_host_device_scalarIT1_EES2_PKS2_PKT2_SB_S8_PKT4_PKT5_S6_PT6_21rocsparse_index_base_b, .Lfunc_end106-_ZN9rocsparseL18bsrxmvn_4x4_kernelILj128ELj8Efii18rocsparse_bfloat16S1_fEEvT3_20rocsparse_direction_NS_24const_host_device_scalarIT1_EES2_PKS2_PKT2_SB_S8_PKT4_PKT5_S6_PT6_21rocsparse_index_base_b
                                        ; -- End function
	.set _ZN9rocsparseL18bsrxmvn_4x4_kernelILj128ELj8Efii18rocsparse_bfloat16S1_fEEvT3_20rocsparse_direction_NS_24const_host_device_scalarIT1_EES2_PKS2_PKT2_SB_S8_PKT4_PKT5_S6_PT6_21rocsparse_index_base_b.num_vgpr, 87
	.set _ZN9rocsparseL18bsrxmvn_4x4_kernelILj128ELj8Efii18rocsparse_bfloat16S1_fEEvT3_20rocsparse_direction_NS_24const_host_device_scalarIT1_EES2_PKS2_PKT2_SB_S8_PKT4_PKT5_S6_PT6_21rocsparse_index_base_b.num_agpr, 0
	.set _ZN9rocsparseL18bsrxmvn_4x4_kernelILj128ELj8Efii18rocsparse_bfloat16S1_fEEvT3_20rocsparse_direction_NS_24const_host_device_scalarIT1_EES2_PKS2_PKT2_SB_S8_PKT4_PKT5_S6_PT6_21rocsparse_index_base_b.numbered_sgpr, 20
	.set _ZN9rocsparseL18bsrxmvn_4x4_kernelILj128ELj8Efii18rocsparse_bfloat16S1_fEEvT3_20rocsparse_direction_NS_24const_host_device_scalarIT1_EES2_PKS2_PKT2_SB_S8_PKT4_PKT5_S6_PT6_21rocsparse_index_base_b.num_named_barrier, 0
	.set _ZN9rocsparseL18bsrxmvn_4x4_kernelILj128ELj8Efii18rocsparse_bfloat16S1_fEEvT3_20rocsparse_direction_NS_24const_host_device_scalarIT1_EES2_PKS2_PKT2_SB_S8_PKT4_PKT5_S6_PT6_21rocsparse_index_base_b.private_seg_size, 0
	.set _ZN9rocsparseL18bsrxmvn_4x4_kernelILj128ELj8Efii18rocsparse_bfloat16S1_fEEvT3_20rocsparse_direction_NS_24const_host_device_scalarIT1_EES2_PKS2_PKT2_SB_S8_PKT4_PKT5_S6_PT6_21rocsparse_index_base_b.uses_vcc, 1
	.set _ZN9rocsparseL18bsrxmvn_4x4_kernelILj128ELj8Efii18rocsparse_bfloat16S1_fEEvT3_20rocsparse_direction_NS_24const_host_device_scalarIT1_EES2_PKS2_PKT2_SB_S8_PKT4_PKT5_S6_PT6_21rocsparse_index_base_b.uses_flat_scratch, 0
	.set _ZN9rocsparseL18bsrxmvn_4x4_kernelILj128ELj8Efii18rocsparse_bfloat16S1_fEEvT3_20rocsparse_direction_NS_24const_host_device_scalarIT1_EES2_PKS2_PKT2_SB_S8_PKT4_PKT5_S6_PT6_21rocsparse_index_base_b.has_dyn_sized_stack, 0
	.set _ZN9rocsparseL18bsrxmvn_4x4_kernelILj128ELj8Efii18rocsparse_bfloat16S1_fEEvT3_20rocsparse_direction_NS_24const_host_device_scalarIT1_EES2_PKS2_PKT2_SB_S8_PKT4_PKT5_S6_PT6_21rocsparse_index_base_b.has_recursion, 0
	.set _ZN9rocsparseL18bsrxmvn_4x4_kernelILj128ELj8Efii18rocsparse_bfloat16S1_fEEvT3_20rocsparse_direction_NS_24const_host_device_scalarIT1_EES2_PKS2_PKT2_SB_S8_PKT4_PKT5_S6_PT6_21rocsparse_index_base_b.has_indirect_call, 0
	.section	.AMDGPU.csdata,"",@progbits
; Kernel info:
; codeLenInByte = 4208
; TotalNumSgprs: 22
; NumVgprs: 87
; ScratchSize: 0
; MemoryBound: 0
; FloatMode: 240
; IeeeMode: 1
; LDSByteSize: 0 bytes/workgroup (compile time only)
; SGPRBlocks: 0
; VGPRBlocks: 10
; NumSGPRsForWavesPerEU: 22
; NumVGPRsForWavesPerEU: 87
; Occupancy: 10
; WaveLimiterHint : 1
; COMPUTE_PGM_RSRC2:SCRATCH_EN: 0
; COMPUTE_PGM_RSRC2:USER_SGPR: 6
; COMPUTE_PGM_RSRC2:TRAP_HANDLER: 0
; COMPUTE_PGM_RSRC2:TGID_X_EN: 1
; COMPUTE_PGM_RSRC2:TGID_Y_EN: 0
; COMPUTE_PGM_RSRC2:TGID_Z_EN: 0
; COMPUTE_PGM_RSRC2:TIDIG_COMP_CNT: 0
	.section	.text._ZN9rocsparseL18bsrxmvn_4x4_kernelILj128ELj16Efii18rocsparse_bfloat16S1_fEEvT3_20rocsparse_direction_NS_24const_host_device_scalarIT1_EES2_PKS2_PKT2_SB_S8_PKT4_PKT5_S6_PT6_21rocsparse_index_base_b,"axG",@progbits,_ZN9rocsparseL18bsrxmvn_4x4_kernelILj128ELj16Efii18rocsparse_bfloat16S1_fEEvT3_20rocsparse_direction_NS_24const_host_device_scalarIT1_EES2_PKS2_PKT2_SB_S8_PKT4_PKT5_S6_PT6_21rocsparse_index_base_b,comdat
	.globl	_ZN9rocsparseL18bsrxmvn_4x4_kernelILj128ELj16Efii18rocsparse_bfloat16S1_fEEvT3_20rocsparse_direction_NS_24const_host_device_scalarIT1_EES2_PKS2_PKT2_SB_S8_PKT4_PKT5_S6_PT6_21rocsparse_index_base_b ; -- Begin function _ZN9rocsparseL18bsrxmvn_4x4_kernelILj128ELj16Efii18rocsparse_bfloat16S1_fEEvT3_20rocsparse_direction_NS_24const_host_device_scalarIT1_EES2_PKS2_PKT2_SB_S8_PKT4_PKT5_S6_PT6_21rocsparse_index_base_b
	.p2align	8
	.type	_ZN9rocsparseL18bsrxmvn_4x4_kernelILj128ELj16Efii18rocsparse_bfloat16S1_fEEvT3_20rocsparse_direction_NS_24const_host_device_scalarIT1_EES2_PKS2_PKT2_SB_S8_PKT4_PKT5_S6_PT6_21rocsparse_index_base_b,@function
_ZN9rocsparseL18bsrxmvn_4x4_kernelILj128ELj16Efii18rocsparse_bfloat16S1_fEEvT3_20rocsparse_direction_NS_24const_host_device_scalarIT1_EES2_PKS2_PKT2_SB_S8_PKT4_PKT5_S6_PT6_21rocsparse_index_base_b: ; @_ZN9rocsparseL18bsrxmvn_4x4_kernelILj128ELj16Efii18rocsparse_bfloat16S1_fEEvT3_20rocsparse_direction_NS_24const_host_device_scalarIT1_EES2_PKS2_PKT2_SB_S8_PKT4_PKT5_S6_PT6_21rocsparse_index_base_b
; %bb.0:
	s_clause 0x2
	s_load_dwordx2 s[18:19], s[4:5], 0x58
	s_load_dwordx2 s[16:17], s[4:5], 0x8
	;; [unrolled: 1-line block ×3, first 2 shown]
	s_waitcnt lgkmcnt(0)
	s_bitcmp1_b32 s19, 0
	s_cselect_b32 s0, -1, 0
	s_and_b32 vcc_lo, exec_lo, s0
	s_xor_b32 s0, s0, -1
	s_cbranch_vccnz .LBB107_2
; %bb.1:
	s_load_dword s16, s[16:17], 0x0
.LBB107_2:
	s_andn2_b32 vcc_lo, exec_lo, s0
	s_cbranch_vccnz .LBB107_4
; %bb.3:
	s_load_dword s2, s[2:3], 0x0
.LBB107_4:
	s_waitcnt lgkmcnt(0)
	v_cmp_neq_f32_e64 s0, s16, 0
	v_cmp_neq_f32_e64 s1, s2, 1.0
	s_mov_b32 s3, 0
	s_or_b32 s0, s0, s1
	s_andn2_b32 vcc_lo, exec_lo, s0
	s_cbranch_vccnz .LBB107_10
; %bb.5:
	s_clause 0x1
	s_load_dwordx2 s[8:9], s[4:5], 0x18
	s_load_dwordx2 s[0:1], s[4:5], 0x0
	v_lshrrev_b32_e32 v1, 4, v0
	v_lshl_or_b32 v4, s6, 3, v1
	s_waitcnt lgkmcnt(0)
	s_cmp_lg_u64 s[8:9], 0
	s_cbranch_scc0 .LBB107_11
; %bb.6:
	s_load_dword s3, s[4:5], 0x10
	s_mov_b32 s6, 0
                                        ; implicit-def: $vgpr1
	s_waitcnt lgkmcnt(0)
	v_cmp_gt_i32_e32 vcc_lo, s3, v4
	s_mov_b32 s3, 0
	s_and_saveexec_b32 s7, vcc_lo
	s_xor_b32 s7, exec_lo, s7
	s_cbranch_execz .LBB107_8
; %bb.7:
	v_ashrrev_i32_e32 v5, 31, v4
	s_mov_b32 s3, exec_lo
	v_lshlrev_b64 v[1:2], 2, v[4:5]
	v_add_co_u32 v1, vcc_lo, s8, v1
	v_add_co_ci_u32_e64 v2, null, s9, v2, vcc_lo
	global_load_dword v1, v[1:2], off
	s_waitcnt vmcnt(0)
	v_subrev_nc_u32_e32 v1, s18, v1
.LBB107_8:
	s_or_b32 exec_lo, exec_lo, s7
	s_and_b32 vcc_lo, exec_lo, s6
	s_cbranch_vccz .LBB107_12
.LBB107_9:
	v_cmp_gt_i32_e32 vcc_lo, s0, v4
	s_andn2_b32 s0, s3, exec_lo
	s_and_b32 s3, vcc_lo, exec_lo
	s_or_b32 s3, s0, s3
	s_and_saveexec_b32 s0, s3
	s_cbranch_execnz .LBB107_13
.LBB107_10:
	s_endpgm
.LBB107_11:
                                        ; implicit-def: $vgpr1
	s_cbranch_execnz .LBB107_9
.LBB107_12:
	v_mov_b32_e32 v4, v1
	s_and_saveexec_b32 s0, s3
	s_cbranch_execz .LBB107_10
.LBB107_13:
	s_load_dwordx8 s[8:15], s[4:5], 0x20
	v_ashrrev_i32_e32 v5, 31, v4
	v_and_b32_e32 v9, 15, v0
	s_load_dwordx2 s[6:7], s[4:5], 0x40
	v_lshlrev_b64 v[1:2], 2, v[4:5]
	s_waitcnt lgkmcnt(0)
	v_add_co_u32 v5, vcc_lo, s8, v1
	v_add_co_ci_u32_e64 v6, null, s9, v2, vcc_lo
	v_add_co_u32 v1, vcc_lo, s10, v1
	v_add_co_ci_u32_e64 v2, null, s11, v2, vcc_lo
	global_load_dword v15, v[5:6], off
	v_add_co_u32 v3, vcc_lo, v5, 4
	v_add_co_ci_u32_e64 v5, null, 0, v6, vcc_lo
	s_cmp_eq_u64 s[10:11], 0
	s_cselect_b32 vcc_lo, -1, 0
	s_cmp_eq_u32 s1, 1
	v_cndmask_b32_e32 v2, v2, v5, vcc_lo
	v_cndmask_b32_e32 v1, v1, v3, vcc_lo
	global_load_dword v5, v[1:2], off
	s_waitcnt vmcnt(1)
	v_subrev_nc_u32_e32 v0, s18, v15
	v_add_nc_u32_e32 v0, v0, v9
	v_ashrrev_i32_e32 v1, 31, v0
	s_waitcnt vmcnt(0)
	v_subrev_nc_u32_e32 v12, s18, v5
	v_lshlrev_b64 v[2:3], 5, v[0:1]
	v_cmp_lt_i32_e64 s0, v0, v12
	v_add_co_u32 v2, vcc_lo, s14, v2
	v_add_co_ci_u32_e64 v3, null, s15, v3, vcc_lo
	s_cbranch_scc1 .LBB107_25
; %bb.14:
	v_mov_b32_e32 v10, 0
	v_mov_b32_e32 v13, 0
	;; [unrolled: 1-line block ×4, first 2 shown]
	s_and_saveexec_b32 s1, s0
	s_cbranch_execz .LBB107_24
; %bb.15:
	v_add_nc_u32_e32 v1, v15, v9
	v_not_b32_e32 v5, v15
	v_mov_b32_e32 v8, v3
	v_mov_b32_e32 v11, 0
	;; [unrolled: 1-line block ×3, first 2 shown]
	v_subrev_nc_u32_e32 v1, s18, v1
	v_mov_b32_e32 v13, 0
	v_mov_b32_e32 v10, 0
	;; [unrolled: 1-line block ×3, first 2 shown]
	s_mov_b32 s3, exec_lo
	v_add_nc_u32_e32 v1, 16, v1
	v_max_i32_e32 v1, v1, v12
	v_add3_u32 v1, s18, v1, v5
	v_mov_b32_e32 v5, v0
	v_sub_nc_u32_e32 v1, v1, v9
	v_and_b32_e32 v6, 48, v1
	v_cmpx_ne_u32_e32 48, v6
	s_cbranch_execz .LBB107_19
; %bb.16:
	v_lshrrev_b32_e32 v5, 4, v1
	v_mov_b32_e32 v8, v3
	v_mov_b32_e32 v10, 0
	;; [unrolled: 1-line block ×4, first 2 shown]
	v_add_nc_u32_e32 v5, 1, v5
	v_mov_b32_e32 v14, 0
	v_mov_b32_e32 v11, 0
	s_mov_b32 s8, 0
	v_and_b32_e32 v6, 3, v5
	v_mov_b32_e32 v5, v0
	v_sub_nc_u32_e32 v16, 0, v6
.LBB107_17:                             ; =>This Inner Loop Header: Depth=1
	v_ashrrev_i32_e32 v6, 31, v5
	v_add_co_u32 v16, s9, v16, 1
	s_or_b32 s8, s9, s8
	v_lshlrev_b64 v[17:18], 2, v[5:6]
	v_add_nc_u32_e32 v5, 16, v5
	v_add_co_u32 v17, vcc_lo, s12, v17
	v_add_co_ci_u32_e64 v18, null, s13, v18, vcc_lo
	global_load_dword v6, v[17:18], off
	global_load_dwordx4 v[17:20], v[7:8], off
	s_waitcnt vmcnt(1)
	v_subrev_nc_u32_e32 v6, s18, v6
	s_waitcnt vmcnt(0)
	v_lshlrev_b32_e32 v28, 16, v19
	v_and_b32_e32 v19, 0xffff0000, v19
	v_lshlrev_b32_e32 v27, 16, v18
	v_lshlrev_b32_e32 v29, 16, v20
	;; [unrolled: 1-line block ×4, first 2 shown]
	v_and_b32_e32 v17, 0xffff0000, v17
	v_and_b32_e32 v18, 0xffff0000, v18
	;; [unrolled: 1-line block ×3, first 2 shown]
	v_ashrrev_i32_e32 v22, 31, v21
	v_lshlrev_b64 v[21:22], 1, v[21:22]
	v_add_co_u32 v25, vcc_lo, s6, v21
	v_add_co_ci_u32_e64 v26, null, s7, v22, vcc_lo
	global_load_dwordx4 v[21:24], v[7:8], off offset:16
	global_load_dwordx2 v[25:26], v[25:26], off
	v_add_co_u32 v7, vcc_lo, 0x200, v7
	v_add_co_ci_u32_e64 v8, null, 0, v8, vcc_lo
	s_waitcnt vmcnt(1)
	v_lshlrev_b32_e32 v30, 16, v21
	v_lshlrev_b32_e32 v32, 16, v23
	s_waitcnt vmcnt(0)
	v_lshlrev_b32_e32 v34, 16, v25
	v_and_b32_e32 v21, 0xffff0000, v21
	v_and_b32_e32 v23, 0xffff0000, v23
	;; [unrolled: 1-line block ×3, first 2 shown]
	v_lshlrev_b32_e32 v31, 16, v22
	v_fmac_f32_e32 v11, v6, v34
	v_fmac_f32_e32 v14, v28, v34
	;; [unrolled: 1-line block ×4, first 2 shown]
	v_lshlrev_b32_e32 v33, 16, v24
	v_lshlrev_b32_e32 v6, 16, v26
	v_fmac_f32_e32 v11, v17, v25
	v_fmac_f32_e32 v14, v19, v25
	;; [unrolled: 1-line block ×4, first 2 shown]
	v_and_b32_e32 v22, 0xffff0000, v22
	v_and_b32_e32 v24, 0xffff0000, v24
	;; [unrolled: 1-line block ×3, first 2 shown]
	v_fmac_f32_e32 v11, v27, v6
	v_fmac_f32_e32 v14, v29, v6
	v_fmac_f32_e32 v13, v31, v6
	v_fmac_f32_e32 v10, v33, v6
	v_fmac_f32_e32 v11, v18, v17
	v_fmac_f32_e32 v14, v20, v17
	v_fmac_f32_e32 v13, v22, v17
	v_fmac_f32_e32 v10, v24, v17
	s_andn2_b32 exec_lo, exec_lo, s8
	s_cbranch_execnz .LBB107_17
; %bb.18:
	s_or_b32 exec_lo, exec_lo, s8
.LBB107_19:
	s_or_b32 exec_lo, exec_lo, s3
	s_mov_b32 s3, exec_lo
	v_cmpx_lt_u32_e32 47, v1
	s_cbranch_execz .LBB107_23
; %bb.20:
	s_mov_b32 s8, 0
.LBB107_21:                             ; =>This Inner Loop Header: Depth=1
	v_ashrrev_i32_e32 v6, 31, v5
	v_lshlrev_b64 v[16:17], 2, v[5:6]
	v_add_nc_u32_e32 v5, 64, v5
	v_add_co_u32 v16, vcc_lo, s12, v16
	v_add_co_ci_u32_e64 v17, null, s13, v17, vcc_lo
	s_clause 0x3
	global_load_dword v1, v[16:17], off
	global_load_dword v6, v[16:17], off offset:64
	global_load_dword v48, v[16:17], off offset:128
	;; [unrolled: 1-line block ×3, first 2 shown]
	s_clause 0x7
	global_load_dwordx4 v[16:19], v[7:8], off
	global_load_dwordx4 v[20:23], v[7:8], off offset:16
	global_load_dwordx4 v[24:27], v[7:8], off offset:512
	;; [unrolled: 1-line block ×7, first 2 shown]
	s_waitcnt vmcnt(11)
	v_subrev_nc_u32_e32 v1, s18, v1
	s_waitcnt vmcnt(10)
	v_subrev_nc_u32_e32 v6, s18, v6
	;; [unrolled: 2-line block ×4, first 2 shown]
	s_waitcnt vmcnt(7)
	v_lshlrev_b32_e32 v56, 16, v18
	v_lshlrev_b32_e32 v48, 2, v1
	;; [unrolled: 1-line block ×6, first 2 shown]
	v_ashrrev_i32_e32 v49, 31, v48
	v_ashrrev_i32_e32 v51, 31, v50
	;; [unrolled: 1-line block ×4, first 2 shown]
	s_waitcnt vmcnt(6)
	v_lshlrev_b32_e32 v58, 16, v20
	v_lshlrev_b64 v[48:49], 1, v[48:49]
	v_lshlrev_b64 v[50:51], 1, v[50:51]
	;; [unrolled: 1-line block ×4, first 2 shown]
	v_lshlrev_b32_e32 v60, 16, v22
	v_and_b32_e32 v6, 0xffff0000, v16
	v_add_co_u32 v48, vcc_lo, s6, v48
	v_add_co_ci_u32_e64 v49, null, s7, v49, vcc_lo
	v_add_co_u32 v50, vcc_lo, s6, v50
	v_add_co_ci_u32_e64 v51, null, s7, v51, vcc_lo
	global_load_dwordx2 v[48:49], v[48:49], off
	v_add_co_u32 v52, vcc_lo, s6, v52
	global_load_dwordx2 v[50:51], v[50:51], off
	v_add_co_ci_u32_e64 v53, null, s7, v53, vcc_lo
	v_add_co_u32 v54, vcc_lo, s6, v54
	v_add_co_ci_u32_e64 v55, null, s7, v55, vcc_lo
	global_load_dwordx2 v[52:53], v[52:53], off
	v_and_b32_e32 v18, 0xffff0000, v18
	v_and_b32_e32 v20, 0xffff0000, v20
	global_load_dwordx2 v[54:55], v[54:55], off
	v_and_b32_e32 v22, 0xffff0000, v22
	v_lshlrev_b32_e32 v16, 16, v17
	v_lshlrev_b32_e32 v57, 16, v19
	v_lshlrev_b32_e32 v59, 16, v21
	v_lshlrev_b32_e32 v61, 16, v23
	v_and_b32_e32 v17, 0xffff0000, v17
	v_and_b32_e32 v19, 0xffff0000, v19
	v_and_b32_e32 v21, 0xffff0000, v21
	v_and_b32_e32 v23, 0xffff0000, v23
	s_waitcnt vmcnt(9)
	v_lshlrev_b32_e32 v62, 16, v24
	v_lshlrev_b32_e32 v64, 16, v26
	s_waitcnt vmcnt(8)
	v_lshlrev_b32_e32 v66, 16, v28
	v_lshlrev_b32_e32 v68, 16, v30
	v_and_b32_e32 v24, 0xffff0000, v24
	v_and_b32_e32 v26, 0xffff0000, v26
	v_and_b32_e32 v28, 0xffff0000, v28
	v_and_b32_e32 v30, 0xffff0000, v30
	v_lshlrev_b32_e32 v63, 16, v25
	v_lshlrev_b32_e32 v65, 16, v27
	v_lshlrev_b32_e32 v67, 16, v29
	v_lshlrev_b32_e32 v69, 16, v31
	v_and_b32_e32 v25, 0xffff0000, v25
	v_and_b32_e32 v27, 0xffff0000, v27
	v_and_b32_e32 v29, 0xffff0000, v29
	v_and_b32_e32 v31, 0xffff0000, v31
	s_waitcnt vmcnt(7)
	v_lshlrev_b32_e32 v70, 16, v32
	v_lshlrev_b32_e32 v72, 16, v34
	s_waitcnt vmcnt(6)
	v_lshlrev_b32_e32 v74, 16, v36
	v_lshlrev_b32_e32 v76, 16, v38
	v_and_b32_e32 v32, 0xffff0000, v32
	v_and_b32_e32 v34, 0xffff0000, v34
	v_and_b32_e32 v36, 0xffff0000, v36
	;; [unrolled: 18-line block ×3, first 2 shown]
	v_and_b32_e32 v46, 0xffff0000, v46
	v_lshlrev_b32_e32 v79, 16, v41
	v_lshlrev_b32_e32 v81, 16, v43
	;; [unrolled: 1-line block ×4, first 2 shown]
	v_and_b32_e32 v41, 0xffff0000, v41
	v_and_b32_e32 v43, 0xffff0000, v43
	;; [unrolled: 1-line block ×4, first 2 shown]
	v_add_co_u32 v7, vcc_lo, 0x800, v7
	v_add_co_ci_u32_e64 v8, null, 0, v8, vcc_lo
	v_cmp_ge_i32_e32 vcc_lo, v5, v12
	s_or_b32 s8, vcc_lo, s8
	s_waitcnt vmcnt(3)
	v_lshlrev_b32_e32 v86, 16, v48
	v_and_b32_e32 v48, 0xffff0000, v48
	v_fmac_f32_e32 v11, v1, v86
	v_fmac_f32_e32 v14, v56, v86
	v_fmac_f32_e32 v13, v58, v86
	v_fmac_f32_e32 v10, v60, v86
	v_lshlrev_b32_e32 v1, 16, v49
	v_fmac_f32_e32 v11, v6, v48
	v_fmac_f32_e32 v14, v18, v48
	v_fmac_f32_e32 v13, v20, v48
	v_fmac_f32_e32 v10, v22, v48
	v_and_b32_e32 v6, 0xffff0000, v49
	v_fmac_f32_e32 v11, v16, v1
	v_fmac_f32_e32 v14, v57, v1
	v_fmac_f32_e32 v13, v59, v1
	v_fmac_f32_e32 v10, v61, v1
	s_waitcnt vmcnt(2)
	v_lshlrev_b32_e32 v1, 16, v50
	v_fmac_f32_e32 v11, v17, v6
	v_fmac_f32_e32 v14, v19, v6
	v_fmac_f32_e32 v13, v21, v6
	v_fmac_f32_e32 v10, v23, v6
	v_and_b32_e32 v6, 0xffff0000, v50
	v_fmac_f32_e32 v11, v62, v1
	v_fmac_f32_e32 v14, v64, v1
	v_fmac_f32_e32 v13, v66, v1
	v_fmac_f32_e32 v10, v68, v1
	v_lshlrev_b32_e32 v1, 16, v51
	v_fmac_f32_e32 v11, v24, v6
	v_fmac_f32_e32 v14, v26, v6
	v_fmac_f32_e32 v13, v28, v6
	v_fmac_f32_e32 v10, v30, v6
	v_and_b32_e32 v6, 0xffff0000, v51
	v_fmac_f32_e32 v11, v63, v1
	v_fmac_f32_e32 v14, v65, v1
	v_fmac_f32_e32 v13, v67, v1
	v_fmac_f32_e32 v10, v69, v1
	s_waitcnt vmcnt(1)
	v_lshlrev_b32_e32 v1, 16, v52
	v_fmac_f32_e32 v11, v25, v6
	v_fmac_f32_e32 v14, v27, v6
	v_fmac_f32_e32 v13, v29, v6
	v_fmac_f32_e32 v10, v31, v6
	;; [unrolled: 21-line block ×3, first 2 shown]
	v_and_b32_e32 v6, 0xffff0000, v54
	v_fmac_f32_e32 v11, v78, v1
	v_fmac_f32_e32 v14, v80, v1
	;; [unrolled: 1-line block ×4, first 2 shown]
	v_lshlrev_b32_e32 v1, 16, v55
	v_fmac_f32_e32 v11, v40, v6
	v_fmac_f32_e32 v14, v42, v6
	v_fmac_f32_e32 v13, v44, v6
	v_fmac_f32_e32 v10, v46, v6
	v_and_b32_e32 v6, 0xffff0000, v55
	v_fmac_f32_e32 v11, v79, v1
	v_fmac_f32_e32 v14, v81, v1
	;; [unrolled: 1-line block ×8, first 2 shown]
	s_andn2_b32 exec_lo, exec_lo, s8
	s_cbranch_execnz .LBB107_21
; %bb.22:
	s_or_b32 exec_lo, exec_lo, s8
.LBB107_23:
	s_or_b32 exec_lo, exec_lo, s3
.LBB107_24:
	s_or_b32 exec_lo, exec_lo, s1
	s_cbranch_execz .LBB107_26
	s_branch .LBB107_37
.LBB107_25:
                                        ; implicit-def: $vgpr10
                                        ; implicit-def: $vgpr13
                                        ; implicit-def: $vgpr14
                                        ; implicit-def: $vgpr11
.LBB107_26:
	v_mov_b32_e32 v10, 0
	v_mov_b32_e32 v13, 0
	;; [unrolled: 1-line block ×4, first 2 shown]
	s_and_saveexec_b32 s1, s0
	s_cbranch_execz .LBB107_36
; %bb.27:
	v_add_nc_u32_e32 v1, v15, v9
	v_not_b32_e32 v5, v15
	v_mov_b32_e32 v11, 0
	v_mov_b32_e32 v14, 0
	;; [unrolled: 1-line block ×3, first 2 shown]
	v_subrev_nc_u32_e32 v1, s18, v1
	v_mov_b32_e32 v10, 0
	s_mov_b32 s0, exec_lo
	v_add_nc_u32_e32 v1, 16, v1
	v_max_i32_e32 v1, v1, v12
	v_add3_u32 v1, s18, v1, v5
	v_sub_nc_u32_e32 v5, v1, v9
	v_and_b32_e32 v1, 48, v5
	v_cmpx_ne_u32_e32 48, v1
	s_cbranch_execz .LBB107_31
; %bb.28:
	v_lshrrev_b32_e32 v1, 4, v5
	v_mov_b32_e32 v10, 0
	v_mov_b32_e32 v13, 0
	;; [unrolled: 1-line block ×4, first 2 shown]
	v_add_nc_u32_e32 v1, 1, v1
	s_mov_b32 s3, 0
	v_and_b32_e32 v1, 3, v1
	v_sub_nc_u32_e32 v6, 0, v1
.LBB107_29:                             ; =>This Inner Loop Header: Depth=1
	v_ashrrev_i32_e32 v1, 31, v0
	v_add_co_u32 v6, s8, v6, 1
	s_or_b32 s3, s8, s3
	v_lshlrev_b64 v[7:8], 2, v[0:1]
	v_add_nc_u32_e32 v0, 16, v0
	v_add_co_u32 v7, vcc_lo, s12, v7
	v_add_co_ci_u32_e64 v8, null, s13, v8, vcc_lo
	global_load_dword v1, v[7:8], off
	global_load_dwordx4 v[15:18], v[2:3], off
	s_waitcnt vmcnt(1)
	v_subrev_nc_u32_e32 v1, s18, v1
	s_waitcnt vmcnt(0)
	v_lshlrev_b32_e32 v23, 16, v16
	v_and_b32_e32 v16, 0xffff0000, v16
	v_lshlrev_b32_e32 v24, 16, v17
	v_and_b32_e32 v17, 0xffff0000, v17
	v_lshlrev_b32_e32 v7, 2, v1
	v_lshlrev_b32_e32 v1, 16, v15
	v_and_b32_e32 v15, 0xffff0000, v15
	v_lshlrev_b32_e32 v25, 16, v18
	v_and_b32_e32 v18, 0xffff0000, v18
	v_ashrrev_i32_e32 v8, 31, v7
	v_lshlrev_b64 v[7:8], 1, v[7:8]
	v_add_co_u32 v7, vcc_lo, s6, v7
	v_add_co_ci_u32_e64 v8, null, s7, v8, vcc_lo
	global_load_dwordx2 v[7:8], v[7:8], off
	global_load_dwordx4 v[19:22], v[2:3], off offset:16
	v_add_co_u32 v2, vcc_lo, 0x200, v2
	v_add_co_ci_u32_e64 v3, null, 0, v3, vcc_lo
	s_waitcnt vmcnt(1)
	v_lshlrev_b32_e32 v30, 16, v7
	v_and_b32_e32 v7, 0xffff0000, v7
	s_waitcnt vmcnt(0)
	v_lshlrev_b32_e32 v26, 16, v19
	v_and_b32_e32 v19, 0xffff0000, v19
	v_lshlrev_b32_e32 v27, 16, v20
	v_fmac_f32_e32 v11, v1, v30
	v_fmac_f32_e32 v14, v15, v30
	v_fmac_f32_e32 v13, v23, v30
	v_fmac_f32_e32 v10, v16, v30
	v_and_b32_e32 v20, 0xffff0000, v20
	v_lshlrev_b32_e32 v1, 16, v8
	v_fmac_f32_e32 v11, v24, v7
	v_fmac_f32_e32 v14, v17, v7
	;; [unrolled: 1-line block ×4, first 2 shown]
	v_lshlrev_b32_e32 v28, 16, v21
	v_and_b32_e32 v21, 0xffff0000, v21
	v_lshlrev_b32_e32 v29, 16, v22
	v_and_b32_e32 v22, 0xffff0000, v22
	v_and_b32_e32 v7, 0xffff0000, v8
	v_fmac_f32_e32 v11, v26, v1
	v_fmac_f32_e32 v14, v19, v1
	;; [unrolled: 1-line block ×8, first 2 shown]
	s_andn2_b32 exec_lo, exec_lo, s3
	s_cbranch_execnz .LBB107_29
; %bb.30:
	s_or_b32 exec_lo, exec_lo, s3
.LBB107_31:
	s_or_b32 exec_lo, exec_lo, s0
	s_mov_b32 s0, exec_lo
	v_cmpx_lt_u32_e32 47, v5
	s_cbranch_execz .LBB107_35
; %bb.32:
	s_mov_b32 s3, 0
.LBB107_33:                             ; =>This Inner Loop Header: Depth=1
	v_ashrrev_i32_e32 v1, 31, v0
	v_lshlrev_b64 v[5:6], 2, v[0:1]
	v_add_nc_u32_e32 v0, 64, v0
	v_add_co_u32 v5, vcc_lo, s12, v5
	v_add_co_ci_u32_e64 v6, null, s13, v6, vcc_lo
	s_clause 0x3
	global_load_dword v1, v[5:6], off
	global_load_dword v39, v[5:6], off offset:64
	global_load_dword v40, v[5:6], off offset:128
	;; [unrolled: 1-line block ×3, first 2 shown]
	s_clause 0x6
	global_load_dwordx4 v[5:8], v[2:3], off
	global_load_dwordx4 v[15:18], v[2:3], off offset:16
	global_load_dwordx4 v[19:22], v[2:3], off offset:512
	;; [unrolled: 1-line block ×6, first 2 shown]
	s_waitcnt vmcnt(10)
	v_subrev_nc_u32_e32 v1, s18, v1
	s_waitcnt vmcnt(9)
	v_subrev_nc_u32_e32 v42, s18, v39
	;; [unrolled: 2-line block ×4, first 2 shown]
	s_waitcnt vmcnt(6)
	v_lshlrev_b32_e32 v51, 16, v6
	v_lshlrev_b32_e32 v39, 2, v1
	;; [unrolled: 1-line block ×6, first 2 shown]
	v_ashrrev_i32_e32 v40, 31, v39
	v_ashrrev_i32_e32 v42, 31, v41
	;; [unrolled: 1-line block ×4, first 2 shown]
	v_and_b32_e32 v5, 0xffff0000, v5
	v_lshlrev_b64 v[39:40], 1, v[39:40]
	v_lshlrev_b64 v[41:42], 1, v[41:42]
	;; [unrolled: 1-line block ×4, first 2 shown]
	v_and_b32_e32 v6, 0xffff0000, v6
	v_lshlrev_b32_e32 v52, 16, v7
	v_add_co_u32 v39, vcc_lo, s6, v39
	v_add_co_ci_u32_e64 v40, null, s7, v40, vcc_lo
	v_add_co_u32 v41, vcc_lo, s6, v41
	v_add_co_ci_u32_e64 v42, null, s7, v42, vcc_lo
	;; [unrolled: 2-line block ×4, first 2 shown]
	s_clause 0x3
	global_load_dwordx2 v[47:48], v[39:40], off
	global_load_dwordx2 v[49:50], v[41:42], off
	;; [unrolled: 1-line block ×4, first 2 shown]
	global_load_dwordx4 v[39:42], v[2:3], off offset:1552
	v_and_b32_e32 v7, 0xffff0000, v7
	v_lshlrev_b32_e32 v53, 16, v8
	v_and_b32_e32 v8, 0xffff0000, v8
	s_waitcnt vmcnt(10)
	v_lshlrev_b32_e32 v54, 16, v15
	v_and_b32_e32 v15, 0xffff0000, v15
	v_lshlrev_b32_e32 v55, 16, v16
	v_and_b32_e32 v16, 0xffff0000, v16
	v_lshlrev_b32_e32 v56, 16, v17
	v_and_b32_e32 v17, 0xffff0000, v17
	v_lshlrev_b32_e32 v57, 16, v18
	v_and_b32_e32 v18, 0xffff0000, v18
	s_waitcnt vmcnt(9)
	v_lshlrev_b32_e32 v58, 16, v19
	v_and_b32_e32 v19, 0xffff0000, v19
	v_lshlrev_b32_e32 v59, 16, v20
	v_and_b32_e32 v20, 0xffff0000, v20
	v_lshlrev_b32_e32 v60, 16, v21
	;; [unrolled: 9-line block ×6, first 2 shown]
	v_and_b32_e32 v37, 0xffff0000, v37
	v_lshlrev_b32_e32 v77, 16, v38
	v_and_b32_e32 v38, 0xffff0000, v38
	v_add_co_u32 v2, vcc_lo, 0x800, v2
	v_add_co_ci_u32_e64 v3, null, 0, v3, vcc_lo
	v_cmp_ge_i32_e32 vcc_lo, v0, v12
	s_or_b32 s3, vcc_lo, s3
	s_waitcnt vmcnt(4)
	v_lshlrev_b32_e32 v82, 16, v47
	v_and_b32_e32 v47, 0xffff0000, v47
	s_waitcnt vmcnt(0)
	v_lshlrev_b32_e32 v78, 16, v39
	v_fmac_f32_e32 v11, v1, v82
	v_fmac_f32_e32 v14, v5, v82
	v_fmac_f32_e32 v13, v51, v82
	v_fmac_f32_e32 v10, v6, v82
	v_lshlrev_b32_e32 v1, 16, v48
	v_fmac_f32_e32 v11, v52, v47
	v_fmac_f32_e32 v14, v7, v47
	v_fmac_f32_e32 v13, v53, v47
	v_fmac_f32_e32 v10, v8, v47
	v_and_b32_e32 v5, 0xffff0000, v48
	v_fmac_f32_e32 v11, v54, v1
	v_fmac_f32_e32 v14, v15, v1
	v_fmac_f32_e32 v13, v55, v1
	v_fmac_f32_e32 v10, v16, v1
	v_lshlrev_b32_e32 v1, 16, v49
	v_fmac_f32_e32 v11, v56, v5
	v_fmac_f32_e32 v14, v17, v5
	v_fmac_f32_e32 v13, v57, v5
	v_fmac_f32_e32 v10, v18, v5
	v_and_b32_e32 v5, 0xffff0000, v49
	;; [unrolled: 10-line block ×6, first 2 shown]
	v_fmac_f32_e32 v11, v74, v1
	v_fmac_f32_e32 v14, v35, v1
	;; [unrolled: 1-line block ×4, first 2 shown]
	v_and_b32_e32 v39, 0xffff0000, v39
	v_lshlrev_b32_e32 v79, 16, v40
	v_and_b32_e32 v40, 0xffff0000, v40
	v_lshlrev_b32_e32 v1, 16, v46
	v_fmac_f32_e32 v11, v76, v5
	v_fmac_f32_e32 v14, v37, v5
	;; [unrolled: 1-line block ×4, first 2 shown]
	v_lshlrev_b32_e32 v80, 16, v41
	v_and_b32_e32 v41, 0xffff0000, v41
	v_lshlrev_b32_e32 v81, 16, v42
	v_and_b32_e32 v42, 0xffff0000, v42
	v_and_b32_e32 v5, 0xffff0000, v46
	v_fmac_f32_e32 v11, v78, v1
	v_fmac_f32_e32 v14, v39, v1
	;; [unrolled: 1-line block ×8, first 2 shown]
	s_andn2_b32 exec_lo, exec_lo, s3
	s_cbranch_execnz .LBB107_33
; %bb.34:
	s_or_b32 exec_lo, exec_lo, s3
.LBB107_35:
	s_or_b32 exec_lo, exec_lo, s0
.LBB107_36:
	s_or_b32 exec_lo, exec_lo, s1
.LBB107_37:
	v_mbcnt_lo_u32_b32 v0, -1, 0
	s_mov_b32 s3, -1
	v_xor_b32_e32 v1, 8, v0
	v_xor_b32_e32 v6, 4, v0
	v_cmp_gt_i32_e32 vcc_lo, 32, v1
	v_cndmask_b32_e32 v1, v0, v1, vcc_lo
	v_cmp_gt_i32_e32 vcc_lo, 32, v6
	v_lshlrev_b32_e32 v1, 2, v1
	v_cndmask_b32_e32 v6, v0, v6, vcc_lo
	ds_bpermute_b32 v2, v1, v11
	ds_bpermute_b32 v3, v1, v14
	;; [unrolled: 1-line block ×4, first 2 shown]
	v_lshlrev_b32_e32 v6, 2, v6
	s_waitcnt lgkmcnt(3)
	v_add_f32_e32 v2, v11, v2
	s_waitcnt lgkmcnt(2)
	v_add_f32_e32 v3, v14, v3
	;; [unrolled: 2-line block ×4, first 2 shown]
	v_xor_b32_e32 v11, 2, v0
	ds_bpermute_b32 v7, v6, v2
	ds_bpermute_b32 v8, v6, v3
	;; [unrolled: 1-line block ×4, first 2 shown]
	v_cmp_gt_i32_e32 vcc_lo, 32, v11
	v_cndmask_b32_e32 v11, v0, v11, vcc_lo
	v_lshlrev_b32_e32 v11, 2, v11
	s_waitcnt lgkmcnt(3)
	v_add_f32_e32 v2, v2, v7
	s_waitcnt lgkmcnt(2)
	v_add_f32_e32 v3, v3, v8
	;; [unrolled: 2-line block ×4, first 2 shown]
	ds_bpermute_b32 v1, v11, v2
	ds_bpermute_b32 v7, v11, v3
	;; [unrolled: 1-line block ×4, first 2 shown]
	v_xor_b32_e32 v11, 1, v0
	v_cmp_gt_i32_e32 vcc_lo, 32, v11
	v_cndmask_b32_e32 v0, v0, v11, vcc_lo
	v_cmp_eq_u32_e32 vcc_lo, 15, v9
	v_lshlrev_b32_e32 v11, 2, v0
	s_waitcnt lgkmcnt(3)
	v_add_f32_e32 v0, v2, v1
	s_waitcnt lgkmcnt(2)
	v_add_f32_e32 v1, v3, v7
	;; [unrolled: 2-line block ×4, first 2 shown]
	ds_bpermute_b32 v5, v11, v0
	ds_bpermute_b32 v6, v11, v1
	;; [unrolled: 1-line block ×4, first 2 shown]
	s_and_b32 exec_lo, exec_lo, vcc_lo
	s_cbranch_execz .LBB107_10
; %bb.38:
	s_load_dwordx2 s[0:1], s[4:5], 0x50
	s_waitcnt lgkmcnt(0)
	v_add_f32_e32 v0, v0, v5
	v_add_f32_e32 v1, v1, v6
	;; [unrolled: 1-line block ×4, first 2 shown]
	v_cmp_eq_f32_e64 s4, s2, 0
	v_mul_f32_e32 v0, s16, v0
	v_mul_f32_e32 v1, s16, v1
	;; [unrolled: 1-line block ×4, first 2 shown]
	v_lshlrev_b32_e32 v4, 2, v4
	s_and_b32 vcc_lo, exec_lo, s4
	s_cbranch_vccz .LBB107_40
; %bb.39:
	v_ashrrev_i32_e32 v5, 31, v4
	s_mov_b32 s3, 0
	v_lshlrev_b64 v[5:6], 2, v[4:5]
	v_add_co_u32 v5, vcc_lo, s0, v5
	v_add_co_ci_u32_e64 v6, null, s1, v6, vcc_lo
	global_store_dwordx4 v[5:6], v[0:3], off
.LBB107_40:
	s_andn2_b32 vcc_lo, exec_lo, s3
	s_cbranch_vccnz .LBB107_10
; %bb.41:
	v_ashrrev_i32_e32 v5, 31, v4
	v_lshlrev_b64 v[4:5], 2, v[4:5]
	v_add_co_u32 v8, vcc_lo, s0, v4
	v_add_co_ci_u32_e64 v9, null, s1, v5, vcc_lo
	global_load_dwordx4 v[4:7], v[8:9], off
	s_waitcnt vmcnt(0)
	v_fmac_f32_e32 v0, s2, v4
	v_fmac_f32_e32 v1, s2, v5
	;; [unrolled: 1-line block ×4, first 2 shown]
	global_store_dwordx4 v[8:9], v[0:3], off
	s_endpgm
	.section	.rodata,"a",@progbits
	.p2align	6, 0x0
	.amdhsa_kernel _ZN9rocsparseL18bsrxmvn_4x4_kernelILj128ELj16Efii18rocsparse_bfloat16S1_fEEvT3_20rocsparse_direction_NS_24const_host_device_scalarIT1_EES2_PKS2_PKT2_SB_S8_PKT4_PKT5_S6_PT6_21rocsparse_index_base_b
		.amdhsa_group_segment_fixed_size 0
		.amdhsa_private_segment_fixed_size 0
		.amdhsa_kernarg_size 96
		.amdhsa_user_sgpr_count 6
		.amdhsa_user_sgpr_private_segment_buffer 1
		.amdhsa_user_sgpr_dispatch_ptr 0
		.amdhsa_user_sgpr_queue_ptr 0
		.amdhsa_user_sgpr_kernarg_segment_ptr 1
		.amdhsa_user_sgpr_dispatch_id 0
		.amdhsa_user_sgpr_flat_scratch_init 0
		.amdhsa_user_sgpr_private_segment_size 0
		.amdhsa_wavefront_size32 1
		.amdhsa_uses_dynamic_stack 0
		.amdhsa_system_sgpr_private_segment_wavefront_offset 0
		.amdhsa_system_sgpr_workgroup_id_x 1
		.amdhsa_system_sgpr_workgroup_id_y 0
		.amdhsa_system_sgpr_workgroup_id_z 0
		.amdhsa_system_sgpr_workgroup_info 0
		.amdhsa_system_vgpr_workitem_id 0
		.amdhsa_next_free_vgpr 87
		.amdhsa_next_free_sgpr 20
		.amdhsa_reserve_vcc 1
		.amdhsa_reserve_flat_scratch 0
		.amdhsa_float_round_mode_32 0
		.amdhsa_float_round_mode_16_64 0
		.amdhsa_float_denorm_mode_32 3
		.amdhsa_float_denorm_mode_16_64 3
		.amdhsa_dx10_clamp 1
		.amdhsa_ieee_mode 1
		.amdhsa_fp16_overflow 0
		.amdhsa_workgroup_processor_mode 1
		.amdhsa_memory_ordered 1
		.amdhsa_forward_progress 1
		.amdhsa_shared_vgpr_count 0
		.amdhsa_exception_fp_ieee_invalid_op 0
		.amdhsa_exception_fp_denorm_src 0
		.amdhsa_exception_fp_ieee_div_zero 0
		.amdhsa_exception_fp_ieee_overflow 0
		.amdhsa_exception_fp_ieee_underflow 0
		.amdhsa_exception_fp_ieee_inexact 0
		.amdhsa_exception_int_div_zero 0
	.end_amdhsa_kernel
	.section	.text._ZN9rocsparseL18bsrxmvn_4x4_kernelILj128ELj16Efii18rocsparse_bfloat16S1_fEEvT3_20rocsparse_direction_NS_24const_host_device_scalarIT1_EES2_PKS2_PKT2_SB_S8_PKT4_PKT5_S6_PT6_21rocsparse_index_base_b,"axG",@progbits,_ZN9rocsparseL18bsrxmvn_4x4_kernelILj128ELj16Efii18rocsparse_bfloat16S1_fEEvT3_20rocsparse_direction_NS_24const_host_device_scalarIT1_EES2_PKS2_PKT2_SB_S8_PKT4_PKT5_S6_PT6_21rocsparse_index_base_b,comdat
.Lfunc_end107:
	.size	_ZN9rocsparseL18bsrxmvn_4x4_kernelILj128ELj16Efii18rocsparse_bfloat16S1_fEEvT3_20rocsparse_direction_NS_24const_host_device_scalarIT1_EES2_PKS2_PKT2_SB_S8_PKT4_PKT5_S6_PT6_21rocsparse_index_base_b, .Lfunc_end107-_ZN9rocsparseL18bsrxmvn_4x4_kernelILj128ELj16Efii18rocsparse_bfloat16S1_fEEvT3_20rocsparse_direction_NS_24const_host_device_scalarIT1_EES2_PKS2_PKT2_SB_S8_PKT4_PKT5_S6_PT6_21rocsparse_index_base_b
                                        ; -- End function
	.set _ZN9rocsparseL18bsrxmvn_4x4_kernelILj128ELj16Efii18rocsparse_bfloat16S1_fEEvT3_20rocsparse_direction_NS_24const_host_device_scalarIT1_EES2_PKS2_PKT2_SB_S8_PKT4_PKT5_S6_PT6_21rocsparse_index_base_b.num_vgpr, 87
	.set _ZN9rocsparseL18bsrxmvn_4x4_kernelILj128ELj16Efii18rocsparse_bfloat16S1_fEEvT3_20rocsparse_direction_NS_24const_host_device_scalarIT1_EES2_PKS2_PKT2_SB_S8_PKT4_PKT5_S6_PT6_21rocsparse_index_base_b.num_agpr, 0
	.set _ZN9rocsparseL18bsrxmvn_4x4_kernelILj128ELj16Efii18rocsparse_bfloat16S1_fEEvT3_20rocsparse_direction_NS_24const_host_device_scalarIT1_EES2_PKS2_PKT2_SB_S8_PKT4_PKT5_S6_PT6_21rocsparse_index_base_b.numbered_sgpr, 20
	.set _ZN9rocsparseL18bsrxmvn_4x4_kernelILj128ELj16Efii18rocsparse_bfloat16S1_fEEvT3_20rocsparse_direction_NS_24const_host_device_scalarIT1_EES2_PKS2_PKT2_SB_S8_PKT4_PKT5_S6_PT6_21rocsparse_index_base_b.num_named_barrier, 0
	.set _ZN9rocsparseL18bsrxmvn_4x4_kernelILj128ELj16Efii18rocsparse_bfloat16S1_fEEvT3_20rocsparse_direction_NS_24const_host_device_scalarIT1_EES2_PKS2_PKT2_SB_S8_PKT4_PKT5_S6_PT6_21rocsparse_index_base_b.private_seg_size, 0
	.set _ZN9rocsparseL18bsrxmvn_4x4_kernelILj128ELj16Efii18rocsparse_bfloat16S1_fEEvT3_20rocsparse_direction_NS_24const_host_device_scalarIT1_EES2_PKS2_PKT2_SB_S8_PKT4_PKT5_S6_PT6_21rocsparse_index_base_b.uses_vcc, 1
	.set _ZN9rocsparseL18bsrxmvn_4x4_kernelILj128ELj16Efii18rocsparse_bfloat16S1_fEEvT3_20rocsparse_direction_NS_24const_host_device_scalarIT1_EES2_PKS2_PKT2_SB_S8_PKT4_PKT5_S6_PT6_21rocsparse_index_base_b.uses_flat_scratch, 0
	.set _ZN9rocsparseL18bsrxmvn_4x4_kernelILj128ELj16Efii18rocsparse_bfloat16S1_fEEvT3_20rocsparse_direction_NS_24const_host_device_scalarIT1_EES2_PKS2_PKT2_SB_S8_PKT4_PKT5_S6_PT6_21rocsparse_index_base_b.has_dyn_sized_stack, 0
	.set _ZN9rocsparseL18bsrxmvn_4x4_kernelILj128ELj16Efii18rocsparse_bfloat16S1_fEEvT3_20rocsparse_direction_NS_24const_host_device_scalarIT1_EES2_PKS2_PKT2_SB_S8_PKT4_PKT5_S6_PT6_21rocsparse_index_base_b.has_recursion, 0
	.set _ZN9rocsparseL18bsrxmvn_4x4_kernelILj128ELj16Efii18rocsparse_bfloat16S1_fEEvT3_20rocsparse_direction_NS_24const_host_device_scalarIT1_EES2_PKS2_PKT2_SB_S8_PKT4_PKT5_S6_PT6_21rocsparse_index_base_b.has_indirect_call, 0
	.section	.AMDGPU.csdata,"",@progbits
; Kernel info:
; codeLenInByte = 4288
; TotalNumSgprs: 22
; NumVgprs: 87
; ScratchSize: 0
; MemoryBound: 0
; FloatMode: 240
; IeeeMode: 1
; LDSByteSize: 0 bytes/workgroup (compile time only)
; SGPRBlocks: 0
; VGPRBlocks: 10
; NumSGPRsForWavesPerEU: 22
; NumVGPRsForWavesPerEU: 87
; Occupancy: 10
; WaveLimiterHint : 1
; COMPUTE_PGM_RSRC2:SCRATCH_EN: 0
; COMPUTE_PGM_RSRC2:USER_SGPR: 6
; COMPUTE_PGM_RSRC2:TRAP_HANDLER: 0
; COMPUTE_PGM_RSRC2:TGID_X_EN: 1
; COMPUTE_PGM_RSRC2:TGID_Y_EN: 0
; COMPUTE_PGM_RSRC2:TGID_Z_EN: 0
; COMPUTE_PGM_RSRC2:TIDIG_COMP_CNT: 0
	.section	.text._ZN9rocsparseL18bsrxmvn_4x4_kernelILj128ELj32Efii18rocsparse_bfloat16S1_fEEvT3_20rocsparse_direction_NS_24const_host_device_scalarIT1_EES2_PKS2_PKT2_SB_S8_PKT4_PKT5_S6_PT6_21rocsparse_index_base_b,"axG",@progbits,_ZN9rocsparseL18bsrxmvn_4x4_kernelILj128ELj32Efii18rocsparse_bfloat16S1_fEEvT3_20rocsparse_direction_NS_24const_host_device_scalarIT1_EES2_PKS2_PKT2_SB_S8_PKT4_PKT5_S6_PT6_21rocsparse_index_base_b,comdat
	.globl	_ZN9rocsparseL18bsrxmvn_4x4_kernelILj128ELj32Efii18rocsparse_bfloat16S1_fEEvT3_20rocsparse_direction_NS_24const_host_device_scalarIT1_EES2_PKS2_PKT2_SB_S8_PKT4_PKT5_S6_PT6_21rocsparse_index_base_b ; -- Begin function _ZN9rocsparseL18bsrxmvn_4x4_kernelILj128ELj32Efii18rocsparse_bfloat16S1_fEEvT3_20rocsparse_direction_NS_24const_host_device_scalarIT1_EES2_PKS2_PKT2_SB_S8_PKT4_PKT5_S6_PT6_21rocsparse_index_base_b
	.p2align	8
	.type	_ZN9rocsparseL18bsrxmvn_4x4_kernelILj128ELj32Efii18rocsparse_bfloat16S1_fEEvT3_20rocsparse_direction_NS_24const_host_device_scalarIT1_EES2_PKS2_PKT2_SB_S8_PKT4_PKT5_S6_PT6_21rocsparse_index_base_b,@function
_ZN9rocsparseL18bsrxmvn_4x4_kernelILj128ELj32Efii18rocsparse_bfloat16S1_fEEvT3_20rocsparse_direction_NS_24const_host_device_scalarIT1_EES2_PKS2_PKT2_SB_S8_PKT4_PKT5_S6_PT6_21rocsparse_index_base_b: ; @_ZN9rocsparseL18bsrxmvn_4x4_kernelILj128ELj32Efii18rocsparse_bfloat16S1_fEEvT3_20rocsparse_direction_NS_24const_host_device_scalarIT1_EES2_PKS2_PKT2_SB_S8_PKT4_PKT5_S6_PT6_21rocsparse_index_base_b
; %bb.0:
	s_clause 0x2
	s_load_dwordx2 s[18:19], s[4:5], 0x58
	s_load_dwordx2 s[16:17], s[4:5], 0x8
	;; [unrolled: 1-line block ×3, first 2 shown]
	s_waitcnt lgkmcnt(0)
	s_bitcmp1_b32 s19, 0
	s_cselect_b32 s0, -1, 0
	s_and_b32 vcc_lo, exec_lo, s0
	s_xor_b32 s0, s0, -1
	s_cbranch_vccnz .LBB108_2
; %bb.1:
	s_load_dword s16, s[16:17], 0x0
.LBB108_2:
	s_andn2_b32 vcc_lo, exec_lo, s0
	s_cbranch_vccnz .LBB108_4
; %bb.3:
	s_load_dword s2, s[2:3], 0x0
.LBB108_4:
	s_waitcnt lgkmcnt(0)
	v_cmp_neq_f32_e64 s0, s16, 0
	v_cmp_neq_f32_e64 s1, s2, 1.0
	s_mov_b32 s3, 0
	s_or_b32 s0, s0, s1
	s_andn2_b32 vcc_lo, exec_lo, s0
	s_cbranch_vccnz .LBB108_10
; %bb.5:
	s_clause 0x1
	s_load_dwordx2 s[8:9], s[4:5], 0x18
	s_load_dwordx2 s[0:1], s[4:5], 0x0
	v_lshrrev_b32_e32 v1, 5, v0
	v_lshl_or_b32 v4, s6, 2, v1
	s_waitcnt lgkmcnt(0)
	s_cmp_lg_u64 s[8:9], 0
	s_cbranch_scc0 .LBB108_11
; %bb.6:
	s_load_dword s3, s[4:5], 0x10
	s_mov_b32 s6, 0
                                        ; implicit-def: $vgpr1
	s_waitcnt lgkmcnt(0)
	v_cmp_gt_i32_e32 vcc_lo, s3, v4
	s_mov_b32 s3, 0
	s_and_saveexec_b32 s7, vcc_lo
	s_xor_b32 s7, exec_lo, s7
	s_cbranch_execz .LBB108_8
; %bb.7:
	v_ashrrev_i32_e32 v5, 31, v4
	s_mov_b32 s3, exec_lo
	v_lshlrev_b64 v[1:2], 2, v[4:5]
	v_add_co_u32 v1, vcc_lo, s8, v1
	v_add_co_ci_u32_e64 v2, null, s9, v2, vcc_lo
	global_load_dword v1, v[1:2], off
	s_waitcnt vmcnt(0)
	v_subrev_nc_u32_e32 v1, s18, v1
.LBB108_8:
	s_or_b32 exec_lo, exec_lo, s7
	s_and_b32 vcc_lo, exec_lo, s6
	s_cbranch_vccz .LBB108_12
.LBB108_9:
	v_cmp_gt_i32_e32 vcc_lo, s0, v4
	s_andn2_b32 s0, s3, exec_lo
	s_and_b32 s3, vcc_lo, exec_lo
	s_or_b32 s3, s0, s3
	s_and_saveexec_b32 s0, s3
	s_cbranch_execnz .LBB108_13
.LBB108_10:
	s_endpgm
.LBB108_11:
                                        ; implicit-def: $vgpr1
	s_cbranch_execnz .LBB108_9
.LBB108_12:
	v_mov_b32_e32 v4, v1
	s_and_saveexec_b32 s0, s3
	s_cbranch_execz .LBB108_10
.LBB108_13:
	s_load_dwordx8 s[8:15], s[4:5], 0x20
	v_ashrrev_i32_e32 v5, 31, v4
	v_and_b32_e32 v9, 31, v0
	s_load_dwordx2 s[6:7], s[4:5], 0x40
	v_lshlrev_b64 v[1:2], 2, v[4:5]
	s_waitcnt lgkmcnt(0)
	v_add_co_u32 v5, vcc_lo, s8, v1
	v_add_co_ci_u32_e64 v6, null, s9, v2, vcc_lo
	v_add_co_u32 v1, vcc_lo, s10, v1
	v_add_co_ci_u32_e64 v2, null, s11, v2, vcc_lo
	global_load_dword v15, v[5:6], off
	v_add_co_u32 v3, vcc_lo, v5, 4
	v_add_co_ci_u32_e64 v5, null, 0, v6, vcc_lo
	s_cmp_eq_u64 s[10:11], 0
	s_cselect_b32 vcc_lo, -1, 0
	s_cmp_eq_u32 s1, 1
	v_cndmask_b32_e32 v2, v2, v5, vcc_lo
	v_cndmask_b32_e32 v1, v1, v3, vcc_lo
	global_load_dword v5, v[1:2], off
	s_waitcnt vmcnt(1)
	v_subrev_nc_u32_e32 v0, s18, v15
	v_add_nc_u32_e32 v0, v0, v9
	v_ashrrev_i32_e32 v1, 31, v0
	s_waitcnt vmcnt(0)
	v_subrev_nc_u32_e32 v14, s18, v5
	v_lshlrev_b64 v[2:3], 5, v[0:1]
	v_cmp_lt_i32_e64 s0, v0, v14
	v_add_co_u32 v2, vcc_lo, s14, v2
	v_add_co_ci_u32_e64 v3, null, s15, v3, vcc_lo
	s_cbranch_scc1 .LBB108_25
; %bb.14:
	v_mov_b32_e32 v10, 0
	v_mov_b32_e32 v12, 0
	;; [unrolled: 1-line block ×4, first 2 shown]
	s_and_saveexec_b32 s1, s0
	s_cbranch_execz .LBB108_24
; %bb.15:
	v_add_nc_u32_e32 v1, v15, v9
	v_not_b32_e32 v5, v15
	v_mov_b32_e32 v8, v3
	v_mov_b32_e32 v11, 0
	;; [unrolled: 1-line block ×3, first 2 shown]
	v_subrev_nc_u32_e32 v1, s18, v1
	v_mov_b32_e32 v12, 0
	v_mov_b32_e32 v10, 0
	;; [unrolled: 1-line block ×3, first 2 shown]
	s_mov_b32 s3, exec_lo
	v_add_nc_u32_e32 v1, 32, v1
	v_max_i32_e32 v1, v1, v14
	v_add3_u32 v1, s18, v1, v5
	v_mov_b32_e32 v5, v0
	v_sub_nc_u32_e32 v1, v1, v9
	v_and_b32_e32 v6, 0x60, v1
	v_cmpx_ne_u32_e32 0x60, v6
	s_cbranch_execz .LBB108_19
; %bb.16:
	v_lshrrev_b32_e32 v5, 5, v1
	v_mov_b32_e32 v8, v3
	v_mov_b32_e32 v10, 0
	;; [unrolled: 1-line block ×4, first 2 shown]
	v_add_nc_u32_e32 v5, 1, v5
	v_mov_b32_e32 v13, 0
	v_mov_b32_e32 v11, 0
	s_mov_b32 s8, 0
	v_and_b32_e32 v6, 3, v5
	v_mov_b32_e32 v5, v0
	v_sub_nc_u32_e32 v16, 0, v6
.LBB108_17:                             ; =>This Inner Loop Header: Depth=1
	v_ashrrev_i32_e32 v6, 31, v5
	v_add_co_u32 v16, s9, v16, 1
	s_or_b32 s8, s9, s8
	v_lshlrev_b64 v[17:18], 2, v[5:6]
	v_add_nc_u32_e32 v5, 32, v5
	v_add_co_u32 v17, vcc_lo, s12, v17
	v_add_co_ci_u32_e64 v18, null, s13, v18, vcc_lo
	global_load_dword v6, v[17:18], off
	global_load_dwordx4 v[17:20], v[7:8], off
	s_waitcnt vmcnt(1)
	v_subrev_nc_u32_e32 v6, s18, v6
	s_waitcnt vmcnt(0)
	v_lshlrev_b32_e32 v28, 16, v19
	v_and_b32_e32 v19, 0xffff0000, v19
	v_lshlrev_b32_e32 v27, 16, v18
	v_lshlrev_b32_e32 v29, 16, v20
	;; [unrolled: 1-line block ×4, first 2 shown]
	v_and_b32_e32 v17, 0xffff0000, v17
	v_and_b32_e32 v18, 0xffff0000, v18
	;; [unrolled: 1-line block ×3, first 2 shown]
	v_ashrrev_i32_e32 v22, 31, v21
	v_lshlrev_b64 v[21:22], 1, v[21:22]
	v_add_co_u32 v25, vcc_lo, s6, v21
	v_add_co_ci_u32_e64 v26, null, s7, v22, vcc_lo
	global_load_dwordx4 v[21:24], v[7:8], off offset:16
	global_load_dwordx2 v[25:26], v[25:26], off
	v_add_co_u32 v7, vcc_lo, 0x400, v7
	v_add_co_ci_u32_e64 v8, null, 0, v8, vcc_lo
	s_waitcnt vmcnt(1)
	v_lshlrev_b32_e32 v30, 16, v21
	v_lshlrev_b32_e32 v32, 16, v23
	s_waitcnt vmcnt(0)
	v_lshlrev_b32_e32 v34, 16, v25
	v_and_b32_e32 v21, 0xffff0000, v21
	v_and_b32_e32 v23, 0xffff0000, v23
	;; [unrolled: 1-line block ×3, first 2 shown]
	v_lshlrev_b32_e32 v31, 16, v22
	v_fmac_f32_e32 v11, v6, v34
	v_fmac_f32_e32 v13, v28, v34
	;; [unrolled: 1-line block ×4, first 2 shown]
	v_lshlrev_b32_e32 v33, 16, v24
	v_lshlrev_b32_e32 v6, 16, v26
	v_fmac_f32_e32 v11, v17, v25
	v_fmac_f32_e32 v13, v19, v25
	;; [unrolled: 1-line block ×4, first 2 shown]
	v_and_b32_e32 v22, 0xffff0000, v22
	v_and_b32_e32 v24, 0xffff0000, v24
	;; [unrolled: 1-line block ×3, first 2 shown]
	v_fmac_f32_e32 v11, v27, v6
	v_fmac_f32_e32 v13, v29, v6
	;; [unrolled: 1-line block ×8, first 2 shown]
	s_andn2_b32 exec_lo, exec_lo, s8
	s_cbranch_execnz .LBB108_17
; %bb.18:
	s_or_b32 exec_lo, exec_lo, s8
.LBB108_19:
	s_or_b32 exec_lo, exec_lo, s3
	s_mov_b32 s3, exec_lo
	v_cmpx_lt_u32_e32 0x5f, v1
	s_cbranch_execz .LBB108_23
; %bb.20:
	s_mov_b32 s8, 0
.LBB108_21:                             ; =>This Inner Loop Header: Depth=1
	v_ashrrev_i32_e32 v6, 31, v5
	v_lshlrev_b64 v[16:17], 2, v[5:6]
	v_add_nc_u32_e32 v5, 0x80, v5
	v_add_co_u32 v16, vcc_lo, s12, v16
	v_add_co_ci_u32_e64 v17, null, s13, v17, vcc_lo
	v_add_co_u32 v44, vcc_lo, 0x800, v7
	v_add_co_ci_u32_e64 v45, null, 0, v8, vcc_lo
	s_clause 0x3
	global_load_dword v1, v[16:17], off
	global_load_dword v6, v[16:17], off offset:128
	global_load_dword v48, v[16:17], off offset:256
	;; [unrolled: 1-line block ×3, first 2 shown]
	s_clause 0x7
	global_load_dwordx4 v[16:19], v[7:8], off
	global_load_dwordx4 v[20:23], v[7:8], off offset:16
	global_load_dwordx4 v[24:27], v[7:8], off offset:1024
	;; [unrolled: 1-line block ×3, first 2 shown]
	global_load_dwordx4 v[32:35], v[44:45], off
	global_load_dwordx4 v[36:39], v[44:45], off offset:16
	global_load_dwordx4 v[40:43], v[44:45], off offset:1024
	;; [unrolled: 1-line block ×3, first 2 shown]
	s_waitcnt vmcnt(11)
	v_subrev_nc_u32_e32 v1, s18, v1
	s_waitcnt vmcnt(10)
	v_subrev_nc_u32_e32 v6, s18, v6
	;; [unrolled: 2-line block ×4, first 2 shown]
	s_waitcnt vmcnt(7)
	v_lshlrev_b32_e32 v56, 16, v18
	v_lshlrev_b32_e32 v48, 2, v1
	;; [unrolled: 1-line block ×6, first 2 shown]
	v_ashrrev_i32_e32 v49, 31, v48
	v_ashrrev_i32_e32 v51, 31, v50
	;; [unrolled: 1-line block ×4, first 2 shown]
	s_waitcnt vmcnt(6)
	v_lshlrev_b32_e32 v58, 16, v20
	v_lshlrev_b64 v[48:49], 1, v[48:49]
	v_lshlrev_b64 v[50:51], 1, v[50:51]
	;; [unrolled: 1-line block ×4, first 2 shown]
	v_lshlrev_b32_e32 v60, 16, v22
	v_and_b32_e32 v6, 0xffff0000, v16
	v_add_co_u32 v48, vcc_lo, s6, v48
	v_add_co_ci_u32_e64 v49, null, s7, v49, vcc_lo
	v_add_co_u32 v50, vcc_lo, s6, v50
	v_add_co_ci_u32_e64 v51, null, s7, v51, vcc_lo
	global_load_dwordx2 v[48:49], v[48:49], off
	v_add_co_u32 v52, vcc_lo, s6, v52
	global_load_dwordx2 v[50:51], v[50:51], off
	v_add_co_ci_u32_e64 v53, null, s7, v53, vcc_lo
	v_add_co_u32 v54, vcc_lo, s6, v54
	v_add_co_ci_u32_e64 v55, null, s7, v55, vcc_lo
	global_load_dwordx2 v[52:53], v[52:53], off
	v_and_b32_e32 v18, 0xffff0000, v18
	v_and_b32_e32 v20, 0xffff0000, v20
	global_load_dwordx2 v[54:55], v[54:55], off
	v_and_b32_e32 v22, 0xffff0000, v22
	v_lshlrev_b32_e32 v16, 16, v17
	v_lshlrev_b32_e32 v57, 16, v19
	v_lshlrev_b32_e32 v59, 16, v21
	v_lshlrev_b32_e32 v61, 16, v23
	v_and_b32_e32 v17, 0xffff0000, v17
	v_and_b32_e32 v19, 0xffff0000, v19
	v_and_b32_e32 v21, 0xffff0000, v21
	v_and_b32_e32 v23, 0xffff0000, v23
	s_waitcnt vmcnt(9)
	v_lshlrev_b32_e32 v62, 16, v24
	v_lshlrev_b32_e32 v64, 16, v26
	s_waitcnt vmcnt(8)
	v_lshlrev_b32_e32 v66, 16, v28
	v_lshlrev_b32_e32 v68, 16, v30
	v_and_b32_e32 v24, 0xffff0000, v24
	v_and_b32_e32 v26, 0xffff0000, v26
	v_and_b32_e32 v28, 0xffff0000, v28
	v_and_b32_e32 v30, 0xffff0000, v30
	v_lshlrev_b32_e32 v63, 16, v25
	v_lshlrev_b32_e32 v65, 16, v27
	v_lshlrev_b32_e32 v67, 16, v29
	v_lshlrev_b32_e32 v69, 16, v31
	v_and_b32_e32 v25, 0xffff0000, v25
	v_and_b32_e32 v27, 0xffff0000, v27
	v_and_b32_e32 v29, 0xffff0000, v29
	v_and_b32_e32 v31, 0xffff0000, v31
	s_waitcnt vmcnt(7)
	v_lshlrev_b32_e32 v70, 16, v32
	v_lshlrev_b32_e32 v72, 16, v34
	s_waitcnt vmcnt(6)
	v_lshlrev_b32_e32 v74, 16, v36
	v_lshlrev_b32_e32 v76, 16, v38
	v_and_b32_e32 v32, 0xffff0000, v32
	v_and_b32_e32 v34, 0xffff0000, v34
	v_and_b32_e32 v36, 0xffff0000, v36
	;; [unrolled: 18-line block ×3, first 2 shown]
	v_and_b32_e32 v46, 0xffff0000, v46
	v_lshlrev_b32_e32 v79, 16, v41
	v_lshlrev_b32_e32 v81, 16, v43
	;; [unrolled: 1-line block ×4, first 2 shown]
	v_and_b32_e32 v41, 0xffff0000, v41
	v_and_b32_e32 v43, 0xffff0000, v43
	v_and_b32_e32 v45, 0xffff0000, v45
	v_and_b32_e32 v47, 0xffff0000, v47
	v_add_co_u32 v7, vcc_lo, 0x1000, v7
	v_add_co_ci_u32_e64 v8, null, 0, v8, vcc_lo
	v_cmp_ge_i32_e32 vcc_lo, v5, v14
	s_or_b32 s8, vcc_lo, s8
	s_waitcnt vmcnt(3)
	v_lshlrev_b32_e32 v86, 16, v48
	v_and_b32_e32 v48, 0xffff0000, v48
	v_fmac_f32_e32 v11, v1, v86
	v_fmac_f32_e32 v13, v56, v86
	v_fmac_f32_e32 v12, v58, v86
	v_fmac_f32_e32 v10, v60, v86
	v_lshlrev_b32_e32 v1, 16, v49
	v_fmac_f32_e32 v11, v6, v48
	v_fmac_f32_e32 v13, v18, v48
	v_fmac_f32_e32 v12, v20, v48
	v_fmac_f32_e32 v10, v22, v48
	v_and_b32_e32 v6, 0xffff0000, v49
	v_fmac_f32_e32 v11, v16, v1
	v_fmac_f32_e32 v13, v57, v1
	v_fmac_f32_e32 v12, v59, v1
	v_fmac_f32_e32 v10, v61, v1
	s_waitcnt vmcnt(2)
	v_lshlrev_b32_e32 v1, 16, v50
	v_fmac_f32_e32 v11, v17, v6
	v_fmac_f32_e32 v13, v19, v6
	v_fmac_f32_e32 v12, v21, v6
	v_fmac_f32_e32 v10, v23, v6
	v_and_b32_e32 v6, 0xffff0000, v50
	v_fmac_f32_e32 v11, v62, v1
	v_fmac_f32_e32 v13, v64, v1
	v_fmac_f32_e32 v12, v66, v1
	v_fmac_f32_e32 v10, v68, v1
	v_lshlrev_b32_e32 v1, 16, v51
	v_fmac_f32_e32 v11, v24, v6
	v_fmac_f32_e32 v13, v26, v6
	v_fmac_f32_e32 v12, v28, v6
	v_fmac_f32_e32 v10, v30, v6
	v_and_b32_e32 v6, 0xffff0000, v51
	v_fmac_f32_e32 v11, v63, v1
	v_fmac_f32_e32 v13, v65, v1
	v_fmac_f32_e32 v12, v67, v1
	v_fmac_f32_e32 v10, v69, v1
	s_waitcnt vmcnt(1)
	v_lshlrev_b32_e32 v1, 16, v52
	v_fmac_f32_e32 v11, v25, v6
	v_fmac_f32_e32 v13, v27, v6
	v_fmac_f32_e32 v12, v29, v6
	v_fmac_f32_e32 v10, v31, v6
	;; [unrolled: 21-line block ×3, first 2 shown]
	v_and_b32_e32 v6, 0xffff0000, v54
	v_fmac_f32_e32 v11, v78, v1
	v_fmac_f32_e32 v13, v80, v1
	v_fmac_f32_e32 v12, v82, v1
	v_fmac_f32_e32 v10, v84, v1
	v_lshlrev_b32_e32 v1, 16, v55
	v_fmac_f32_e32 v11, v40, v6
	v_fmac_f32_e32 v13, v42, v6
	;; [unrolled: 1-line block ×4, first 2 shown]
	v_and_b32_e32 v6, 0xffff0000, v55
	v_fmac_f32_e32 v11, v79, v1
	v_fmac_f32_e32 v13, v81, v1
	;; [unrolled: 1-line block ×8, first 2 shown]
	s_andn2_b32 exec_lo, exec_lo, s8
	s_cbranch_execnz .LBB108_21
; %bb.22:
	s_or_b32 exec_lo, exec_lo, s8
.LBB108_23:
	s_or_b32 exec_lo, exec_lo, s3
.LBB108_24:
	s_or_b32 exec_lo, exec_lo, s1
	s_cbranch_execz .LBB108_26
	s_branch .LBB108_37
.LBB108_25:
                                        ; implicit-def: $vgpr10
                                        ; implicit-def: $vgpr12
                                        ; implicit-def: $vgpr13
                                        ; implicit-def: $vgpr11
.LBB108_26:
	v_mov_b32_e32 v10, 0
	v_mov_b32_e32 v12, 0
	;; [unrolled: 1-line block ×4, first 2 shown]
	s_and_saveexec_b32 s1, s0
	s_cbranch_execz .LBB108_36
; %bb.27:
	v_add_nc_u32_e32 v1, v15, v9
	v_not_b32_e32 v5, v15
	v_mov_b32_e32 v11, 0
	v_mov_b32_e32 v13, 0
	;; [unrolled: 1-line block ×3, first 2 shown]
	v_subrev_nc_u32_e32 v1, s18, v1
	v_mov_b32_e32 v10, 0
	s_mov_b32 s0, exec_lo
	v_add_nc_u32_e32 v1, 32, v1
	v_max_i32_e32 v1, v1, v14
	v_add3_u32 v1, s18, v1, v5
	v_sub_nc_u32_e32 v5, v1, v9
	v_and_b32_e32 v1, 0x60, v5
	v_cmpx_ne_u32_e32 0x60, v1
	s_cbranch_execz .LBB108_31
; %bb.28:
	v_lshrrev_b32_e32 v1, 5, v5
	v_mov_b32_e32 v10, 0
	v_mov_b32_e32 v12, 0
	;; [unrolled: 1-line block ×4, first 2 shown]
	v_add_nc_u32_e32 v1, 1, v1
	s_mov_b32 s3, 0
	v_and_b32_e32 v1, 3, v1
	v_sub_nc_u32_e32 v6, 0, v1
.LBB108_29:                             ; =>This Inner Loop Header: Depth=1
	v_ashrrev_i32_e32 v1, 31, v0
	v_add_co_u32 v6, s8, v6, 1
	s_or_b32 s3, s8, s3
	v_lshlrev_b64 v[7:8], 2, v[0:1]
	v_add_nc_u32_e32 v0, 32, v0
	v_add_co_u32 v7, vcc_lo, s12, v7
	v_add_co_ci_u32_e64 v8, null, s13, v8, vcc_lo
	global_load_dword v1, v[7:8], off
	global_load_dwordx4 v[15:18], v[2:3], off
	s_waitcnt vmcnt(1)
	v_subrev_nc_u32_e32 v1, s18, v1
	s_waitcnt vmcnt(0)
	v_lshlrev_b32_e32 v23, 16, v16
	v_and_b32_e32 v16, 0xffff0000, v16
	v_lshlrev_b32_e32 v24, 16, v17
	v_and_b32_e32 v17, 0xffff0000, v17
	v_lshlrev_b32_e32 v7, 2, v1
	v_lshlrev_b32_e32 v1, 16, v15
	v_and_b32_e32 v15, 0xffff0000, v15
	v_lshlrev_b32_e32 v25, 16, v18
	v_and_b32_e32 v18, 0xffff0000, v18
	v_ashrrev_i32_e32 v8, 31, v7
	v_lshlrev_b64 v[7:8], 1, v[7:8]
	v_add_co_u32 v7, vcc_lo, s6, v7
	v_add_co_ci_u32_e64 v8, null, s7, v8, vcc_lo
	global_load_dwordx2 v[7:8], v[7:8], off
	global_load_dwordx4 v[19:22], v[2:3], off offset:16
	v_add_co_u32 v2, vcc_lo, 0x400, v2
	v_add_co_ci_u32_e64 v3, null, 0, v3, vcc_lo
	s_waitcnt vmcnt(1)
	v_lshlrev_b32_e32 v30, 16, v7
	v_and_b32_e32 v7, 0xffff0000, v7
	s_waitcnt vmcnt(0)
	v_lshlrev_b32_e32 v26, 16, v19
	v_and_b32_e32 v19, 0xffff0000, v19
	v_lshlrev_b32_e32 v27, 16, v20
	v_fmac_f32_e32 v11, v1, v30
	v_fmac_f32_e32 v13, v15, v30
	;; [unrolled: 1-line block ×4, first 2 shown]
	v_and_b32_e32 v20, 0xffff0000, v20
	v_lshlrev_b32_e32 v1, 16, v8
	v_fmac_f32_e32 v11, v24, v7
	v_fmac_f32_e32 v13, v17, v7
	;; [unrolled: 1-line block ×4, first 2 shown]
	v_lshlrev_b32_e32 v28, 16, v21
	v_and_b32_e32 v21, 0xffff0000, v21
	v_lshlrev_b32_e32 v29, 16, v22
	v_and_b32_e32 v22, 0xffff0000, v22
	v_and_b32_e32 v7, 0xffff0000, v8
	v_fmac_f32_e32 v11, v26, v1
	v_fmac_f32_e32 v13, v19, v1
	;; [unrolled: 1-line block ×8, first 2 shown]
	s_andn2_b32 exec_lo, exec_lo, s3
	s_cbranch_execnz .LBB108_29
; %bb.30:
	s_or_b32 exec_lo, exec_lo, s3
.LBB108_31:
	s_or_b32 exec_lo, exec_lo, s0
	s_mov_b32 s0, exec_lo
	v_cmpx_lt_u32_e32 0x5f, v5
	s_cbranch_execz .LBB108_35
; %bb.32:
	s_mov_b32 s3, 0
.LBB108_33:                             ; =>This Inner Loop Header: Depth=1
	v_ashrrev_i32_e32 v1, 31, v0
	v_lshlrev_b64 v[5:6], 2, v[0:1]
	v_add_nc_u32_e32 v0, 0x80, v0
	v_add_co_u32 v5, vcc_lo, s12, v5
	v_add_co_ci_u32_e64 v6, null, s13, v6, vcc_lo
	v_add_co_u32 v39, vcc_lo, 0x800, v2
	v_add_co_ci_u32_e64 v40, null, 0, v3, vcc_lo
	s_clause 0x3
	global_load_dword v1, v[5:6], off
	global_load_dword v41, v[5:6], off offset:128
	global_load_dword v42, v[5:6], off offset:256
	;; [unrolled: 1-line block ×3, first 2 shown]
	s_clause 0x6
	global_load_dwordx4 v[5:8], v[2:3], off
	global_load_dwordx4 v[15:18], v[2:3], off offset:16
	global_load_dwordx4 v[19:22], v[2:3], off offset:1024
	global_load_dwordx4 v[23:26], v[2:3], off offset:1040
	global_load_dwordx4 v[27:30], v[39:40], off
	global_load_dwordx4 v[31:34], v[39:40], off offset:16
	global_load_dwordx4 v[35:38], v[39:40], off offset:1024
	s_waitcnt vmcnt(5)
	v_lshlrev_b32_e32 v54, 16, v15
	v_subrev_nc_u32_e32 v1, s18, v1
	v_subrev_nc_u32_e32 v44, s18, v41
	v_subrev_nc_u32_e32 v42, s18, v42
	v_subrev_nc_u32_e32 v46, s18, v43
	v_lshlrev_b32_e32 v51, 16, v6
	v_lshlrev_b32_e32 v41, 2, v1
	;; [unrolled: 1-line block ×6, first 2 shown]
	v_ashrrev_i32_e32 v42, 31, v41
	v_ashrrev_i32_e32 v44, 31, v43
	;; [unrolled: 1-line block ×4, first 2 shown]
	v_and_b32_e32 v5, 0xffff0000, v5
	v_lshlrev_b64 v[41:42], 1, v[41:42]
	v_lshlrev_b64 v[43:44], 1, v[43:44]
	;; [unrolled: 1-line block ×4, first 2 shown]
	v_and_b32_e32 v6, 0xffff0000, v6
	v_lshlrev_b32_e32 v52, 16, v7
	v_add_co_u32 v41, vcc_lo, s6, v41
	v_add_co_ci_u32_e64 v42, null, s7, v42, vcc_lo
	v_add_co_u32 v43, vcc_lo, s6, v43
	v_add_co_ci_u32_e64 v44, null, s7, v44, vcc_lo
	;; [unrolled: 2-line block ×4, first 2 shown]
	s_clause 0x3
	global_load_dwordx2 v[49:50], v[41:42], off
	global_load_dwordx2 v[43:44], v[43:44], off
	;; [unrolled: 1-line block ×4, first 2 shown]
	global_load_dwordx4 v[39:42], v[39:40], off offset:1040
	v_and_b32_e32 v7, 0xffff0000, v7
	v_lshlrev_b32_e32 v53, 16, v8
	v_and_b32_e32 v8, 0xffff0000, v8
	v_and_b32_e32 v15, 0xffff0000, v15
	v_lshlrev_b32_e32 v55, 16, v16
	v_and_b32_e32 v16, 0xffff0000, v16
	v_lshlrev_b32_e32 v56, 16, v17
	v_and_b32_e32 v17, 0xffff0000, v17
	v_lshlrev_b32_e32 v57, 16, v18
	v_and_b32_e32 v18, 0xffff0000, v18
	s_waitcnt vmcnt(9)
	v_lshlrev_b32_e32 v58, 16, v19
	v_and_b32_e32 v19, 0xffff0000, v19
	v_lshlrev_b32_e32 v59, 16, v20
	v_and_b32_e32 v20, 0xffff0000, v20
	v_lshlrev_b32_e32 v60, 16, v21
	v_and_b32_e32 v21, 0xffff0000, v21
	v_lshlrev_b32_e32 v61, 16, v22
	v_and_b32_e32 v22, 0xffff0000, v22
	s_waitcnt vmcnt(8)
	v_lshlrev_b32_e32 v62, 16, v23
	;; [unrolled: 9-line block ×5, first 2 shown]
	v_and_b32_e32 v35, 0xffff0000, v35
	v_lshlrev_b32_e32 v75, 16, v36
	v_and_b32_e32 v36, 0xffff0000, v36
	v_lshlrev_b32_e32 v76, 16, v37
	;; [unrolled: 2-line block ×3, first 2 shown]
	v_and_b32_e32 v38, 0xffff0000, v38
	v_add_co_u32 v2, vcc_lo, 0x1000, v2
	v_add_co_ci_u32_e64 v3, null, 0, v3, vcc_lo
	v_cmp_ge_i32_e32 vcc_lo, v0, v14
	s_or_b32 s3, vcc_lo, s3
	s_waitcnt vmcnt(4)
	v_lshlrev_b32_e32 v82, 16, v49
	v_and_b32_e32 v49, 0xffff0000, v49
	s_waitcnt vmcnt(0)
	v_lshlrev_b32_e32 v78, 16, v39
	v_fmac_f32_e32 v11, v1, v82
	v_fmac_f32_e32 v13, v5, v82
	v_fmac_f32_e32 v12, v51, v82
	v_fmac_f32_e32 v10, v6, v82
	v_lshlrev_b32_e32 v1, 16, v50
	v_fmac_f32_e32 v11, v52, v49
	v_fmac_f32_e32 v13, v7, v49
	v_fmac_f32_e32 v12, v53, v49
	v_fmac_f32_e32 v10, v8, v49
	v_and_b32_e32 v5, 0xffff0000, v50
	v_fmac_f32_e32 v11, v54, v1
	v_fmac_f32_e32 v13, v15, v1
	v_fmac_f32_e32 v12, v55, v1
	v_fmac_f32_e32 v10, v16, v1
	v_lshlrev_b32_e32 v1, 16, v43
	v_fmac_f32_e32 v11, v56, v5
	v_fmac_f32_e32 v13, v17, v5
	v_fmac_f32_e32 v12, v57, v5
	v_fmac_f32_e32 v10, v18, v5
	v_and_b32_e32 v5, 0xffff0000, v43
	v_fmac_f32_e32 v11, v58, v1
	v_fmac_f32_e32 v13, v19, v1
	v_fmac_f32_e32 v12, v59, v1
	v_fmac_f32_e32 v10, v20, v1
	v_lshlrev_b32_e32 v1, 16, v44
	v_fmac_f32_e32 v11, v60, v5
	v_fmac_f32_e32 v13, v21, v5
	v_fmac_f32_e32 v12, v61, v5
	v_fmac_f32_e32 v10, v22, v5
	v_and_b32_e32 v5, 0xffff0000, v44
	v_fmac_f32_e32 v11, v62, v1
	v_fmac_f32_e32 v13, v23, v1
	v_fmac_f32_e32 v12, v63, v1
	v_fmac_f32_e32 v10, v24, v1
	v_lshlrev_b32_e32 v1, 16, v45
	v_fmac_f32_e32 v11, v64, v5
	v_fmac_f32_e32 v13, v25, v5
	v_fmac_f32_e32 v12, v65, v5
	v_fmac_f32_e32 v10, v26, v5
	v_and_b32_e32 v5, 0xffff0000, v45
	v_fmac_f32_e32 v11, v66, v1
	v_fmac_f32_e32 v13, v27, v1
	v_fmac_f32_e32 v12, v67, v1
	v_fmac_f32_e32 v10, v28, v1
	v_lshlrev_b32_e32 v1, 16, v46
	v_fmac_f32_e32 v11, v68, v5
	v_fmac_f32_e32 v13, v29, v5
	v_fmac_f32_e32 v12, v69, v5
	v_fmac_f32_e32 v10, v30, v5
	v_and_b32_e32 v5, 0xffff0000, v46
	v_fmac_f32_e32 v11, v70, v1
	v_fmac_f32_e32 v13, v31, v1
	v_fmac_f32_e32 v12, v71, v1
	v_fmac_f32_e32 v10, v32, v1
	v_lshlrev_b32_e32 v1, 16, v47
	v_fmac_f32_e32 v11, v72, v5
	v_fmac_f32_e32 v13, v33, v5
	v_fmac_f32_e32 v12, v73, v5
	v_fmac_f32_e32 v10, v34, v5
	v_and_b32_e32 v5, 0xffff0000, v47
	v_fmac_f32_e32 v11, v74, v1
	v_fmac_f32_e32 v13, v35, v1
	;; [unrolled: 1-line block ×4, first 2 shown]
	v_and_b32_e32 v39, 0xffff0000, v39
	v_lshlrev_b32_e32 v79, 16, v40
	v_and_b32_e32 v40, 0xffff0000, v40
	v_lshlrev_b32_e32 v1, 16, v48
	v_fmac_f32_e32 v11, v76, v5
	v_fmac_f32_e32 v13, v37, v5
	;; [unrolled: 1-line block ×4, first 2 shown]
	v_lshlrev_b32_e32 v80, 16, v41
	v_and_b32_e32 v41, 0xffff0000, v41
	v_lshlrev_b32_e32 v81, 16, v42
	v_and_b32_e32 v42, 0xffff0000, v42
	v_and_b32_e32 v5, 0xffff0000, v48
	v_fmac_f32_e32 v11, v78, v1
	v_fmac_f32_e32 v13, v39, v1
	;; [unrolled: 1-line block ×8, first 2 shown]
	s_andn2_b32 exec_lo, exec_lo, s3
	s_cbranch_execnz .LBB108_33
; %bb.34:
	s_or_b32 exec_lo, exec_lo, s3
.LBB108_35:
	s_or_b32 exec_lo, exec_lo, s0
.LBB108_36:
	s_or_b32 exec_lo, exec_lo, s1
.LBB108_37:
	v_mbcnt_lo_u32_b32 v0, -1, 0
	s_mov_b32 s3, -1
	v_xor_b32_e32 v1, 16, v0
	v_xor_b32_e32 v6, 8, v0
	v_cmp_gt_i32_e32 vcc_lo, 32, v1
	v_cndmask_b32_e32 v1, v0, v1, vcc_lo
	v_cmp_gt_i32_e32 vcc_lo, 32, v6
	v_lshlrev_b32_e32 v1, 2, v1
	v_cndmask_b32_e32 v6, v0, v6, vcc_lo
	ds_bpermute_b32 v2, v1, v11
	ds_bpermute_b32 v3, v1, v13
	;; [unrolled: 1-line block ×4, first 2 shown]
	v_lshlrev_b32_e32 v6, 2, v6
	s_waitcnt lgkmcnt(3)
	v_add_f32_e32 v2, v11, v2
	s_waitcnt lgkmcnt(2)
	v_add_f32_e32 v3, v13, v3
	;; [unrolled: 2-line block ×4, first 2 shown]
	v_xor_b32_e32 v11, 4, v0
	ds_bpermute_b32 v7, v6, v2
	ds_bpermute_b32 v8, v6, v3
	;; [unrolled: 1-line block ×4, first 2 shown]
	v_cmp_gt_i32_e32 vcc_lo, 32, v11
	v_cndmask_b32_e32 v11, v0, v11, vcc_lo
	v_lshlrev_b32_e32 v11, 2, v11
	s_waitcnt lgkmcnt(3)
	v_add_f32_e32 v2, v2, v7
	s_waitcnt lgkmcnt(2)
	v_add_f32_e32 v3, v3, v8
	;; [unrolled: 2-line block ×4, first 2 shown]
	ds_bpermute_b32 v6, v11, v2
	ds_bpermute_b32 v7, v11, v3
	;; [unrolled: 1-line block ×4, first 2 shown]
	v_xor_b32_e32 v11, 2, v0
	v_cmp_gt_i32_e32 vcc_lo, 32, v11
	v_cndmask_b32_e32 v11, v0, v11, vcc_lo
	v_lshlrev_b32_e32 v11, 2, v11
	s_waitcnt lgkmcnt(3)
	v_add_f32_e32 v2, v2, v6
	s_waitcnt lgkmcnt(2)
	v_add_f32_e32 v3, v3, v7
	;; [unrolled: 2-line block ×4, first 2 shown]
	ds_bpermute_b32 v1, v11, v2
	ds_bpermute_b32 v7, v11, v3
	;; [unrolled: 1-line block ×4, first 2 shown]
	v_xor_b32_e32 v11, 1, v0
	v_cmp_gt_i32_e32 vcc_lo, 32, v11
	v_cndmask_b32_e32 v0, v0, v11, vcc_lo
	v_cmp_eq_u32_e32 vcc_lo, 31, v9
	v_lshlrev_b32_e32 v11, 2, v0
	s_waitcnt lgkmcnt(3)
	v_add_f32_e32 v0, v2, v1
	s_waitcnt lgkmcnt(2)
	v_add_f32_e32 v1, v3, v7
	;; [unrolled: 2-line block ×4, first 2 shown]
	ds_bpermute_b32 v5, v11, v0
	ds_bpermute_b32 v6, v11, v1
	;; [unrolled: 1-line block ×4, first 2 shown]
	s_and_b32 exec_lo, exec_lo, vcc_lo
	s_cbranch_execz .LBB108_10
; %bb.38:
	s_load_dwordx2 s[0:1], s[4:5], 0x50
	s_waitcnt lgkmcnt(0)
	v_add_f32_e32 v0, v0, v5
	v_add_f32_e32 v1, v1, v6
	v_add_f32_e32 v2, v2, v7
	v_add_f32_e32 v3, v3, v8
	v_cmp_eq_f32_e64 s4, s2, 0
	v_mul_f32_e32 v0, s16, v0
	v_mul_f32_e32 v1, s16, v1
	;; [unrolled: 1-line block ×4, first 2 shown]
	v_lshlrev_b32_e32 v4, 2, v4
	s_and_b32 vcc_lo, exec_lo, s4
	s_cbranch_vccz .LBB108_40
; %bb.39:
	v_ashrrev_i32_e32 v5, 31, v4
	s_mov_b32 s3, 0
	v_lshlrev_b64 v[5:6], 2, v[4:5]
	v_add_co_u32 v5, vcc_lo, s0, v5
	v_add_co_ci_u32_e64 v6, null, s1, v6, vcc_lo
	global_store_dwordx4 v[5:6], v[0:3], off
.LBB108_40:
	s_andn2_b32 vcc_lo, exec_lo, s3
	s_cbranch_vccnz .LBB108_10
; %bb.41:
	v_ashrrev_i32_e32 v5, 31, v4
	v_lshlrev_b64 v[4:5], 2, v[4:5]
	v_add_co_u32 v8, vcc_lo, s0, v4
	v_add_co_ci_u32_e64 v9, null, s1, v5, vcc_lo
	global_load_dwordx4 v[4:7], v[8:9], off
	s_waitcnt vmcnt(0)
	v_fmac_f32_e32 v0, s2, v4
	v_fmac_f32_e32 v1, s2, v5
	;; [unrolled: 1-line block ×4, first 2 shown]
	global_store_dwordx4 v[8:9], v[0:3], off
	s_endpgm
	.section	.rodata,"a",@progbits
	.p2align	6, 0x0
	.amdhsa_kernel _ZN9rocsparseL18bsrxmvn_4x4_kernelILj128ELj32Efii18rocsparse_bfloat16S1_fEEvT3_20rocsparse_direction_NS_24const_host_device_scalarIT1_EES2_PKS2_PKT2_SB_S8_PKT4_PKT5_S6_PT6_21rocsparse_index_base_b
		.amdhsa_group_segment_fixed_size 0
		.amdhsa_private_segment_fixed_size 0
		.amdhsa_kernarg_size 96
		.amdhsa_user_sgpr_count 6
		.amdhsa_user_sgpr_private_segment_buffer 1
		.amdhsa_user_sgpr_dispatch_ptr 0
		.amdhsa_user_sgpr_queue_ptr 0
		.amdhsa_user_sgpr_kernarg_segment_ptr 1
		.amdhsa_user_sgpr_dispatch_id 0
		.amdhsa_user_sgpr_flat_scratch_init 0
		.amdhsa_user_sgpr_private_segment_size 0
		.amdhsa_wavefront_size32 1
		.amdhsa_uses_dynamic_stack 0
		.amdhsa_system_sgpr_private_segment_wavefront_offset 0
		.amdhsa_system_sgpr_workgroup_id_x 1
		.amdhsa_system_sgpr_workgroup_id_y 0
		.amdhsa_system_sgpr_workgroup_id_z 0
		.amdhsa_system_sgpr_workgroup_info 0
		.amdhsa_system_vgpr_workitem_id 0
		.amdhsa_next_free_vgpr 87
		.amdhsa_next_free_sgpr 20
		.amdhsa_reserve_vcc 1
		.amdhsa_reserve_flat_scratch 0
		.amdhsa_float_round_mode_32 0
		.amdhsa_float_round_mode_16_64 0
		.amdhsa_float_denorm_mode_32 3
		.amdhsa_float_denorm_mode_16_64 3
		.amdhsa_dx10_clamp 1
		.amdhsa_ieee_mode 1
		.amdhsa_fp16_overflow 0
		.amdhsa_workgroup_processor_mode 1
		.amdhsa_memory_ordered 1
		.amdhsa_forward_progress 1
		.amdhsa_shared_vgpr_count 0
		.amdhsa_exception_fp_ieee_invalid_op 0
		.amdhsa_exception_fp_denorm_src 0
		.amdhsa_exception_fp_ieee_div_zero 0
		.amdhsa_exception_fp_ieee_overflow 0
		.amdhsa_exception_fp_ieee_underflow 0
		.amdhsa_exception_fp_ieee_inexact 0
		.amdhsa_exception_int_div_zero 0
	.end_amdhsa_kernel
	.section	.text._ZN9rocsparseL18bsrxmvn_4x4_kernelILj128ELj32Efii18rocsparse_bfloat16S1_fEEvT3_20rocsparse_direction_NS_24const_host_device_scalarIT1_EES2_PKS2_PKT2_SB_S8_PKT4_PKT5_S6_PT6_21rocsparse_index_base_b,"axG",@progbits,_ZN9rocsparseL18bsrxmvn_4x4_kernelILj128ELj32Efii18rocsparse_bfloat16S1_fEEvT3_20rocsparse_direction_NS_24const_host_device_scalarIT1_EES2_PKS2_PKT2_SB_S8_PKT4_PKT5_S6_PT6_21rocsparse_index_base_b,comdat
.Lfunc_end108:
	.size	_ZN9rocsparseL18bsrxmvn_4x4_kernelILj128ELj32Efii18rocsparse_bfloat16S1_fEEvT3_20rocsparse_direction_NS_24const_host_device_scalarIT1_EES2_PKS2_PKT2_SB_S8_PKT4_PKT5_S6_PT6_21rocsparse_index_base_b, .Lfunc_end108-_ZN9rocsparseL18bsrxmvn_4x4_kernelILj128ELj32Efii18rocsparse_bfloat16S1_fEEvT3_20rocsparse_direction_NS_24const_host_device_scalarIT1_EES2_PKS2_PKT2_SB_S8_PKT4_PKT5_S6_PT6_21rocsparse_index_base_b
                                        ; -- End function
	.set _ZN9rocsparseL18bsrxmvn_4x4_kernelILj128ELj32Efii18rocsparse_bfloat16S1_fEEvT3_20rocsparse_direction_NS_24const_host_device_scalarIT1_EES2_PKS2_PKT2_SB_S8_PKT4_PKT5_S6_PT6_21rocsparse_index_base_b.num_vgpr, 87
	.set _ZN9rocsparseL18bsrxmvn_4x4_kernelILj128ELj32Efii18rocsparse_bfloat16S1_fEEvT3_20rocsparse_direction_NS_24const_host_device_scalarIT1_EES2_PKS2_PKT2_SB_S8_PKT4_PKT5_S6_PT6_21rocsparse_index_base_b.num_agpr, 0
	.set _ZN9rocsparseL18bsrxmvn_4x4_kernelILj128ELj32Efii18rocsparse_bfloat16S1_fEEvT3_20rocsparse_direction_NS_24const_host_device_scalarIT1_EES2_PKS2_PKT2_SB_S8_PKT4_PKT5_S6_PT6_21rocsparse_index_base_b.numbered_sgpr, 20
	.set _ZN9rocsparseL18bsrxmvn_4x4_kernelILj128ELj32Efii18rocsparse_bfloat16S1_fEEvT3_20rocsparse_direction_NS_24const_host_device_scalarIT1_EES2_PKS2_PKT2_SB_S8_PKT4_PKT5_S6_PT6_21rocsparse_index_base_b.num_named_barrier, 0
	.set _ZN9rocsparseL18bsrxmvn_4x4_kernelILj128ELj32Efii18rocsparse_bfloat16S1_fEEvT3_20rocsparse_direction_NS_24const_host_device_scalarIT1_EES2_PKS2_PKT2_SB_S8_PKT4_PKT5_S6_PT6_21rocsparse_index_base_b.private_seg_size, 0
	.set _ZN9rocsparseL18bsrxmvn_4x4_kernelILj128ELj32Efii18rocsparse_bfloat16S1_fEEvT3_20rocsparse_direction_NS_24const_host_device_scalarIT1_EES2_PKS2_PKT2_SB_S8_PKT4_PKT5_S6_PT6_21rocsparse_index_base_b.uses_vcc, 1
	.set _ZN9rocsparseL18bsrxmvn_4x4_kernelILj128ELj32Efii18rocsparse_bfloat16S1_fEEvT3_20rocsparse_direction_NS_24const_host_device_scalarIT1_EES2_PKS2_PKT2_SB_S8_PKT4_PKT5_S6_PT6_21rocsparse_index_base_b.uses_flat_scratch, 0
	.set _ZN9rocsparseL18bsrxmvn_4x4_kernelILj128ELj32Efii18rocsparse_bfloat16S1_fEEvT3_20rocsparse_direction_NS_24const_host_device_scalarIT1_EES2_PKS2_PKT2_SB_S8_PKT4_PKT5_S6_PT6_21rocsparse_index_base_b.has_dyn_sized_stack, 0
	.set _ZN9rocsparseL18bsrxmvn_4x4_kernelILj128ELj32Efii18rocsparse_bfloat16S1_fEEvT3_20rocsparse_direction_NS_24const_host_device_scalarIT1_EES2_PKS2_PKT2_SB_S8_PKT4_PKT5_S6_PT6_21rocsparse_index_base_b.has_recursion, 0
	.set _ZN9rocsparseL18bsrxmvn_4x4_kernelILj128ELj32Efii18rocsparse_bfloat16S1_fEEvT3_20rocsparse_direction_NS_24const_host_device_scalarIT1_EES2_PKS2_PKT2_SB_S8_PKT4_PKT5_S6_PT6_21rocsparse_index_base_b.has_indirect_call, 0
	.section	.AMDGPU.csdata,"",@progbits
; Kernel info:
; codeLenInByte = 4420
; TotalNumSgprs: 22
; NumVgprs: 87
; ScratchSize: 0
; MemoryBound: 0
; FloatMode: 240
; IeeeMode: 1
; LDSByteSize: 0 bytes/workgroup (compile time only)
; SGPRBlocks: 0
; VGPRBlocks: 10
; NumSGPRsForWavesPerEU: 22
; NumVGPRsForWavesPerEU: 87
; Occupancy: 10
; WaveLimiterHint : 1
; COMPUTE_PGM_RSRC2:SCRATCH_EN: 0
; COMPUTE_PGM_RSRC2:USER_SGPR: 6
; COMPUTE_PGM_RSRC2:TRAP_HANDLER: 0
; COMPUTE_PGM_RSRC2:TGID_X_EN: 1
; COMPUTE_PGM_RSRC2:TGID_Y_EN: 0
; COMPUTE_PGM_RSRC2:TGID_Z_EN: 0
; COMPUTE_PGM_RSRC2:TIDIG_COMP_CNT: 0
	.section	.text._ZN9rocsparseL18bsrxmvn_4x4_kernelILj128ELj64Efii18rocsparse_bfloat16S1_fEEvT3_20rocsparse_direction_NS_24const_host_device_scalarIT1_EES2_PKS2_PKT2_SB_S8_PKT4_PKT5_S6_PT6_21rocsparse_index_base_b,"axG",@progbits,_ZN9rocsparseL18bsrxmvn_4x4_kernelILj128ELj64Efii18rocsparse_bfloat16S1_fEEvT3_20rocsparse_direction_NS_24const_host_device_scalarIT1_EES2_PKS2_PKT2_SB_S8_PKT4_PKT5_S6_PT6_21rocsparse_index_base_b,comdat
	.globl	_ZN9rocsparseL18bsrxmvn_4x4_kernelILj128ELj64Efii18rocsparse_bfloat16S1_fEEvT3_20rocsparse_direction_NS_24const_host_device_scalarIT1_EES2_PKS2_PKT2_SB_S8_PKT4_PKT5_S6_PT6_21rocsparse_index_base_b ; -- Begin function _ZN9rocsparseL18bsrxmvn_4x4_kernelILj128ELj64Efii18rocsparse_bfloat16S1_fEEvT3_20rocsparse_direction_NS_24const_host_device_scalarIT1_EES2_PKS2_PKT2_SB_S8_PKT4_PKT5_S6_PT6_21rocsparse_index_base_b
	.p2align	8
	.type	_ZN9rocsparseL18bsrxmvn_4x4_kernelILj128ELj64Efii18rocsparse_bfloat16S1_fEEvT3_20rocsparse_direction_NS_24const_host_device_scalarIT1_EES2_PKS2_PKT2_SB_S8_PKT4_PKT5_S6_PT6_21rocsparse_index_base_b,@function
_ZN9rocsparseL18bsrxmvn_4x4_kernelILj128ELj64Efii18rocsparse_bfloat16S1_fEEvT3_20rocsparse_direction_NS_24const_host_device_scalarIT1_EES2_PKS2_PKT2_SB_S8_PKT4_PKT5_S6_PT6_21rocsparse_index_base_b: ; @_ZN9rocsparseL18bsrxmvn_4x4_kernelILj128ELj64Efii18rocsparse_bfloat16S1_fEEvT3_20rocsparse_direction_NS_24const_host_device_scalarIT1_EES2_PKS2_PKT2_SB_S8_PKT4_PKT5_S6_PT6_21rocsparse_index_base_b
; %bb.0:
	s_clause 0x2
	s_load_dwordx2 s[18:19], s[4:5], 0x58
	s_load_dwordx2 s[16:17], s[4:5], 0x8
	;; [unrolled: 1-line block ×3, first 2 shown]
	s_waitcnt lgkmcnt(0)
	s_bitcmp1_b32 s19, 0
	s_cselect_b32 s0, -1, 0
	s_and_b32 vcc_lo, exec_lo, s0
	s_xor_b32 s0, s0, -1
	s_cbranch_vccnz .LBB109_2
; %bb.1:
	s_load_dword s16, s[16:17], 0x0
.LBB109_2:
	s_andn2_b32 vcc_lo, exec_lo, s0
	s_cbranch_vccnz .LBB109_4
; %bb.3:
	s_load_dword s2, s[2:3], 0x0
.LBB109_4:
	s_waitcnt lgkmcnt(0)
	v_cmp_neq_f32_e64 s0, s16, 0
	v_cmp_neq_f32_e64 s1, s2, 1.0
	s_mov_b32 s3, 0
	s_or_b32 s0, s0, s1
	s_andn2_b32 vcc_lo, exec_lo, s0
	s_cbranch_vccnz .LBB109_10
; %bb.5:
	s_clause 0x1
	s_load_dwordx2 s[8:9], s[4:5], 0x18
	s_load_dwordx2 s[0:1], s[4:5], 0x0
	v_lshrrev_b32_e32 v1, 6, v0
	v_lshl_or_b32 v4, s6, 1, v1
	s_waitcnt lgkmcnt(0)
	s_cmp_lg_u64 s[8:9], 0
	s_cbranch_scc0 .LBB109_11
; %bb.6:
	s_load_dword s3, s[4:5], 0x10
	s_mov_b32 s6, 0
                                        ; implicit-def: $vgpr1
	s_waitcnt lgkmcnt(0)
	v_cmp_gt_i32_e32 vcc_lo, s3, v4
	s_mov_b32 s3, 0
	s_and_saveexec_b32 s7, vcc_lo
	s_xor_b32 s7, exec_lo, s7
	s_cbranch_execz .LBB109_8
; %bb.7:
	v_ashrrev_i32_e32 v5, 31, v4
	s_mov_b32 s3, exec_lo
	v_lshlrev_b64 v[1:2], 2, v[4:5]
	v_add_co_u32 v1, vcc_lo, s8, v1
	v_add_co_ci_u32_e64 v2, null, s9, v2, vcc_lo
	global_load_dword v1, v[1:2], off
	s_waitcnt vmcnt(0)
	v_subrev_nc_u32_e32 v1, s18, v1
.LBB109_8:
	s_or_b32 exec_lo, exec_lo, s7
	s_and_b32 vcc_lo, exec_lo, s6
	s_cbranch_vccz .LBB109_12
.LBB109_9:
	v_cmp_gt_i32_e32 vcc_lo, s0, v4
	s_andn2_b32 s0, s3, exec_lo
	s_and_b32 s3, vcc_lo, exec_lo
	s_or_b32 s3, s0, s3
	s_and_saveexec_b32 s0, s3
	s_cbranch_execnz .LBB109_13
.LBB109_10:
	s_endpgm
.LBB109_11:
                                        ; implicit-def: $vgpr1
	s_cbranch_execnz .LBB109_9
.LBB109_12:
	v_mov_b32_e32 v4, v1
	s_and_saveexec_b32 s0, s3
	s_cbranch_execz .LBB109_10
.LBB109_13:
	s_load_dwordx8 s[8:15], s[4:5], 0x20
	v_ashrrev_i32_e32 v5, 31, v4
	v_and_b32_e32 v9, 63, v0
	s_load_dwordx2 s[6:7], s[4:5], 0x40
	v_lshlrev_b64 v[1:2], 2, v[4:5]
	s_waitcnt lgkmcnt(0)
	v_add_co_u32 v5, vcc_lo, s8, v1
	v_add_co_ci_u32_e64 v6, null, s9, v2, vcc_lo
	v_add_co_u32 v1, vcc_lo, s10, v1
	v_add_co_ci_u32_e64 v2, null, s11, v2, vcc_lo
	global_load_dword v15, v[5:6], off
	v_add_co_u32 v3, vcc_lo, v5, 4
	v_add_co_ci_u32_e64 v5, null, 0, v6, vcc_lo
	s_cmp_eq_u64 s[10:11], 0
	s_cselect_b32 vcc_lo, -1, 0
	s_cmp_eq_u32 s1, 1
	v_cndmask_b32_e32 v2, v2, v5, vcc_lo
	v_cndmask_b32_e32 v1, v1, v3, vcc_lo
	global_load_dword v5, v[1:2], off
	s_waitcnt vmcnt(1)
	v_subrev_nc_u32_e32 v0, s18, v15
	v_add_nc_u32_e32 v0, v0, v9
	v_ashrrev_i32_e32 v1, 31, v0
	s_waitcnt vmcnt(0)
	v_subrev_nc_u32_e32 v14, s18, v5
	v_lshlrev_b64 v[2:3], 5, v[0:1]
	v_cmp_lt_i32_e64 s0, v0, v14
	v_add_co_u32 v2, vcc_lo, s14, v2
	v_add_co_ci_u32_e64 v3, null, s15, v3, vcc_lo
	s_cbranch_scc1 .LBB109_25
; %bb.14:
	v_mov_b32_e32 v10, 0
	v_mov_b32_e32 v12, 0
	v_mov_b32_e32 v13, 0
	v_mov_b32_e32 v11, 0
	s_and_saveexec_b32 s1, s0
	s_cbranch_execz .LBB109_24
; %bb.15:
	v_add_nc_u32_e32 v1, v15, v9
	v_not_b32_e32 v5, v15
	v_mov_b32_e32 v8, v3
	v_mov_b32_e32 v11, 0
	v_mov_b32_e32 v13, 0
	v_subrev_nc_u32_e32 v1, s18, v1
	v_mov_b32_e32 v12, 0
	v_mov_b32_e32 v10, 0
	;; [unrolled: 1-line block ×3, first 2 shown]
	s_mov_b32 s3, exec_lo
	v_add_nc_u32_e32 v1, 64, v1
	v_max_i32_e32 v1, v1, v14
	v_add3_u32 v1, s18, v1, v5
	v_mov_b32_e32 v5, v0
	v_sub_nc_u32_e32 v1, v1, v9
	v_and_b32_e32 v6, 0xc0, v1
	v_cmpx_ne_u32_e32 0xc0, v6
	s_cbranch_execz .LBB109_19
; %bb.16:
	v_lshrrev_b32_e32 v5, 6, v1
	v_mov_b32_e32 v8, v3
	v_mov_b32_e32 v10, 0
	;; [unrolled: 1-line block ×4, first 2 shown]
	v_add_nc_u32_e32 v5, 1, v5
	v_mov_b32_e32 v13, 0
	v_mov_b32_e32 v11, 0
	s_mov_b32 s8, 0
	v_and_b32_e32 v6, 3, v5
	v_mov_b32_e32 v5, v0
	v_sub_nc_u32_e32 v16, 0, v6
.LBB109_17:                             ; =>This Inner Loop Header: Depth=1
	v_ashrrev_i32_e32 v6, 31, v5
	v_add_co_u32 v16, s9, v16, 1
	s_or_b32 s8, s9, s8
	v_lshlrev_b64 v[17:18], 2, v[5:6]
	v_add_nc_u32_e32 v5, 64, v5
	v_add_co_u32 v17, vcc_lo, s12, v17
	v_add_co_ci_u32_e64 v18, null, s13, v18, vcc_lo
	global_load_dword v6, v[17:18], off
	global_load_dwordx4 v[17:20], v[7:8], off
	s_waitcnt vmcnt(1)
	v_subrev_nc_u32_e32 v6, s18, v6
	s_waitcnt vmcnt(0)
	v_lshlrev_b32_e32 v28, 16, v19
	v_and_b32_e32 v19, 0xffff0000, v19
	v_lshlrev_b32_e32 v27, 16, v18
	v_lshlrev_b32_e32 v29, 16, v20
	;; [unrolled: 1-line block ×4, first 2 shown]
	v_and_b32_e32 v17, 0xffff0000, v17
	v_and_b32_e32 v18, 0xffff0000, v18
	;; [unrolled: 1-line block ×3, first 2 shown]
	v_ashrrev_i32_e32 v22, 31, v21
	v_lshlrev_b64 v[21:22], 1, v[21:22]
	v_add_co_u32 v25, vcc_lo, s6, v21
	v_add_co_ci_u32_e64 v26, null, s7, v22, vcc_lo
	global_load_dwordx4 v[21:24], v[7:8], off offset:16
	global_load_dwordx2 v[25:26], v[25:26], off
	v_add_co_u32 v7, vcc_lo, 0x800, v7
	v_add_co_ci_u32_e64 v8, null, 0, v8, vcc_lo
	s_waitcnt vmcnt(1)
	v_lshlrev_b32_e32 v30, 16, v21
	v_lshlrev_b32_e32 v32, 16, v23
	s_waitcnt vmcnt(0)
	v_lshlrev_b32_e32 v34, 16, v25
	v_and_b32_e32 v21, 0xffff0000, v21
	v_and_b32_e32 v23, 0xffff0000, v23
	;; [unrolled: 1-line block ×3, first 2 shown]
	v_lshlrev_b32_e32 v31, 16, v22
	v_fmac_f32_e32 v11, v6, v34
	v_fmac_f32_e32 v13, v28, v34
	;; [unrolled: 1-line block ×4, first 2 shown]
	v_lshlrev_b32_e32 v33, 16, v24
	v_lshlrev_b32_e32 v6, 16, v26
	v_fmac_f32_e32 v11, v17, v25
	v_fmac_f32_e32 v13, v19, v25
	;; [unrolled: 1-line block ×4, first 2 shown]
	v_and_b32_e32 v22, 0xffff0000, v22
	v_and_b32_e32 v24, 0xffff0000, v24
	v_and_b32_e32 v17, 0xffff0000, v26
	v_fmac_f32_e32 v11, v27, v6
	v_fmac_f32_e32 v13, v29, v6
	;; [unrolled: 1-line block ×8, first 2 shown]
	s_andn2_b32 exec_lo, exec_lo, s8
	s_cbranch_execnz .LBB109_17
; %bb.18:
	s_or_b32 exec_lo, exec_lo, s8
.LBB109_19:
	s_or_b32 exec_lo, exec_lo, s3
	s_mov_b32 s3, exec_lo
	v_cmpx_lt_u32_e32 0xbf, v1
	s_cbranch_execz .LBB109_23
; %bb.20:
	s_mov_b32 s8, 0
.LBB109_21:                             ; =>This Inner Loop Header: Depth=1
	v_ashrrev_i32_e32 v6, 31, v5
	v_lshlrev_b64 v[16:17], 2, v[5:6]
	v_add_nc_u32_e32 v5, 0x100, v5
	v_add_co_u32 v16, vcc_lo, s12, v16
	v_add_co_ci_u32_e64 v17, null, s13, v17, vcc_lo
	v_add_co_u32 v28, vcc_lo, 0x800, v7
	v_add_co_ci_u32_e64 v29, null, 0, v8, vcc_lo
	s_clause 0x3
	global_load_dword v1, v[16:17], off
	global_load_dword v6, v[16:17], off offset:256
	global_load_dword v48, v[16:17], off offset:512
	;; [unrolled: 1-line block ×3, first 2 shown]
	s_clause 0x1
	global_load_dwordx4 v[16:19], v[7:8], off
	global_load_dwordx4 v[20:23], v[7:8], off offset:16
	v_add_co_u32 v32, vcc_lo, v7, 0x1000
	v_add_co_ci_u32_e64 v33, null, 0, v8, vcc_lo
	v_add_co_u32 v36, vcc_lo, 0x1000, v7
	v_add_co_ci_u32_e64 v37, null, 0, v8, vcc_lo
	;; [unrolled: 2-line block ×3, first 2 shown]
	s_clause 0x5
	global_load_dwordx4 v[24:27], v[32:33], off offset:-2048
	global_load_dwordx4 v[28:31], v[28:29], off offset:16
	global_load_dwordx4 v[32:35], v[32:33], off
	global_load_dwordx4 v[36:39], v[36:37], off offset:16
	global_load_dwordx4 v[40:43], v[44:45], off
	global_load_dwordx4 v[44:47], v[44:45], off offset:16
	s_waitcnt vmcnt(11)
	v_subrev_nc_u32_e32 v1, s18, v1
	s_waitcnt vmcnt(10)
	v_subrev_nc_u32_e32 v6, s18, v6
	;; [unrolled: 2-line block ×4, first 2 shown]
	s_waitcnt vmcnt(7)
	v_lshlrev_b32_e32 v56, 16, v18
	v_lshlrev_b32_e32 v48, 2, v1
	;; [unrolled: 1-line block ×6, first 2 shown]
	v_ashrrev_i32_e32 v49, 31, v48
	v_ashrrev_i32_e32 v51, 31, v50
	;; [unrolled: 1-line block ×4, first 2 shown]
	s_waitcnt vmcnt(6)
	v_lshlrev_b32_e32 v58, 16, v20
	v_lshlrev_b64 v[48:49], 1, v[48:49]
	v_lshlrev_b64 v[50:51], 1, v[50:51]
	;; [unrolled: 1-line block ×4, first 2 shown]
	v_lshlrev_b32_e32 v60, 16, v22
	v_and_b32_e32 v6, 0xffff0000, v16
	v_add_co_u32 v48, vcc_lo, s6, v48
	v_add_co_ci_u32_e64 v49, null, s7, v49, vcc_lo
	v_add_co_u32 v50, vcc_lo, s6, v50
	v_add_co_ci_u32_e64 v51, null, s7, v51, vcc_lo
	global_load_dwordx2 v[48:49], v[48:49], off
	v_add_co_u32 v52, vcc_lo, s6, v52
	global_load_dwordx2 v[50:51], v[50:51], off
	v_add_co_ci_u32_e64 v53, null, s7, v53, vcc_lo
	v_add_co_u32 v54, vcc_lo, s6, v54
	v_add_co_ci_u32_e64 v55, null, s7, v55, vcc_lo
	global_load_dwordx2 v[52:53], v[52:53], off
	v_and_b32_e32 v18, 0xffff0000, v18
	v_and_b32_e32 v20, 0xffff0000, v20
	global_load_dwordx2 v[54:55], v[54:55], off
	v_and_b32_e32 v22, 0xffff0000, v22
	v_lshlrev_b32_e32 v16, 16, v17
	v_lshlrev_b32_e32 v57, 16, v19
	v_lshlrev_b32_e32 v59, 16, v21
	v_lshlrev_b32_e32 v61, 16, v23
	v_and_b32_e32 v17, 0xffff0000, v17
	v_and_b32_e32 v19, 0xffff0000, v19
	v_and_b32_e32 v21, 0xffff0000, v21
	v_and_b32_e32 v23, 0xffff0000, v23
	s_waitcnt vmcnt(9)
	v_lshlrev_b32_e32 v62, 16, v24
	v_lshlrev_b32_e32 v64, 16, v26
	s_waitcnt vmcnt(8)
	v_lshlrev_b32_e32 v66, 16, v28
	v_lshlrev_b32_e32 v68, 16, v30
	v_and_b32_e32 v24, 0xffff0000, v24
	v_and_b32_e32 v26, 0xffff0000, v26
	v_and_b32_e32 v28, 0xffff0000, v28
	v_and_b32_e32 v30, 0xffff0000, v30
	v_lshlrev_b32_e32 v63, 16, v25
	v_lshlrev_b32_e32 v65, 16, v27
	v_lshlrev_b32_e32 v67, 16, v29
	v_lshlrev_b32_e32 v69, 16, v31
	v_and_b32_e32 v25, 0xffff0000, v25
	v_and_b32_e32 v27, 0xffff0000, v27
	v_and_b32_e32 v29, 0xffff0000, v29
	v_and_b32_e32 v31, 0xffff0000, v31
	s_waitcnt vmcnt(7)
	v_lshlrev_b32_e32 v70, 16, v32
	v_lshlrev_b32_e32 v72, 16, v34
	s_waitcnt vmcnt(6)
	v_lshlrev_b32_e32 v74, 16, v36
	v_lshlrev_b32_e32 v76, 16, v38
	v_and_b32_e32 v32, 0xffff0000, v32
	v_and_b32_e32 v34, 0xffff0000, v34
	v_and_b32_e32 v36, 0xffff0000, v36
	;; [unrolled: 18-line block ×3, first 2 shown]
	v_and_b32_e32 v46, 0xffff0000, v46
	v_lshlrev_b32_e32 v79, 16, v41
	v_lshlrev_b32_e32 v81, 16, v43
	;; [unrolled: 1-line block ×4, first 2 shown]
	v_and_b32_e32 v41, 0xffff0000, v41
	v_and_b32_e32 v43, 0xffff0000, v43
	;; [unrolled: 1-line block ×4, first 2 shown]
	v_add_co_u32 v7, vcc_lo, 0x2000, v7
	v_add_co_ci_u32_e64 v8, null, 0, v8, vcc_lo
	v_cmp_ge_i32_e32 vcc_lo, v5, v14
	s_or_b32 s8, vcc_lo, s8
	s_waitcnt vmcnt(3)
	v_lshlrev_b32_e32 v86, 16, v48
	v_and_b32_e32 v48, 0xffff0000, v48
	v_fmac_f32_e32 v11, v1, v86
	v_fmac_f32_e32 v13, v56, v86
	v_fmac_f32_e32 v12, v58, v86
	v_fmac_f32_e32 v10, v60, v86
	v_lshlrev_b32_e32 v1, 16, v49
	v_fmac_f32_e32 v11, v6, v48
	v_fmac_f32_e32 v13, v18, v48
	v_fmac_f32_e32 v12, v20, v48
	v_fmac_f32_e32 v10, v22, v48
	v_and_b32_e32 v6, 0xffff0000, v49
	v_fmac_f32_e32 v11, v16, v1
	v_fmac_f32_e32 v13, v57, v1
	v_fmac_f32_e32 v12, v59, v1
	v_fmac_f32_e32 v10, v61, v1
	s_waitcnt vmcnt(2)
	v_lshlrev_b32_e32 v1, 16, v50
	v_fmac_f32_e32 v11, v17, v6
	v_fmac_f32_e32 v13, v19, v6
	v_fmac_f32_e32 v12, v21, v6
	v_fmac_f32_e32 v10, v23, v6
	v_and_b32_e32 v6, 0xffff0000, v50
	v_fmac_f32_e32 v11, v62, v1
	v_fmac_f32_e32 v13, v64, v1
	v_fmac_f32_e32 v12, v66, v1
	v_fmac_f32_e32 v10, v68, v1
	v_lshlrev_b32_e32 v1, 16, v51
	v_fmac_f32_e32 v11, v24, v6
	v_fmac_f32_e32 v13, v26, v6
	v_fmac_f32_e32 v12, v28, v6
	v_fmac_f32_e32 v10, v30, v6
	v_and_b32_e32 v6, 0xffff0000, v51
	v_fmac_f32_e32 v11, v63, v1
	v_fmac_f32_e32 v13, v65, v1
	v_fmac_f32_e32 v12, v67, v1
	v_fmac_f32_e32 v10, v69, v1
	s_waitcnt vmcnt(1)
	v_lshlrev_b32_e32 v1, 16, v52
	v_fmac_f32_e32 v11, v25, v6
	v_fmac_f32_e32 v13, v27, v6
	v_fmac_f32_e32 v12, v29, v6
	v_fmac_f32_e32 v10, v31, v6
	;; [unrolled: 21-line block ×3, first 2 shown]
	v_and_b32_e32 v6, 0xffff0000, v54
	v_fmac_f32_e32 v11, v78, v1
	v_fmac_f32_e32 v13, v80, v1
	;; [unrolled: 1-line block ×4, first 2 shown]
	v_lshlrev_b32_e32 v1, 16, v55
	v_fmac_f32_e32 v11, v40, v6
	v_fmac_f32_e32 v13, v42, v6
	;; [unrolled: 1-line block ×4, first 2 shown]
	v_and_b32_e32 v6, 0xffff0000, v55
	v_fmac_f32_e32 v11, v79, v1
	v_fmac_f32_e32 v13, v81, v1
	;; [unrolled: 1-line block ×8, first 2 shown]
	s_andn2_b32 exec_lo, exec_lo, s8
	s_cbranch_execnz .LBB109_21
; %bb.22:
	s_or_b32 exec_lo, exec_lo, s8
.LBB109_23:
	s_or_b32 exec_lo, exec_lo, s3
.LBB109_24:
	s_or_b32 exec_lo, exec_lo, s1
	s_cbranch_execz .LBB109_26
	s_branch .LBB109_37
.LBB109_25:
                                        ; implicit-def: $vgpr10
                                        ; implicit-def: $vgpr12
                                        ; implicit-def: $vgpr13
                                        ; implicit-def: $vgpr11
.LBB109_26:
	v_mov_b32_e32 v10, 0
	v_mov_b32_e32 v12, 0
	;; [unrolled: 1-line block ×4, first 2 shown]
	s_and_saveexec_b32 s1, s0
	s_cbranch_execz .LBB109_36
; %bb.27:
	v_add_nc_u32_e32 v1, v15, v9
	v_not_b32_e32 v5, v15
	v_mov_b32_e32 v11, 0
	v_mov_b32_e32 v13, 0
	;; [unrolled: 1-line block ×3, first 2 shown]
	v_subrev_nc_u32_e32 v1, s18, v1
	v_mov_b32_e32 v10, 0
	s_mov_b32 s0, exec_lo
	v_add_nc_u32_e32 v1, 64, v1
	v_max_i32_e32 v1, v1, v14
	v_add3_u32 v1, s18, v1, v5
	v_sub_nc_u32_e32 v5, v1, v9
	v_and_b32_e32 v1, 0xc0, v5
	v_cmpx_ne_u32_e32 0xc0, v1
	s_cbranch_execz .LBB109_31
; %bb.28:
	v_lshrrev_b32_e32 v1, 6, v5
	v_mov_b32_e32 v10, 0
	v_mov_b32_e32 v12, 0
	;; [unrolled: 1-line block ×4, first 2 shown]
	v_add_nc_u32_e32 v1, 1, v1
	s_mov_b32 s3, 0
	v_and_b32_e32 v1, 3, v1
	v_sub_nc_u32_e32 v6, 0, v1
.LBB109_29:                             ; =>This Inner Loop Header: Depth=1
	v_ashrrev_i32_e32 v1, 31, v0
	v_add_co_u32 v6, s8, v6, 1
	s_or_b32 s3, s8, s3
	v_lshlrev_b64 v[7:8], 2, v[0:1]
	v_add_nc_u32_e32 v0, 64, v0
	v_add_co_u32 v7, vcc_lo, s12, v7
	v_add_co_ci_u32_e64 v8, null, s13, v8, vcc_lo
	global_load_dword v1, v[7:8], off
	global_load_dwordx4 v[15:18], v[2:3], off
	s_waitcnt vmcnt(1)
	v_subrev_nc_u32_e32 v1, s18, v1
	s_waitcnt vmcnt(0)
	v_lshlrev_b32_e32 v23, 16, v16
	v_and_b32_e32 v16, 0xffff0000, v16
	v_lshlrev_b32_e32 v24, 16, v17
	v_and_b32_e32 v17, 0xffff0000, v17
	v_lshlrev_b32_e32 v7, 2, v1
	v_lshlrev_b32_e32 v1, 16, v15
	v_and_b32_e32 v15, 0xffff0000, v15
	v_lshlrev_b32_e32 v25, 16, v18
	v_and_b32_e32 v18, 0xffff0000, v18
	v_ashrrev_i32_e32 v8, 31, v7
	v_lshlrev_b64 v[7:8], 1, v[7:8]
	v_add_co_u32 v7, vcc_lo, s6, v7
	v_add_co_ci_u32_e64 v8, null, s7, v8, vcc_lo
	global_load_dwordx2 v[7:8], v[7:8], off
	global_load_dwordx4 v[19:22], v[2:3], off offset:16
	v_add_co_u32 v2, vcc_lo, 0x800, v2
	v_add_co_ci_u32_e64 v3, null, 0, v3, vcc_lo
	s_waitcnt vmcnt(1)
	v_lshlrev_b32_e32 v30, 16, v7
	v_and_b32_e32 v7, 0xffff0000, v7
	s_waitcnt vmcnt(0)
	v_lshlrev_b32_e32 v26, 16, v19
	v_and_b32_e32 v19, 0xffff0000, v19
	v_lshlrev_b32_e32 v27, 16, v20
	v_fmac_f32_e32 v11, v1, v30
	v_fmac_f32_e32 v13, v15, v30
	;; [unrolled: 1-line block ×4, first 2 shown]
	v_and_b32_e32 v20, 0xffff0000, v20
	v_lshlrev_b32_e32 v1, 16, v8
	v_fmac_f32_e32 v11, v24, v7
	v_fmac_f32_e32 v13, v17, v7
	;; [unrolled: 1-line block ×4, first 2 shown]
	v_lshlrev_b32_e32 v28, 16, v21
	v_and_b32_e32 v21, 0xffff0000, v21
	v_lshlrev_b32_e32 v29, 16, v22
	v_and_b32_e32 v22, 0xffff0000, v22
	v_and_b32_e32 v7, 0xffff0000, v8
	v_fmac_f32_e32 v11, v26, v1
	v_fmac_f32_e32 v13, v19, v1
	;; [unrolled: 1-line block ×8, first 2 shown]
	s_andn2_b32 exec_lo, exec_lo, s3
	s_cbranch_execnz .LBB109_29
; %bb.30:
	s_or_b32 exec_lo, exec_lo, s3
.LBB109_31:
	s_or_b32 exec_lo, exec_lo, s0
	s_mov_b32 s0, exec_lo
	v_cmpx_lt_u32_e32 0xbf, v5
	s_cbranch_execz .LBB109_35
; %bb.32:
	s_mov_b32 s3, 0
.LBB109_33:                             ; =>This Inner Loop Header: Depth=1
	v_ashrrev_i32_e32 v1, 31, v0
	v_lshlrev_b64 v[5:6], 2, v[0:1]
	v_add_nc_u32_e32 v0, 0x100, v0
	v_add_co_u32 v5, vcc_lo, s12, v5
	v_add_co_ci_u32_e64 v6, null, s13, v6, vcc_lo
	v_add_co_u32 v19, vcc_lo, 0x800, v2
	v_add_co_ci_u32_e64 v20, null, 0, v3, vcc_lo
	s_clause 0x3
	global_load_dword v1, v[5:6], off
	global_load_dword v41, v[5:6], off offset:256
	global_load_dword v42, v[5:6], off offset:512
	;; [unrolled: 1-line block ×3, first 2 shown]
	s_clause 0x1
	global_load_dwordx4 v[5:8], v[2:3], off
	global_load_dwordx4 v[15:18], v[2:3], off offset:16
	v_add_co_u32 v27, vcc_lo, v2, 0x1000
	v_add_co_ci_u32_e64 v28, null, 0, v3, vcc_lo
	v_add_co_u32 v31, vcc_lo, 0x1000, v2
	v_add_co_ci_u32_e64 v32, null, 0, v3, vcc_lo
	;; [unrolled: 2-line block ×3, first 2 shown]
	s_clause 0x4
	global_load_dwordx4 v[19:22], v[19:20], off offset:16
	global_load_dwordx4 v[23:26], v[27:28], off offset:-2048
	global_load_dwordx4 v[27:30], v[27:28], off
	global_load_dwordx4 v[31:34], v[31:32], off offset:16
	global_load_dwordx4 v[35:38], v[39:40], off
	s_waitcnt vmcnt(10)
	v_subrev_nc_u32_e32 v1, s18, v1
	s_waitcnt vmcnt(9)
	v_subrev_nc_u32_e32 v44, s18, v41
	;; [unrolled: 2-line block ×4, first 2 shown]
	s_waitcnt vmcnt(6)
	v_lshlrev_b32_e32 v51, 16, v6
	v_lshlrev_b32_e32 v41, 2, v1
	;; [unrolled: 1-line block ×6, first 2 shown]
	v_ashrrev_i32_e32 v42, 31, v41
	v_ashrrev_i32_e32 v44, 31, v43
	;; [unrolled: 1-line block ×4, first 2 shown]
	v_and_b32_e32 v5, 0xffff0000, v5
	v_lshlrev_b64 v[41:42], 1, v[41:42]
	v_lshlrev_b64 v[43:44], 1, v[43:44]
	v_lshlrev_b64 v[45:46], 1, v[45:46]
	v_lshlrev_b64 v[47:48], 1, v[47:48]
	v_and_b32_e32 v6, 0xffff0000, v6
	v_lshlrev_b32_e32 v52, 16, v7
	v_add_co_u32 v41, vcc_lo, s6, v41
	v_add_co_ci_u32_e64 v42, null, s7, v42, vcc_lo
	v_add_co_u32 v43, vcc_lo, s6, v43
	v_add_co_ci_u32_e64 v44, null, s7, v44, vcc_lo
	;; [unrolled: 2-line block ×4, first 2 shown]
	s_clause 0x3
	global_load_dwordx2 v[49:50], v[41:42], off
	global_load_dwordx2 v[43:44], v[43:44], off
	;; [unrolled: 1-line block ×4, first 2 shown]
	global_load_dwordx4 v[39:42], v[39:40], off offset:16
	v_and_b32_e32 v7, 0xffff0000, v7
	v_lshlrev_b32_e32 v53, 16, v8
	v_and_b32_e32 v8, 0xffff0000, v8
	s_waitcnt vmcnt(10)
	v_lshlrev_b32_e32 v54, 16, v15
	v_and_b32_e32 v15, 0xffff0000, v15
	v_lshlrev_b32_e32 v55, 16, v16
	v_and_b32_e32 v16, 0xffff0000, v16
	;; [unrolled: 2-line block ×4, first 2 shown]
	s_waitcnt vmcnt(8)
	v_lshlrev_b32_e32 v58, 16, v23
	v_and_b32_e32 v23, 0xffff0000, v23
	v_lshlrev_b32_e32 v59, 16, v24
	v_and_b32_e32 v24, 0xffff0000, v24
	;; [unrolled: 2-line block ×8, first 2 shown]
	s_waitcnt vmcnt(7)
	v_lshlrev_b32_e32 v66, 16, v27
	v_and_b32_e32 v27, 0xffff0000, v27
	v_lshlrev_b32_e32 v67, 16, v28
	v_and_b32_e32 v28, 0xffff0000, v28
	v_lshlrev_b32_e32 v68, 16, v29
	v_and_b32_e32 v29, 0xffff0000, v29
	v_lshlrev_b32_e32 v69, 16, v30
	v_and_b32_e32 v30, 0xffff0000, v30
	s_waitcnt vmcnt(6)
	v_lshlrev_b32_e32 v70, 16, v31
	v_and_b32_e32 v31, 0xffff0000, v31
	v_lshlrev_b32_e32 v71, 16, v32
	v_and_b32_e32 v32, 0xffff0000, v32
	v_lshlrev_b32_e32 v72, 16, v33
	v_and_b32_e32 v33, 0xffff0000, v33
	v_lshlrev_b32_e32 v73, 16, v34
	v_and_b32_e32 v34, 0xffff0000, v34
	;; [unrolled: 9-line block ×3, first 2 shown]
	v_add_co_u32 v2, vcc_lo, 0x2000, v2
	v_add_co_ci_u32_e64 v3, null, 0, v3, vcc_lo
	v_cmp_ge_i32_e32 vcc_lo, v0, v14
	s_or_b32 s3, vcc_lo, s3
	s_waitcnt vmcnt(4)
	v_lshlrev_b32_e32 v82, 16, v49
	v_and_b32_e32 v49, 0xffff0000, v49
	s_waitcnt vmcnt(0)
	v_lshlrev_b32_e32 v78, 16, v39
	v_fmac_f32_e32 v11, v1, v82
	v_fmac_f32_e32 v13, v5, v82
	v_fmac_f32_e32 v12, v51, v82
	v_fmac_f32_e32 v10, v6, v82
	v_lshlrev_b32_e32 v1, 16, v50
	v_fmac_f32_e32 v11, v52, v49
	v_fmac_f32_e32 v13, v7, v49
	v_fmac_f32_e32 v12, v53, v49
	v_fmac_f32_e32 v10, v8, v49
	v_and_b32_e32 v5, 0xffff0000, v50
	v_fmac_f32_e32 v11, v54, v1
	v_fmac_f32_e32 v13, v15, v1
	v_fmac_f32_e32 v12, v55, v1
	v_fmac_f32_e32 v10, v16, v1
	v_lshlrev_b32_e32 v1, 16, v43
	v_fmac_f32_e32 v11, v56, v5
	v_fmac_f32_e32 v13, v17, v5
	v_fmac_f32_e32 v12, v57, v5
	v_fmac_f32_e32 v10, v18, v5
	v_and_b32_e32 v5, 0xffff0000, v43
	;; [unrolled: 10-line block ×6, first 2 shown]
	v_fmac_f32_e32 v11, v74, v1
	v_fmac_f32_e32 v13, v35, v1
	;; [unrolled: 1-line block ×4, first 2 shown]
	v_and_b32_e32 v39, 0xffff0000, v39
	v_lshlrev_b32_e32 v79, 16, v40
	v_and_b32_e32 v40, 0xffff0000, v40
	v_lshlrev_b32_e32 v1, 16, v48
	v_fmac_f32_e32 v11, v76, v5
	v_fmac_f32_e32 v13, v37, v5
	;; [unrolled: 1-line block ×4, first 2 shown]
	v_lshlrev_b32_e32 v80, 16, v41
	v_and_b32_e32 v41, 0xffff0000, v41
	v_lshlrev_b32_e32 v81, 16, v42
	v_and_b32_e32 v42, 0xffff0000, v42
	v_and_b32_e32 v5, 0xffff0000, v48
	v_fmac_f32_e32 v11, v78, v1
	v_fmac_f32_e32 v13, v39, v1
	;; [unrolled: 1-line block ×8, first 2 shown]
	s_andn2_b32 exec_lo, exec_lo, s3
	s_cbranch_execnz .LBB109_33
; %bb.34:
	s_or_b32 exec_lo, exec_lo, s3
.LBB109_35:
	s_or_b32 exec_lo, exec_lo, s0
.LBB109_36:
	s_or_b32 exec_lo, exec_lo, s1
.LBB109_37:
	v_mbcnt_lo_u32_b32 v0, -1, 0
	s_mov_b32 s3, -1
	v_or_b32_e32 v1, 32, v0
	v_xor_b32_e32 v6, 16, v0
	v_cmp_gt_i32_e32 vcc_lo, 32, v1
	v_cndmask_b32_e32 v1, v0, v1, vcc_lo
	v_cmp_gt_i32_e32 vcc_lo, 32, v6
	v_lshlrev_b32_e32 v1, 2, v1
	v_cndmask_b32_e32 v6, v0, v6, vcc_lo
	ds_bpermute_b32 v2, v1, v11
	ds_bpermute_b32 v3, v1, v13
	;; [unrolled: 1-line block ×4, first 2 shown]
	v_lshlrev_b32_e32 v6, 2, v6
	s_waitcnt lgkmcnt(3)
	v_add_f32_e32 v2, v11, v2
	s_waitcnt lgkmcnt(2)
	v_add_f32_e32 v3, v13, v3
	;; [unrolled: 2-line block ×4, first 2 shown]
	v_xor_b32_e32 v11, 8, v0
	ds_bpermute_b32 v7, v6, v2
	ds_bpermute_b32 v8, v6, v3
	ds_bpermute_b32 v10, v6, v5
	ds_bpermute_b32 v6, v6, v1
	v_cmp_gt_i32_e32 vcc_lo, 32, v11
	v_cndmask_b32_e32 v11, v0, v11, vcc_lo
	v_lshlrev_b32_e32 v11, 2, v11
	s_waitcnt lgkmcnt(3)
	v_add_f32_e32 v2, v2, v7
	s_waitcnt lgkmcnt(2)
	v_add_f32_e32 v3, v3, v8
	s_waitcnt lgkmcnt(1)
	v_add_f32_e32 v5, v5, v10
	s_waitcnt lgkmcnt(0)
	v_add_f32_e32 v1, v1, v6
	ds_bpermute_b32 v6, v11, v2
	ds_bpermute_b32 v7, v11, v3
	ds_bpermute_b32 v8, v11, v5
	ds_bpermute_b32 v10, v11, v1
	v_xor_b32_e32 v11, 4, v0
	v_cmp_gt_i32_e32 vcc_lo, 32, v11
	v_cndmask_b32_e32 v11, v0, v11, vcc_lo
	v_lshlrev_b32_e32 v11, 2, v11
	s_waitcnt lgkmcnt(3)
	v_add_f32_e32 v2, v2, v6
	s_waitcnt lgkmcnt(2)
	v_add_f32_e32 v3, v3, v7
	s_waitcnt lgkmcnt(1)
	v_add_f32_e32 v5, v5, v8
	s_waitcnt lgkmcnt(0)
	v_add_f32_e32 v1, v1, v10
	ds_bpermute_b32 v6, v11, v2
	ds_bpermute_b32 v7, v11, v3
	ds_bpermute_b32 v8, v11, v5
	ds_bpermute_b32 v10, v11, v1
	v_xor_b32_e32 v11, 2, v0
	;; [unrolled: 16-line block ×3, first 2 shown]
	v_cmp_gt_i32_e32 vcc_lo, 32, v11
	v_cndmask_b32_e32 v0, v0, v11, vcc_lo
	v_cmp_eq_u32_e32 vcc_lo, 63, v9
	v_lshlrev_b32_e32 v11, 2, v0
	s_waitcnt lgkmcnt(3)
	v_add_f32_e32 v0, v2, v1
	s_waitcnt lgkmcnt(2)
	v_add_f32_e32 v1, v3, v7
	;; [unrolled: 2-line block ×4, first 2 shown]
	ds_bpermute_b32 v5, v11, v0
	ds_bpermute_b32 v6, v11, v1
	;; [unrolled: 1-line block ×4, first 2 shown]
	s_and_b32 exec_lo, exec_lo, vcc_lo
	s_cbranch_execz .LBB109_10
; %bb.38:
	s_load_dwordx2 s[0:1], s[4:5], 0x50
	s_waitcnt lgkmcnt(0)
	v_add_f32_e32 v0, v0, v5
	v_add_f32_e32 v1, v1, v6
	;; [unrolled: 1-line block ×4, first 2 shown]
	v_cmp_eq_f32_e64 s4, s2, 0
	v_mul_f32_e32 v0, s16, v0
	v_mul_f32_e32 v1, s16, v1
	;; [unrolled: 1-line block ×4, first 2 shown]
	v_lshlrev_b32_e32 v4, 2, v4
	s_and_b32 vcc_lo, exec_lo, s4
	s_cbranch_vccz .LBB109_40
; %bb.39:
	v_ashrrev_i32_e32 v5, 31, v4
	s_mov_b32 s3, 0
	v_lshlrev_b64 v[5:6], 2, v[4:5]
	v_add_co_u32 v5, vcc_lo, s0, v5
	v_add_co_ci_u32_e64 v6, null, s1, v6, vcc_lo
	global_store_dwordx4 v[5:6], v[0:3], off
.LBB109_40:
	s_andn2_b32 vcc_lo, exec_lo, s3
	s_cbranch_vccnz .LBB109_10
; %bb.41:
	v_ashrrev_i32_e32 v5, 31, v4
	v_lshlrev_b64 v[4:5], 2, v[4:5]
	v_add_co_u32 v8, vcc_lo, s0, v4
	v_add_co_ci_u32_e64 v9, null, s1, v5, vcc_lo
	global_load_dwordx4 v[4:7], v[8:9], off
	s_waitcnt vmcnt(0)
	v_fmac_f32_e32 v0, s2, v4
	v_fmac_f32_e32 v1, s2, v5
	;; [unrolled: 1-line block ×4, first 2 shown]
	global_store_dwordx4 v[8:9], v[0:3], off
	s_endpgm
	.section	.rodata,"a",@progbits
	.p2align	6, 0x0
	.amdhsa_kernel _ZN9rocsparseL18bsrxmvn_4x4_kernelILj128ELj64Efii18rocsparse_bfloat16S1_fEEvT3_20rocsparse_direction_NS_24const_host_device_scalarIT1_EES2_PKS2_PKT2_SB_S8_PKT4_PKT5_S6_PT6_21rocsparse_index_base_b
		.amdhsa_group_segment_fixed_size 0
		.amdhsa_private_segment_fixed_size 0
		.amdhsa_kernarg_size 96
		.amdhsa_user_sgpr_count 6
		.amdhsa_user_sgpr_private_segment_buffer 1
		.amdhsa_user_sgpr_dispatch_ptr 0
		.amdhsa_user_sgpr_queue_ptr 0
		.amdhsa_user_sgpr_kernarg_segment_ptr 1
		.amdhsa_user_sgpr_dispatch_id 0
		.amdhsa_user_sgpr_flat_scratch_init 0
		.amdhsa_user_sgpr_private_segment_size 0
		.amdhsa_wavefront_size32 1
		.amdhsa_uses_dynamic_stack 0
		.amdhsa_system_sgpr_private_segment_wavefront_offset 0
		.amdhsa_system_sgpr_workgroup_id_x 1
		.amdhsa_system_sgpr_workgroup_id_y 0
		.amdhsa_system_sgpr_workgroup_id_z 0
		.amdhsa_system_sgpr_workgroup_info 0
		.amdhsa_system_vgpr_workitem_id 0
		.amdhsa_next_free_vgpr 87
		.amdhsa_next_free_sgpr 20
		.amdhsa_reserve_vcc 1
		.amdhsa_reserve_flat_scratch 0
		.amdhsa_float_round_mode_32 0
		.amdhsa_float_round_mode_16_64 0
		.amdhsa_float_denorm_mode_32 3
		.amdhsa_float_denorm_mode_16_64 3
		.amdhsa_dx10_clamp 1
		.amdhsa_ieee_mode 1
		.amdhsa_fp16_overflow 0
		.amdhsa_workgroup_processor_mode 1
		.amdhsa_memory_ordered 1
		.amdhsa_forward_progress 1
		.amdhsa_shared_vgpr_count 0
		.amdhsa_exception_fp_ieee_invalid_op 0
		.amdhsa_exception_fp_denorm_src 0
		.amdhsa_exception_fp_ieee_div_zero 0
		.amdhsa_exception_fp_ieee_overflow 0
		.amdhsa_exception_fp_ieee_underflow 0
		.amdhsa_exception_fp_ieee_inexact 0
		.amdhsa_exception_int_div_zero 0
	.end_amdhsa_kernel
	.section	.text._ZN9rocsparseL18bsrxmvn_4x4_kernelILj128ELj64Efii18rocsparse_bfloat16S1_fEEvT3_20rocsparse_direction_NS_24const_host_device_scalarIT1_EES2_PKS2_PKT2_SB_S8_PKT4_PKT5_S6_PT6_21rocsparse_index_base_b,"axG",@progbits,_ZN9rocsparseL18bsrxmvn_4x4_kernelILj128ELj64Efii18rocsparse_bfloat16S1_fEEvT3_20rocsparse_direction_NS_24const_host_device_scalarIT1_EES2_PKS2_PKT2_SB_S8_PKT4_PKT5_S6_PT6_21rocsparse_index_base_b,comdat
.Lfunc_end109:
	.size	_ZN9rocsparseL18bsrxmvn_4x4_kernelILj128ELj64Efii18rocsparse_bfloat16S1_fEEvT3_20rocsparse_direction_NS_24const_host_device_scalarIT1_EES2_PKS2_PKT2_SB_S8_PKT4_PKT5_S6_PT6_21rocsparse_index_base_b, .Lfunc_end109-_ZN9rocsparseL18bsrxmvn_4x4_kernelILj128ELj64Efii18rocsparse_bfloat16S1_fEEvT3_20rocsparse_direction_NS_24const_host_device_scalarIT1_EES2_PKS2_PKT2_SB_S8_PKT4_PKT5_S6_PT6_21rocsparse_index_base_b
                                        ; -- End function
	.set _ZN9rocsparseL18bsrxmvn_4x4_kernelILj128ELj64Efii18rocsparse_bfloat16S1_fEEvT3_20rocsparse_direction_NS_24const_host_device_scalarIT1_EES2_PKS2_PKT2_SB_S8_PKT4_PKT5_S6_PT6_21rocsparse_index_base_b.num_vgpr, 87
	.set _ZN9rocsparseL18bsrxmvn_4x4_kernelILj128ELj64Efii18rocsparse_bfloat16S1_fEEvT3_20rocsparse_direction_NS_24const_host_device_scalarIT1_EES2_PKS2_PKT2_SB_S8_PKT4_PKT5_S6_PT6_21rocsparse_index_base_b.num_agpr, 0
	.set _ZN9rocsparseL18bsrxmvn_4x4_kernelILj128ELj64Efii18rocsparse_bfloat16S1_fEEvT3_20rocsparse_direction_NS_24const_host_device_scalarIT1_EES2_PKS2_PKT2_SB_S8_PKT4_PKT5_S6_PT6_21rocsparse_index_base_b.numbered_sgpr, 20
	.set _ZN9rocsparseL18bsrxmvn_4x4_kernelILj128ELj64Efii18rocsparse_bfloat16S1_fEEvT3_20rocsparse_direction_NS_24const_host_device_scalarIT1_EES2_PKS2_PKT2_SB_S8_PKT4_PKT5_S6_PT6_21rocsparse_index_base_b.num_named_barrier, 0
	.set _ZN9rocsparseL18bsrxmvn_4x4_kernelILj128ELj64Efii18rocsparse_bfloat16S1_fEEvT3_20rocsparse_direction_NS_24const_host_device_scalarIT1_EES2_PKS2_PKT2_SB_S8_PKT4_PKT5_S6_PT6_21rocsparse_index_base_b.private_seg_size, 0
	.set _ZN9rocsparseL18bsrxmvn_4x4_kernelILj128ELj64Efii18rocsparse_bfloat16S1_fEEvT3_20rocsparse_direction_NS_24const_host_device_scalarIT1_EES2_PKS2_PKT2_SB_S8_PKT4_PKT5_S6_PT6_21rocsparse_index_base_b.uses_vcc, 1
	.set _ZN9rocsparseL18bsrxmvn_4x4_kernelILj128ELj64Efii18rocsparse_bfloat16S1_fEEvT3_20rocsparse_direction_NS_24const_host_device_scalarIT1_EES2_PKS2_PKT2_SB_S8_PKT4_PKT5_S6_PT6_21rocsparse_index_base_b.uses_flat_scratch, 0
	.set _ZN9rocsparseL18bsrxmvn_4x4_kernelILj128ELj64Efii18rocsparse_bfloat16S1_fEEvT3_20rocsparse_direction_NS_24const_host_device_scalarIT1_EES2_PKS2_PKT2_SB_S8_PKT4_PKT5_S6_PT6_21rocsparse_index_base_b.has_dyn_sized_stack, 0
	.set _ZN9rocsparseL18bsrxmvn_4x4_kernelILj128ELj64Efii18rocsparse_bfloat16S1_fEEvT3_20rocsparse_direction_NS_24const_host_device_scalarIT1_EES2_PKS2_PKT2_SB_S8_PKT4_PKT5_S6_PT6_21rocsparse_index_base_b.has_recursion, 0
	.set _ZN9rocsparseL18bsrxmvn_4x4_kernelILj128ELj64Efii18rocsparse_bfloat16S1_fEEvT3_20rocsparse_direction_NS_24const_host_device_scalarIT1_EES2_PKS2_PKT2_SB_S8_PKT4_PKT5_S6_PT6_21rocsparse_index_base_b.has_indirect_call, 0
	.section	.AMDGPU.csdata,"",@progbits
; Kernel info:
; codeLenInByte = 4644
; TotalNumSgprs: 22
; NumVgprs: 87
; ScratchSize: 0
; MemoryBound: 0
; FloatMode: 240
; IeeeMode: 1
; LDSByteSize: 0 bytes/workgroup (compile time only)
; SGPRBlocks: 0
; VGPRBlocks: 10
; NumSGPRsForWavesPerEU: 22
; NumVGPRsForWavesPerEU: 87
; Occupancy: 10
; WaveLimiterHint : 1
; COMPUTE_PGM_RSRC2:SCRATCH_EN: 0
; COMPUTE_PGM_RSRC2:USER_SGPR: 6
; COMPUTE_PGM_RSRC2:TRAP_HANDLER: 0
; COMPUTE_PGM_RSRC2:TGID_X_EN: 1
; COMPUTE_PGM_RSRC2:TGID_Y_EN: 0
; COMPUTE_PGM_RSRC2:TGID_Z_EN: 0
; COMPUTE_PGM_RSRC2:TIDIG_COMP_CNT: 0
	.section	.text._ZN9rocsparseL18bsrxmvn_4x4_kernelILj128ELj4Efli18rocsparse_bfloat16S1_fEEvT3_20rocsparse_direction_NS_24const_host_device_scalarIT1_EES2_PKS2_PKT2_SB_S8_PKT4_PKT5_S6_PT6_21rocsparse_index_base_b,"axG",@progbits,_ZN9rocsparseL18bsrxmvn_4x4_kernelILj128ELj4Efli18rocsparse_bfloat16S1_fEEvT3_20rocsparse_direction_NS_24const_host_device_scalarIT1_EES2_PKS2_PKT2_SB_S8_PKT4_PKT5_S6_PT6_21rocsparse_index_base_b,comdat
	.globl	_ZN9rocsparseL18bsrxmvn_4x4_kernelILj128ELj4Efli18rocsparse_bfloat16S1_fEEvT3_20rocsparse_direction_NS_24const_host_device_scalarIT1_EES2_PKS2_PKT2_SB_S8_PKT4_PKT5_S6_PT6_21rocsparse_index_base_b ; -- Begin function _ZN9rocsparseL18bsrxmvn_4x4_kernelILj128ELj4Efli18rocsparse_bfloat16S1_fEEvT3_20rocsparse_direction_NS_24const_host_device_scalarIT1_EES2_PKS2_PKT2_SB_S8_PKT4_PKT5_S6_PT6_21rocsparse_index_base_b
	.p2align	8
	.type	_ZN9rocsparseL18bsrxmvn_4x4_kernelILj128ELj4Efli18rocsparse_bfloat16S1_fEEvT3_20rocsparse_direction_NS_24const_host_device_scalarIT1_EES2_PKS2_PKT2_SB_S8_PKT4_PKT5_S6_PT6_21rocsparse_index_base_b,@function
_ZN9rocsparseL18bsrxmvn_4x4_kernelILj128ELj4Efli18rocsparse_bfloat16S1_fEEvT3_20rocsparse_direction_NS_24const_host_device_scalarIT1_EES2_PKS2_PKT2_SB_S8_PKT4_PKT5_S6_PT6_21rocsparse_index_base_b: ; @_ZN9rocsparseL18bsrxmvn_4x4_kernelILj128ELj4Efli18rocsparse_bfloat16S1_fEEvT3_20rocsparse_direction_NS_24const_host_device_scalarIT1_EES2_PKS2_PKT2_SB_S8_PKT4_PKT5_S6_PT6_21rocsparse_index_base_b
; %bb.0:
	s_clause 0x2
	s_load_dwordx2 s[18:19], s[4:5], 0x58
	s_load_dwordx2 s[16:17], s[4:5], 0x8
	;; [unrolled: 1-line block ×3, first 2 shown]
	s_waitcnt lgkmcnt(0)
	s_bitcmp1_b32 s19, 0
	s_cselect_b32 s0, -1, 0
	s_and_b32 vcc_lo, exec_lo, s0
	s_xor_b32 s0, s0, -1
	s_cbranch_vccnz .LBB110_2
; %bb.1:
	s_load_dword s16, s[16:17], 0x0
.LBB110_2:
	s_andn2_b32 vcc_lo, exec_lo, s0
	s_cbranch_vccnz .LBB110_4
; %bb.3:
	s_load_dword s2, s[2:3], 0x0
.LBB110_4:
	s_waitcnt lgkmcnt(0)
	v_cmp_neq_f32_e64 s0, s16, 0
	v_cmp_neq_f32_e64 s1, s2, 1.0
	s_mov_b32 s3, 0
	s_or_b32 s0, s0, s1
	s_andn2_b32 vcc_lo, exec_lo, s0
	s_cbranch_vccnz .LBB110_10
; %bb.5:
	s_clause 0x1
	s_load_dwordx2 s[8:9], s[4:5], 0x18
	s_load_dwordx2 s[0:1], s[4:5], 0x0
	v_lshrrev_b32_e32 v1, 2, v0
	v_lshl_or_b32 v4, s6, 5, v1
	s_waitcnt lgkmcnt(0)
	s_cmp_lg_u64 s[8:9], 0
	s_cbranch_scc0 .LBB110_11
; %bb.6:
	s_load_dword s3, s[4:5], 0x10
	s_mov_b32 s6, 0
                                        ; implicit-def: $vgpr1
	s_waitcnt lgkmcnt(0)
	v_cmp_gt_i32_e32 vcc_lo, s3, v4
	s_mov_b32 s3, 0
	s_and_saveexec_b32 s7, vcc_lo
	s_xor_b32 s7, exec_lo, s7
	s_cbranch_execz .LBB110_8
; %bb.7:
	v_ashrrev_i32_e32 v5, 31, v4
	s_mov_b32 s3, exec_lo
	v_lshlrev_b64 v[1:2], 2, v[4:5]
	v_add_co_u32 v1, vcc_lo, s8, v1
	v_add_co_ci_u32_e64 v2, null, s9, v2, vcc_lo
	global_load_dword v1, v[1:2], off
	s_waitcnt vmcnt(0)
	v_subrev_nc_u32_e32 v1, s18, v1
.LBB110_8:
	s_or_b32 exec_lo, exec_lo, s7
	s_and_b32 vcc_lo, exec_lo, s6
	s_cbranch_vccz .LBB110_12
.LBB110_9:
	v_cmp_gt_i32_e32 vcc_lo, s0, v4
	s_andn2_b32 s0, s3, exec_lo
	s_and_b32 s3, vcc_lo, exec_lo
	s_or_b32 s3, s0, s3
	s_and_saveexec_b32 s0, s3
	s_cbranch_execnz .LBB110_13
.LBB110_10:
	s_endpgm
.LBB110_11:
                                        ; implicit-def: $vgpr1
	s_cbranch_execnz .LBB110_9
.LBB110_12:
	v_mov_b32_e32 v4, v1
	s_and_saveexec_b32 s0, s3
	s_cbranch_execz .LBB110_10
.LBB110_13:
	s_load_dwordx8 s[8:15], s[4:5], 0x20
	v_ashrrev_i32_e32 v5, 31, v4
	v_and_b32_e32 v21, 3, v0
	s_load_dwordx2 s[6:7], s[4:5], 0x40
	v_mov_b32_e32 v22, 0
	v_lshlrev_b64 v[1:2], 3, v[4:5]
	s_waitcnt lgkmcnt(0)
	v_add_co_u32 v5, vcc_lo, s8, v1
	v_add_co_ci_u32_e64 v6, null, s9, v2, vcc_lo
	v_add_co_u32 v1, vcc_lo, s10, v1
	v_add_co_ci_u32_e64 v2, null, s11, v2, vcc_lo
	v_add_co_u32 v3, vcc_lo, v5, 8
	global_load_dwordx2 v[9:10], v[5:6], off
	v_add_co_ci_u32_e64 v7, null, 0, v6, vcc_lo
	s_cmp_eq_u64 s[10:11], 0
	s_cselect_b32 vcc_lo, -1, 0
	s_cmp_eq_u32 s1, 1
	v_cndmask_b32_e32 v2, v2, v7, vcc_lo
	v_cndmask_b32_e32 v1, v1, v3, vcc_lo
	global_load_dwordx2 v[2:3], v[1:2], off
	s_waitcnt vmcnt(1)
	v_sub_co_u32 v0, vcc_lo, v9, s18
	v_subrev_co_ci_u32_e64 v1, null, 0, v10, vcc_lo
	v_add_co_u32 v0, vcc_lo, v0, v21
	v_add_co_ci_u32_e64 v1, null, 0, v1, vcc_lo
	v_lshlrev_b64 v[5:6], 5, v[0:1]
	s_waitcnt vmcnt(0)
	v_sub_co_u32 v2, vcc_lo, v2, s18
	v_subrev_co_ci_u32_e64 v3, null, 0, v3, vcc_lo
	v_add_co_u32 v5, vcc_lo, s14, v5
	v_cmp_lt_i64_e64 s0, v[0:1], v[2:3]
	v_add_co_ci_u32_e64 v6, null, s15, v6, vcc_lo
	s_cbranch_scc1 .LBB110_25
; %bb.14:
	v_mov_b32_e32 v23, 0
	v_mov_b32_e32 v24, 0
	;; [unrolled: 1-line block ×3, first 2 shown]
	s_and_saveexec_b32 s1, s0
	s_cbranch_execz .LBB110_24
; %bb.15:
	v_or_b32_e32 v7, 4, v21
	v_not_b32_e32 v12, v9
	v_not_b32_e32 v11, v10
	v_sub_co_u32 v7, s3, v7, s18
	v_sub_co_ci_u32_e64 v8, null, 0, 0, s3
	v_sub_co_u32 v13, s3, s18, v21
	v_add_co_u32 v7, vcc_lo, v7, v9
	v_add_co_ci_u32_e64 v8, null, v8, v10, vcc_lo
	v_sub_co_ci_u32_e64 v14, null, 0, 0, s3
	s_mov_b32 s3, exec_lo
	v_cmp_gt_i64_e32 vcc_lo, v[7:8], v[2:3]
	v_cndmask_b32_e32 v16, v3, v8, vcc_lo
	v_cndmask_b32_e32 v7, v2, v7, vcc_lo
	v_add_co_u32 v8, vcc_lo, v13, v12
	v_add_co_ci_u32_e64 v11, null, v14, v11, vcc_lo
	v_mov_b32_e32 v14, v6
	v_add_co_u32 v15, vcc_lo, v8, v7
	v_mov_b32_e32 v8, 0
	v_add_co_ci_u32_e64 v16, null, v11, v16, vcc_lo
	v_mov_b32_e32 v12, v1
	v_and_b32_e32 v7, 12, v15
	v_mov_b32_e32 v24, v8
	v_mov_b32_e32 v23, v8
	;; [unrolled: 1-line block ×5, first 2 shown]
	v_cmpx_ne_u64_e32 12, v[7:8]
	s_cbranch_execz .LBB110_19
; %bb.16:
	v_lshrrev_b32_e32 v7, 2, v15
	v_mov_b32_e32 v14, v6
	v_mov_b32_e32 v12, v1
	;; [unrolled: 1-line block ×4, first 2 shown]
	v_add_nc_u32_e32 v17, 1, v7
	v_lshlrev_b64 v[7:8], 2, v[0:1]
	v_mov_b32_e32 v11, v0
	v_mov_b32_e32 v23, 0
	;; [unrolled: 1-line block ×3, first 2 shown]
	v_and_b32_e32 v19, 3, v17
	v_add_co_u32 v17, vcc_lo, s12, v7
	v_add_co_ci_u32_e64 v18, null, s13, v8, vcc_lo
	v_sub_co_u32 v19, s8, 0, v19
	v_sub_co_ci_u32_e64 v20, null, 0, 0, s8
	v_mov_b32_e32 v8, 0
	s_mov_b32 s8, 0
.LBB110_17:                             ; =>This Inner Loop Header: Depth=1
	global_load_dword v7, v[17:18], off
	global_load_dwordx4 v[25:28], v[13:14], off
	s_waitcnt vmcnt(1)
	v_subrev_nc_u32_e32 v7, s18, v7
	s_waitcnt vmcnt(0)
	v_lshlrev_b32_e32 v36, 16, v27
	v_and_b32_e32 v27, 0xffff0000, v27
	v_lshlrev_b32_e32 v35, 16, v26
	v_lshlrev_b32_e32 v37, 16, v28
	;; [unrolled: 1-line block ×4, first 2 shown]
	v_and_b32_e32 v25, 0xffff0000, v25
	v_and_b32_e32 v26, 0xffff0000, v26
	;; [unrolled: 1-line block ×3, first 2 shown]
	v_ashrrev_i32_e32 v30, 31, v29
	v_lshlrev_b64 v[29:30], 1, v[29:30]
	v_add_co_u32 v33, vcc_lo, s6, v29
	v_add_co_ci_u32_e64 v34, null, s7, v30, vcc_lo
	global_load_dwordx4 v[29:32], v[13:14], off offset:16
	global_load_dwordx2 v[33:34], v[33:34], off
	v_add_co_u32 v13, vcc_lo, 0x80, v13
	v_add_co_ci_u32_e64 v14, null, 0, v14, vcc_lo
	v_add_co_u32 v11, vcc_lo, v11, 4
	v_add_co_ci_u32_e64 v12, null, 0, v12, vcc_lo
	v_add_co_u32 v17, vcc_lo, v17, 16
	v_add_co_ci_u32_e64 v18, null, 0, v18, vcc_lo
	v_add_co_u32 v19, vcc_lo, v19, 1
	v_add_co_ci_u32_e64 v20, null, 0, v20, vcc_lo
	v_cmp_eq_u64_e32 vcc_lo, 0, v[19:20]
	s_or_b32 s8, vcc_lo, s8
	s_waitcnt vmcnt(1)
	v_lshlrev_b32_e32 v38, 16, v29
	v_lshlrev_b32_e32 v40, 16, v31
	s_waitcnt vmcnt(0)
	v_lshlrev_b32_e32 v42, 16, v33
	v_and_b32_e32 v29, 0xffff0000, v29
	v_and_b32_e32 v31, 0xffff0000, v31
	;; [unrolled: 1-line block ×3, first 2 shown]
	v_lshlrev_b32_e32 v39, 16, v30
	v_fmac_f32_e32 v8, v7, v42
	v_fmac_f32_e32 v24, v36, v42
	;; [unrolled: 1-line block ×4, first 2 shown]
	v_lshlrev_b32_e32 v41, 16, v32
	v_lshlrev_b32_e32 v7, 16, v34
	v_fmac_f32_e32 v8, v25, v33
	v_fmac_f32_e32 v24, v27, v33
	;; [unrolled: 1-line block ×4, first 2 shown]
	v_and_b32_e32 v30, 0xffff0000, v30
	v_and_b32_e32 v32, 0xffff0000, v32
	;; [unrolled: 1-line block ×3, first 2 shown]
	v_fmac_f32_e32 v8, v35, v7
	v_fmac_f32_e32 v24, v37, v7
	;; [unrolled: 1-line block ×8, first 2 shown]
	s_andn2_b32 exec_lo, exec_lo, s8
	s_cbranch_execnz .LBB110_17
; %bb.18:
	s_or_b32 exec_lo, exec_lo, s8
.LBB110_19:
	s_or_b32 exec_lo, exec_lo, s3
	s_mov_b32 s3, exec_lo
	v_cmpx_lt_u64_e32 11, v[15:16]
	s_cbranch_execz .LBB110_23
; %bb.20:
	v_lshlrev_b64 v[15:16], 2, v[11:12]
	s_mov_b32 s8, 0
	v_add_co_u32 v7, vcc_lo, s12, v15
	v_add_co_ci_u32_e64 v16, null, s13, v16, vcc_lo
	v_add_co_u32 v15, vcc_lo, v7, 32
	v_add_co_ci_u32_e64 v16, null, 0, v16, vcc_lo
.LBB110_21:                             ; =>This Inner Loop Header: Depth=1
	s_clause 0x3
	global_load_dword v7, v[15:16], off offset:-32
	global_load_dword v53, v[15:16], off offset:-16
	global_load_dword v54, v[15:16], off
	global_load_dword v55, v[15:16], off offset:16
	s_clause 0x7
	global_load_dwordx4 v[17:20], v[13:14], off
	global_load_dwordx4 v[25:28], v[13:14], off offset:16
	global_load_dwordx4 v[29:32], v[13:14], off offset:128
	;; [unrolled: 1-line block ×7, first 2 shown]
	s_waitcnt vmcnt(11)
	v_subrev_nc_u32_e32 v7, s18, v7
	s_waitcnt vmcnt(10)
	v_subrev_nc_u32_e32 v56, s18, v53
	;; [unrolled: 2-line block ×4, first 2 shown]
	s_waitcnt vmcnt(7)
	v_lshlrev_b32_e32 v62, 16, v19
	v_lshlrev_b32_e32 v53, 2, v7
	v_lshlrev_b32_e32 v55, 2, v56
	v_lshlrev_b32_e32 v57, 2, v54
	v_lshlrev_b32_e32 v59, 2, v58
	v_lshlrev_b32_e32 v7, 16, v17
	v_ashrrev_i32_e32 v54, 31, v53
	v_ashrrev_i32_e32 v56, 31, v55
	;; [unrolled: 1-line block ×4, first 2 shown]
	s_waitcnt vmcnt(6)
	v_lshlrev_b32_e32 v64, 16, v25
	v_lshlrev_b64 v[53:54], 1, v[53:54]
	v_lshlrev_b64 v[55:56], 1, v[55:56]
	;; [unrolled: 1-line block ×4, first 2 shown]
	v_lshlrev_b32_e32 v66, 16, v27
	v_and_b32_e32 v17, 0xffff0000, v17
	v_add_co_u32 v53, vcc_lo, s6, v53
	v_add_co_ci_u32_e64 v54, null, s7, v54, vcc_lo
	v_add_co_u32 v55, vcc_lo, s6, v55
	v_add_co_ci_u32_e64 v56, null, s7, v56, vcc_lo
	global_load_dwordx2 v[53:54], v[53:54], off
	v_add_co_u32 v57, vcc_lo, s6, v57
	global_load_dwordx2 v[55:56], v[55:56], off
	v_add_co_ci_u32_e64 v58, null, s7, v58, vcc_lo
	v_add_co_u32 v59, vcc_lo, s6, v59
	v_add_co_ci_u32_e64 v60, null, s7, v60, vcc_lo
	global_load_dwordx2 v[57:58], v[57:58], off
	v_and_b32_e32 v19, 0xffff0000, v19
	v_and_b32_e32 v25, 0xffff0000, v25
	global_load_dwordx2 v[59:60], v[59:60], off
	v_and_b32_e32 v27, 0xffff0000, v27
	v_lshlrev_b32_e32 v61, 16, v18
	v_lshlrev_b32_e32 v63, 16, v20
	v_lshlrev_b32_e32 v65, 16, v26
	v_lshlrev_b32_e32 v67, 16, v28
	v_and_b32_e32 v18, 0xffff0000, v18
	v_and_b32_e32 v20, 0xffff0000, v20
	v_and_b32_e32 v26, 0xffff0000, v26
	v_and_b32_e32 v28, 0xffff0000, v28
	s_waitcnt vmcnt(9)
	v_lshlrev_b32_e32 v68, 16, v29
	v_lshlrev_b32_e32 v70, 16, v31
	s_waitcnt vmcnt(8)
	v_lshlrev_b32_e32 v72, 16, v33
	v_lshlrev_b32_e32 v74, 16, v35
	v_and_b32_e32 v29, 0xffff0000, v29
	v_and_b32_e32 v31, 0xffff0000, v31
	v_and_b32_e32 v33, 0xffff0000, v33
	v_and_b32_e32 v35, 0xffff0000, v35
	v_lshlrev_b32_e32 v69, 16, v30
	v_lshlrev_b32_e32 v71, 16, v32
	v_lshlrev_b32_e32 v73, 16, v34
	v_lshlrev_b32_e32 v75, 16, v36
	v_and_b32_e32 v30, 0xffff0000, v30
	v_and_b32_e32 v32, 0xffff0000, v32
	v_and_b32_e32 v34, 0xffff0000, v34
	v_and_b32_e32 v36, 0xffff0000, v36
	s_waitcnt vmcnt(7)
	v_lshlrev_b32_e32 v76, 16, v37
	v_lshlrev_b32_e32 v78, 16, v39
	s_waitcnt vmcnt(6)
	v_lshlrev_b32_e32 v80, 16, v41
	v_lshlrev_b32_e32 v82, 16, v43
	v_and_b32_e32 v37, 0xffff0000, v37
	v_and_b32_e32 v39, 0xffff0000, v39
	v_and_b32_e32 v41, 0xffff0000, v41
	;; [unrolled: 18-line block ×3, first 2 shown]
	v_and_b32_e32 v51, 0xffff0000, v51
	v_add_co_u32 v13, vcc_lo, 0x200, v13
	v_add_co_ci_u32_e64 v14, null, 0, v14, vcc_lo
	v_add_co_u32 v11, vcc_lo, v11, 16
	v_lshlrev_b32_e32 v85, 16, v46
	v_lshlrev_b32_e32 v87, 16, v48
	;; [unrolled: 1-line block ×4, first 2 shown]
	v_add_co_ci_u32_e64 v12, null, 0, v12, vcc_lo
	v_add_co_u32 v15, vcc_lo, v15, 64
	v_and_b32_e32 v46, 0xffff0000, v46
	v_and_b32_e32 v48, 0xffff0000, v48
	v_and_b32_e32 v50, 0xffff0000, v50
	v_and_b32_e32 v52, 0xffff0000, v52
	v_add_co_ci_u32_e64 v16, null, 0, v16, vcc_lo
	v_cmp_ge_i64_e32 vcc_lo, v[11:12], v[2:3]
	s_or_b32 s8, vcc_lo, s8
	s_waitcnt vmcnt(3)
	v_lshlrev_b32_e32 v92, 16, v53
	v_and_b32_e32 v53, 0xffff0000, v53
	v_fmac_f32_e32 v8, v7, v92
	v_fmac_f32_e32 v24, v62, v92
	v_fmac_f32_e32 v23, v64, v92
	v_fmac_f32_e32 v22, v66, v92
	v_lshlrev_b32_e32 v7, 16, v54
	v_fmac_f32_e32 v8, v17, v53
	v_fmac_f32_e32 v24, v19, v53
	v_fmac_f32_e32 v23, v25, v53
	v_fmac_f32_e32 v22, v27, v53
	v_and_b32_e32 v17, 0xffff0000, v54
	v_fmac_f32_e32 v8, v61, v7
	v_fmac_f32_e32 v24, v63, v7
	v_fmac_f32_e32 v23, v65, v7
	v_fmac_f32_e32 v22, v67, v7
	s_waitcnt vmcnt(2)
	v_lshlrev_b32_e32 v7, 16, v55
	v_fmac_f32_e32 v8, v18, v17
	v_fmac_f32_e32 v24, v20, v17
	v_fmac_f32_e32 v23, v26, v17
	v_fmac_f32_e32 v22, v28, v17
	v_and_b32_e32 v17, 0xffff0000, v55
	v_fmac_f32_e32 v8, v68, v7
	v_fmac_f32_e32 v24, v70, v7
	v_fmac_f32_e32 v23, v72, v7
	v_fmac_f32_e32 v22, v74, v7
	v_lshlrev_b32_e32 v7, 16, v56
	v_fmac_f32_e32 v8, v29, v17
	v_fmac_f32_e32 v24, v31, v17
	v_fmac_f32_e32 v23, v33, v17
	v_fmac_f32_e32 v22, v35, v17
	v_and_b32_e32 v17, 0xffff0000, v56
	v_fmac_f32_e32 v8, v69, v7
	v_fmac_f32_e32 v24, v71, v7
	v_fmac_f32_e32 v23, v73, v7
	v_fmac_f32_e32 v22, v75, v7
	s_waitcnt vmcnt(1)
	v_lshlrev_b32_e32 v7, 16, v57
	v_fmac_f32_e32 v8, v30, v17
	v_fmac_f32_e32 v24, v32, v17
	v_fmac_f32_e32 v23, v34, v17
	v_fmac_f32_e32 v22, v36, v17
	;; [unrolled: 21-line block ×3, first 2 shown]
	v_and_b32_e32 v17, 0xffff0000, v59
	v_fmac_f32_e32 v8, v84, v7
	v_fmac_f32_e32 v24, v86, v7
	;; [unrolled: 1-line block ×4, first 2 shown]
	v_lshlrev_b32_e32 v7, 16, v60
	v_fmac_f32_e32 v8, v45, v17
	v_fmac_f32_e32 v24, v47, v17
	v_fmac_f32_e32 v23, v49, v17
	v_fmac_f32_e32 v22, v51, v17
	v_and_b32_e32 v17, 0xffff0000, v60
	v_fmac_f32_e32 v8, v85, v7
	v_fmac_f32_e32 v24, v87, v7
	;; [unrolled: 1-line block ×8, first 2 shown]
	s_andn2_b32 exec_lo, exec_lo, s8
	s_cbranch_execnz .LBB110_21
; %bb.22:
	s_or_b32 exec_lo, exec_lo, s8
.LBB110_23:
	s_or_b32 exec_lo, exec_lo, s3
.LBB110_24:
	s_or_b32 exec_lo, exec_lo, s1
	s_cbranch_execz .LBB110_26
	s_branch .LBB110_37
.LBB110_25:
                                        ; implicit-def: $vgpr22
                                        ; implicit-def: $vgpr23
                                        ; implicit-def: $vgpr24
                                        ; implicit-def: $vgpr8
.LBB110_26:
	v_mov_b32_e32 v22, 0
	v_mov_b32_e32 v23, 0
	;; [unrolled: 1-line block ×4, first 2 shown]
	s_and_saveexec_b32 s1, s0
	s_cbranch_execz .LBB110_36
; %bb.27:
	v_or_b32_e32 v7, 4, v21
	v_sub_co_u32 v7, s0, v7, s18
	v_sub_co_ci_u32_e64 v8, null, 0, 0, s0
	v_sub_co_u32 v11, s0, s18, v21
	v_add_co_u32 v7, vcc_lo, v7, v9
	v_add_co_ci_u32_e64 v8, null, v8, v10, vcc_lo
	v_not_b32_e32 v9, v9
	v_not_b32_e32 v10, v10
	v_sub_co_ci_u32_e64 v12, null, 0, 0, s0
	v_cmp_gt_i64_e32 vcc_lo, v[7:8], v[2:3]
	s_mov_b32 s0, exec_lo
	v_cndmask_b32_e32 v13, v3, v8, vcc_lo
	v_cndmask_b32_e32 v7, v2, v7, vcc_lo
	v_add_co_u32 v8, vcc_lo, v11, v9
	v_add_co_ci_u32_e64 v10, null, v12, v10, vcc_lo
	v_add_co_u32 v9, vcc_lo, v8, v7
	v_mov_b32_e32 v8, 0
	v_add_co_ci_u32_e64 v10, null, v10, v13, vcc_lo
	v_and_b32_e32 v7, 12, v9
	v_mov_b32_e32 v24, v8
	v_mov_b32_e32 v23, v8
	;; [unrolled: 1-line block ×3, first 2 shown]
	v_cmpx_ne_u64_e32 12, v[7:8]
	s_cbranch_execz .LBB110_31
; %bb.28:
	v_lshrrev_b32_e32 v7, 2, v9
	v_mov_b32_e32 v22, 0
	v_mov_b32_e32 v23, 0
	;; [unrolled: 1-line block ×3, first 2 shown]
	v_add_nc_u32_e32 v11, 1, v7
	v_lshlrev_b64 v[7:8], 2, v[0:1]
	v_and_b32_e32 v13, 3, v11
	v_add_co_u32 v11, vcc_lo, s12, v7
	v_add_co_ci_u32_e64 v12, null, s13, v8, vcc_lo
	v_sub_co_u32 v13, s3, 0, v13
	v_sub_co_ci_u32_e64 v14, null, 0, 0, s3
	v_mov_b32_e32 v8, 0
	s_mov_b32 s3, 0
.LBB110_29:                             ; =>This Inner Loop Header: Depth=1
	global_load_dword v7, v[11:12], off
	global_load_dwordx4 v[15:18], v[5:6], off
	s_waitcnt vmcnt(1)
	v_subrev_nc_u32_e32 v7, s18, v7
	s_waitcnt vmcnt(0)
	v_lshlrev_b32_e32 v29, 16, v16
	v_and_b32_e32 v16, 0xffff0000, v16
	v_lshlrev_b32_e32 v30, 16, v17
	v_and_b32_e32 v17, 0xffff0000, v17
	v_lshlrev_b32_e32 v19, 2, v7
	v_lshlrev_b32_e32 v7, 16, v15
	v_and_b32_e32 v15, 0xffff0000, v15
	v_lshlrev_b32_e32 v31, 16, v18
	v_and_b32_e32 v18, 0xffff0000, v18
	v_ashrrev_i32_e32 v20, 31, v19
	v_lshlrev_b64 v[19:20], 1, v[19:20]
	v_add_co_u32 v19, vcc_lo, s6, v19
	v_add_co_ci_u32_e64 v20, null, s7, v20, vcc_lo
	global_load_dwordx2 v[19:20], v[19:20], off
	global_load_dwordx4 v[25:28], v[5:6], off offset:16
	v_add_co_u32 v5, vcc_lo, 0x80, v5
	v_add_co_ci_u32_e64 v6, null, 0, v6, vcc_lo
	v_add_co_u32 v0, vcc_lo, v0, 4
	v_add_co_ci_u32_e64 v1, null, 0, v1, vcc_lo
	;; [unrolled: 2-line block ×4, first 2 shown]
	v_cmp_eq_u64_e32 vcc_lo, 0, v[13:14]
	s_or_b32 s3, vcc_lo, s3
	s_waitcnt vmcnt(1)
	v_lshlrev_b32_e32 v36, 16, v19
	v_and_b32_e32 v19, 0xffff0000, v19
	s_waitcnt vmcnt(0)
	v_lshlrev_b32_e32 v32, 16, v25
	v_and_b32_e32 v25, 0xffff0000, v25
	v_lshlrev_b32_e32 v33, 16, v26
	v_fmac_f32_e32 v8, v7, v36
	v_fmac_f32_e32 v24, v15, v36
	;; [unrolled: 1-line block ×4, first 2 shown]
	v_and_b32_e32 v26, 0xffff0000, v26
	v_lshlrev_b32_e32 v7, 16, v20
	v_fmac_f32_e32 v8, v30, v19
	v_fmac_f32_e32 v24, v17, v19
	;; [unrolled: 1-line block ×4, first 2 shown]
	v_lshlrev_b32_e32 v34, 16, v27
	v_and_b32_e32 v27, 0xffff0000, v27
	v_lshlrev_b32_e32 v35, 16, v28
	v_and_b32_e32 v28, 0xffff0000, v28
	v_and_b32_e32 v15, 0xffff0000, v20
	v_fmac_f32_e32 v8, v32, v7
	v_fmac_f32_e32 v24, v25, v7
	;; [unrolled: 1-line block ×8, first 2 shown]
	s_andn2_b32 exec_lo, exec_lo, s3
	s_cbranch_execnz .LBB110_29
; %bb.30:
	s_or_b32 exec_lo, exec_lo, s3
.LBB110_31:
	s_or_b32 exec_lo, exec_lo, s0
	s_mov_b32 s0, exec_lo
	v_cmpx_lt_u64_e32 11, v[9:10]
	s_cbranch_execz .LBB110_35
; %bb.32:
	v_lshlrev_b64 v[9:10], 2, v[0:1]
	s_mov_b32 s3, 0
	v_add_co_u32 v7, vcc_lo, s12, v9
	v_add_co_ci_u32_e64 v10, null, s13, v10, vcc_lo
	v_add_co_u32 v9, vcc_lo, v7, 32
	v_add_co_ci_u32_e64 v10, null, 0, v10, vcc_lo
.LBB110_33:                             ; =>This Inner Loop Header: Depth=1
	s_clause 0x3
	global_load_dword v7, v[9:10], off offset:-32
	global_load_dword v19, v[9:10], off offset:-16
	global_load_dword v20, v[9:10], off
	global_load_dword v45, v[9:10], off offset:16
	s_clause 0x6
	global_load_dwordx4 v[11:14], v[5:6], off
	global_load_dwordx4 v[15:18], v[5:6], off offset:16
	global_load_dwordx4 v[25:28], v[5:6], off offset:128
	;; [unrolled: 1-line block ×6, first 2 shown]
	s_waitcnt vmcnt(10)
	v_subrev_nc_u32_e32 v7, s18, v7
	s_waitcnt vmcnt(9)
	v_subrev_nc_u32_e32 v46, s18, v19
	;; [unrolled: 2-line block ×4, first 2 shown]
	s_waitcnt vmcnt(6)
	v_lshlrev_b32_e32 v55, 16, v12
	v_lshlrev_b32_e32 v19, 2, v7
	;; [unrolled: 1-line block ×6, first 2 shown]
	v_ashrrev_i32_e32 v20, 31, v19
	v_ashrrev_i32_e32 v46, 31, v45
	;; [unrolled: 1-line block ×4, first 2 shown]
	v_and_b32_e32 v11, 0xffff0000, v11
	v_lshlrev_b64 v[19:20], 1, v[19:20]
	v_lshlrev_b64 v[45:46], 1, v[45:46]
	;; [unrolled: 1-line block ×4, first 2 shown]
	v_and_b32_e32 v12, 0xffff0000, v12
	v_lshlrev_b32_e32 v56, 16, v13
	v_add_co_u32 v19, vcc_lo, s6, v19
	v_add_co_ci_u32_e64 v20, null, s7, v20, vcc_lo
	v_add_co_u32 v45, vcc_lo, s6, v45
	v_add_co_ci_u32_e64 v46, null, s7, v46, vcc_lo
	;; [unrolled: 2-line block ×4, first 2 shown]
	s_clause 0x3
	global_load_dwordx2 v[19:20], v[19:20], off
	global_load_dwordx2 v[51:52], v[45:46], off
	;; [unrolled: 1-line block ×4, first 2 shown]
	global_load_dwordx4 v[45:48], v[5:6], off offset:400
	v_and_b32_e32 v13, 0xffff0000, v13
	v_lshlrev_b32_e32 v57, 16, v14
	v_and_b32_e32 v14, 0xffff0000, v14
	s_waitcnt vmcnt(10)
	v_lshlrev_b32_e32 v58, 16, v15
	v_and_b32_e32 v15, 0xffff0000, v15
	v_lshlrev_b32_e32 v59, 16, v16
	v_and_b32_e32 v16, 0xffff0000, v16
	v_lshlrev_b32_e32 v60, 16, v17
	v_and_b32_e32 v17, 0xffff0000, v17
	v_lshlrev_b32_e32 v61, 16, v18
	v_and_b32_e32 v18, 0xffff0000, v18
	s_waitcnt vmcnt(9)
	v_lshlrev_b32_e32 v62, 16, v25
	v_and_b32_e32 v25, 0xffff0000, v25
	v_lshlrev_b32_e32 v63, 16, v26
	v_and_b32_e32 v26, 0xffff0000, v26
	v_lshlrev_b32_e32 v64, 16, v27
	;; [unrolled: 9-line block ×6, first 2 shown]
	v_and_b32_e32 v43, 0xffff0000, v43
	v_lshlrev_b32_e32 v81, 16, v44
	v_and_b32_e32 v44, 0xffff0000, v44
	v_add_co_u32 v5, vcc_lo, 0x200, v5
	v_add_co_ci_u32_e64 v6, null, 0, v6, vcc_lo
	v_add_co_u32 v0, vcc_lo, v0, 16
	v_add_co_ci_u32_e64 v1, null, 0, v1, vcc_lo
	;; [unrolled: 2-line block ×3, first 2 shown]
	v_cmp_ge_i64_e32 vcc_lo, v[0:1], v[2:3]
	s_or_b32 s3, vcc_lo, s3
	s_waitcnt vmcnt(4)
	v_lshlrev_b32_e32 v86, 16, v19
	v_and_b32_e32 v19, 0xffff0000, v19
	s_waitcnt vmcnt(0)
	v_lshlrev_b32_e32 v82, 16, v45
	v_fmac_f32_e32 v8, v7, v86
	v_fmac_f32_e32 v24, v11, v86
	v_fmac_f32_e32 v23, v55, v86
	v_fmac_f32_e32 v22, v12, v86
	v_lshlrev_b32_e32 v7, 16, v20
	v_fmac_f32_e32 v8, v56, v19
	v_fmac_f32_e32 v24, v13, v19
	v_fmac_f32_e32 v23, v57, v19
	v_fmac_f32_e32 v22, v14, v19
	v_and_b32_e32 v11, 0xffff0000, v20
	v_fmac_f32_e32 v8, v58, v7
	v_fmac_f32_e32 v24, v15, v7
	v_fmac_f32_e32 v23, v59, v7
	v_fmac_f32_e32 v22, v16, v7
	v_lshlrev_b32_e32 v7, 16, v51
	v_fmac_f32_e32 v8, v60, v11
	v_fmac_f32_e32 v24, v17, v11
	v_fmac_f32_e32 v23, v61, v11
	v_fmac_f32_e32 v22, v18, v11
	v_and_b32_e32 v11, 0xffff0000, v51
	;; [unrolled: 10-line block ×6, first 2 shown]
	v_fmac_f32_e32 v8, v78, v7
	v_fmac_f32_e32 v24, v41, v7
	;; [unrolled: 1-line block ×4, first 2 shown]
	v_and_b32_e32 v45, 0xffff0000, v45
	v_lshlrev_b32_e32 v83, 16, v46
	v_and_b32_e32 v46, 0xffff0000, v46
	v_lshlrev_b32_e32 v7, 16, v50
	v_fmac_f32_e32 v8, v80, v11
	v_fmac_f32_e32 v24, v43, v11
	;; [unrolled: 1-line block ×4, first 2 shown]
	v_lshlrev_b32_e32 v84, 16, v47
	v_and_b32_e32 v47, 0xffff0000, v47
	v_lshlrev_b32_e32 v85, 16, v48
	v_and_b32_e32 v48, 0xffff0000, v48
	v_and_b32_e32 v11, 0xffff0000, v50
	v_fmac_f32_e32 v8, v82, v7
	v_fmac_f32_e32 v24, v45, v7
	;; [unrolled: 1-line block ×8, first 2 shown]
	s_andn2_b32 exec_lo, exec_lo, s3
	s_cbranch_execnz .LBB110_33
; %bb.34:
	s_or_b32 exec_lo, exec_lo, s3
.LBB110_35:
	s_or_b32 exec_lo, exec_lo, s0
.LBB110_36:
	s_or_b32 exec_lo, exec_lo, s1
.LBB110_37:
	v_mbcnt_lo_u32_b32 v0, -1, 0
	s_mov_b32 s3, -1
	v_xor_b32_e32 v1, 2, v0
	v_cmp_gt_i32_e32 vcc_lo, 32, v1
	v_cndmask_b32_e32 v1, v0, v1, vcc_lo
	v_lshlrev_b32_e32 v1, 2, v1
	ds_bpermute_b32 v2, v1, v8
	ds_bpermute_b32 v3, v1, v24
	;; [unrolled: 1-line block ×4, first 2 shown]
	v_xor_b32_e32 v1, 1, v0
	v_cmp_gt_i32_e32 vcc_lo, 32, v1
	v_cndmask_b32_e32 v0, v0, v1, vcc_lo
	v_cmp_eq_u32_e32 vcc_lo, 3, v21
	v_lshlrev_b32_e32 v9, 2, v0
	s_waitcnt lgkmcnt(3)
	v_add_f32_e32 v0, v8, v2
	s_waitcnt lgkmcnt(2)
	v_add_f32_e32 v1, v24, v3
	;; [unrolled: 2-line block ×4, first 2 shown]
	ds_bpermute_b32 v5, v9, v0
	ds_bpermute_b32 v6, v9, v1
	;; [unrolled: 1-line block ×4, first 2 shown]
	s_and_b32 exec_lo, exec_lo, vcc_lo
	s_cbranch_execz .LBB110_10
; %bb.38:
	s_load_dwordx2 s[0:1], s[4:5], 0x50
	s_waitcnt lgkmcnt(0)
	v_add_f32_e32 v0, v0, v5
	v_add_f32_e32 v1, v1, v6
	;; [unrolled: 1-line block ×4, first 2 shown]
	v_cmp_eq_f32_e64 s4, s2, 0
	v_mul_f32_e32 v0, s16, v0
	v_mul_f32_e32 v1, s16, v1
	;; [unrolled: 1-line block ×4, first 2 shown]
	v_lshlrev_b32_e32 v4, 2, v4
	s_and_b32 vcc_lo, exec_lo, s4
	s_cbranch_vccz .LBB110_40
; %bb.39:
	v_ashrrev_i32_e32 v5, 31, v4
	s_mov_b32 s3, 0
	v_lshlrev_b64 v[5:6], 2, v[4:5]
	v_add_co_u32 v5, vcc_lo, s0, v5
	v_add_co_ci_u32_e64 v6, null, s1, v6, vcc_lo
	global_store_dwordx4 v[5:6], v[0:3], off
.LBB110_40:
	s_andn2_b32 vcc_lo, exec_lo, s3
	s_cbranch_vccnz .LBB110_10
; %bb.41:
	v_ashrrev_i32_e32 v5, 31, v4
	v_lshlrev_b64 v[4:5], 2, v[4:5]
	v_add_co_u32 v8, vcc_lo, s0, v4
	v_add_co_ci_u32_e64 v9, null, s1, v5, vcc_lo
	global_load_dwordx4 v[4:7], v[8:9], off
	s_waitcnt vmcnt(0)
	v_fmac_f32_e32 v0, s2, v4
	v_fmac_f32_e32 v1, s2, v5
	;; [unrolled: 1-line block ×4, first 2 shown]
	global_store_dwordx4 v[8:9], v[0:3], off
	s_endpgm
	.section	.rodata,"a",@progbits
	.p2align	6, 0x0
	.amdhsa_kernel _ZN9rocsparseL18bsrxmvn_4x4_kernelILj128ELj4Efli18rocsparse_bfloat16S1_fEEvT3_20rocsparse_direction_NS_24const_host_device_scalarIT1_EES2_PKS2_PKT2_SB_S8_PKT4_PKT5_S6_PT6_21rocsparse_index_base_b
		.amdhsa_group_segment_fixed_size 0
		.amdhsa_private_segment_fixed_size 0
		.amdhsa_kernarg_size 96
		.amdhsa_user_sgpr_count 6
		.amdhsa_user_sgpr_private_segment_buffer 1
		.amdhsa_user_sgpr_dispatch_ptr 0
		.amdhsa_user_sgpr_queue_ptr 0
		.amdhsa_user_sgpr_kernarg_segment_ptr 1
		.amdhsa_user_sgpr_dispatch_id 0
		.amdhsa_user_sgpr_flat_scratch_init 0
		.amdhsa_user_sgpr_private_segment_size 0
		.amdhsa_wavefront_size32 1
		.amdhsa_uses_dynamic_stack 0
		.amdhsa_system_sgpr_private_segment_wavefront_offset 0
		.amdhsa_system_sgpr_workgroup_id_x 1
		.amdhsa_system_sgpr_workgroup_id_y 0
		.amdhsa_system_sgpr_workgroup_id_z 0
		.amdhsa_system_sgpr_workgroup_info 0
		.amdhsa_system_vgpr_workitem_id 0
		.amdhsa_next_free_vgpr 93
		.amdhsa_next_free_sgpr 20
		.amdhsa_reserve_vcc 1
		.amdhsa_reserve_flat_scratch 0
		.amdhsa_float_round_mode_32 0
		.amdhsa_float_round_mode_16_64 0
		.amdhsa_float_denorm_mode_32 3
		.amdhsa_float_denorm_mode_16_64 3
		.amdhsa_dx10_clamp 1
		.amdhsa_ieee_mode 1
		.amdhsa_fp16_overflow 0
		.amdhsa_workgroup_processor_mode 1
		.amdhsa_memory_ordered 1
		.amdhsa_forward_progress 1
		.amdhsa_shared_vgpr_count 0
		.amdhsa_exception_fp_ieee_invalid_op 0
		.amdhsa_exception_fp_denorm_src 0
		.amdhsa_exception_fp_ieee_div_zero 0
		.amdhsa_exception_fp_ieee_overflow 0
		.amdhsa_exception_fp_ieee_underflow 0
		.amdhsa_exception_fp_ieee_inexact 0
		.amdhsa_exception_int_div_zero 0
	.end_amdhsa_kernel
	.section	.text._ZN9rocsparseL18bsrxmvn_4x4_kernelILj128ELj4Efli18rocsparse_bfloat16S1_fEEvT3_20rocsparse_direction_NS_24const_host_device_scalarIT1_EES2_PKS2_PKT2_SB_S8_PKT4_PKT5_S6_PT6_21rocsparse_index_base_b,"axG",@progbits,_ZN9rocsparseL18bsrxmvn_4x4_kernelILj128ELj4Efli18rocsparse_bfloat16S1_fEEvT3_20rocsparse_direction_NS_24const_host_device_scalarIT1_EES2_PKS2_PKT2_SB_S8_PKT4_PKT5_S6_PT6_21rocsparse_index_base_b,comdat
.Lfunc_end110:
	.size	_ZN9rocsparseL18bsrxmvn_4x4_kernelILj128ELj4Efli18rocsparse_bfloat16S1_fEEvT3_20rocsparse_direction_NS_24const_host_device_scalarIT1_EES2_PKS2_PKT2_SB_S8_PKT4_PKT5_S6_PT6_21rocsparse_index_base_b, .Lfunc_end110-_ZN9rocsparseL18bsrxmvn_4x4_kernelILj128ELj4Efli18rocsparse_bfloat16S1_fEEvT3_20rocsparse_direction_NS_24const_host_device_scalarIT1_EES2_PKS2_PKT2_SB_S8_PKT4_PKT5_S6_PT6_21rocsparse_index_base_b
                                        ; -- End function
	.set _ZN9rocsparseL18bsrxmvn_4x4_kernelILj128ELj4Efli18rocsparse_bfloat16S1_fEEvT3_20rocsparse_direction_NS_24const_host_device_scalarIT1_EES2_PKS2_PKT2_SB_S8_PKT4_PKT5_S6_PT6_21rocsparse_index_base_b.num_vgpr, 93
	.set _ZN9rocsparseL18bsrxmvn_4x4_kernelILj128ELj4Efli18rocsparse_bfloat16S1_fEEvT3_20rocsparse_direction_NS_24const_host_device_scalarIT1_EES2_PKS2_PKT2_SB_S8_PKT4_PKT5_S6_PT6_21rocsparse_index_base_b.num_agpr, 0
	.set _ZN9rocsparseL18bsrxmvn_4x4_kernelILj128ELj4Efli18rocsparse_bfloat16S1_fEEvT3_20rocsparse_direction_NS_24const_host_device_scalarIT1_EES2_PKS2_PKT2_SB_S8_PKT4_PKT5_S6_PT6_21rocsparse_index_base_b.numbered_sgpr, 20
	.set _ZN9rocsparseL18bsrxmvn_4x4_kernelILj128ELj4Efli18rocsparse_bfloat16S1_fEEvT3_20rocsparse_direction_NS_24const_host_device_scalarIT1_EES2_PKS2_PKT2_SB_S8_PKT4_PKT5_S6_PT6_21rocsparse_index_base_b.num_named_barrier, 0
	.set _ZN9rocsparseL18bsrxmvn_4x4_kernelILj128ELj4Efli18rocsparse_bfloat16S1_fEEvT3_20rocsparse_direction_NS_24const_host_device_scalarIT1_EES2_PKS2_PKT2_SB_S8_PKT4_PKT5_S6_PT6_21rocsparse_index_base_b.private_seg_size, 0
	.set _ZN9rocsparseL18bsrxmvn_4x4_kernelILj128ELj4Efli18rocsparse_bfloat16S1_fEEvT3_20rocsparse_direction_NS_24const_host_device_scalarIT1_EES2_PKS2_PKT2_SB_S8_PKT4_PKT5_S6_PT6_21rocsparse_index_base_b.uses_vcc, 1
	.set _ZN9rocsparseL18bsrxmvn_4x4_kernelILj128ELj4Efli18rocsparse_bfloat16S1_fEEvT3_20rocsparse_direction_NS_24const_host_device_scalarIT1_EES2_PKS2_PKT2_SB_S8_PKT4_PKT5_S6_PT6_21rocsparse_index_base_b.uses_flat_scratch, 0
	.set _ZN9rocsparseL18bsrxmvn_4x4_kernelILj128ELj4Efli18rocsparse_bfloat16S1_fEEvT3_20rocsparse_direction_NS_24const_host_device_scalarIT1_EES2_PKS2_PKT2_SB_S8_PKT4_PKT5_S6_PT6_21rocsparse_index_base_b.has_dyn_sized_stack, 0
	.set _ZN9rocsparseL18bsrxmvn_4x4_kernelILj128ELj4Efli18rocsparse_bfloat16S1_fEEvT3_20rocsparse_direction_NS_24const_host_device_scalarIT1_EES2_PKS2_PKT2_SB_S8_PKT4_PKT5_S6_PT6_21rocsparse_index_base_b.has_recursion, 0
	.set _ZN9rocsparseL18bsrxmvn_4x4_kernelILj128ELj4Efli18rocsparse_bfloat16S1_fEEvT3_20rocsparse_direction_NS_24const_host_device_scalarIT1_EES2_PKS2_PKT2_SB_S8_PKT4_PKT5_S6_PT6_21rocsparse_index_base_b.has_indirect_call, 0
	.section	.AMDGPU.csdata,"",@progbits
; Kernel info:
; codeLenInByte = 4488
; TotalNumSgprs: 22
; NumVgprs: 93
; ScratchSize: 0
; MemoryBound: 0
; FloatMode: 240
; IeeeMode: 1
; LDSByteSize: 0 bytes/workgroup (compile time only)
; SGPRBlocks: 0
; VGPRBlocks: 11
; NumSGPRsForWavesPerEU: 22
; NumVGPRsForWavesPerEU: 93
; Occupancy: 10
; WaveLimiterHint : 1
; COMPUTE_PGM_RSRC2:SCRATCH_EN: 0
; COMPUTE_PGM_RSRC2:USER_SGPR: 6
; COMPUTE_PGM_RSRC2:TRAP_HANDLER: 0
; COMPUTE_PGM_RSRC2:TGID_X_EN: 1
; COMPUTE_PGM_RSRC2:TGID_Y_EN: 0
; COMPUTE_PGM_RSRC2:TGID_Z_EN: 0
; COMPUTE_PGM_RSRC2:TIDIG_COMP_CNT: 0
	.section	.text._ZN9rocsparseL18bsrxmvn_4x4_kernelILj128ELj8Efli18rocsparse_bfloat16S1_fEEvT3_20rocsparse_direction_NS_24const_host_device_scalarIT1_EES2_PKS2_PKT2_SB_S8_PKT4_PKT5_S6_PT6_21rocsparse_index_base_b,"axG",@progbits,_ZN9rocsparseL18bsrxmvn_4x4_kernelILj128ELj8Efli18rocsparse_bfloat16S1_fEEvT3_20rocsparse_direction_NS_24const_host_device_scalarIT1_EES2_PKS2_PKT2_SB_S8_PKT4_PKT5_S6_PT6_21rocsparse_index_base_b,comdat
	.globl	_ZN9rocsparseL18bsrxmvn_4x4_kernelILj128ELj8Efli18rocsparse_bfloat16S1_fEEvT3_20rocsparse_direction_NS_24const_host_device_scalarIT1_EES2_PKS2_PKT2_SB_S8_PKT4_PKT5_S6_PT6_21rocsparse_index_base_b ; -- Begin function _ZN9rocsparseL18bsrxmvn_4x4_kernelILj128ELj8Efli18rocsparse_bfloat16S1_fEEvT3_20rocsparse_direction_NS_24const_host_device_scalarIT1_EES2_PKS2_PKT2_SB_S8_PKT4_PKT5_S6_PT6_21rocsparse_index_base_b
	.p2align	8
	.type	_ZN9rocsparseL18bsrxmvn_4x4_kernelILj128ELj8Efli18rocsparse_bfloat16S1_fEEvT3_20rocsparse_direction_NS_24const_host_device_scalarIT1_EES2_PKS2_PKT2_SB_S8_PKT4_PKT5_S6_PT6_21rocsparse_index_base_b,@function
_ZN9rocsparseL18bsrxmvn_4x4_kernelILj128ELj8Efli18rocsparse_bfloat16S1_fEEvT3_20rocsparse_direction_NS_24const_host_device_scalarIT1_EES2_PKS2_PKT2_SB_S8_PKT4_PKT5_S6_PT6_21rocsparse_index_base_b: ; @_ZN9rocsparseL18bsrxmvn_4x4_kernelILj128ELj8Efli18rocsparse_bfloat16S1_fEEvT3_20rocsparse_direction_NS_24const_host_device_scalarIT1_EES2_PKS2_PKT2_SB_S8_PKT4_PKT5_S6_PT6_21rocsparse_index_base_b
; %bb.0:
	s_clause 0x2
	s_load_dwordx2 s[18:19], s[4:5], 0x58
	s_load_dwordx2 s[16:17], s[4:5], 0x8
	;; [unrolled: 1-line block ×3, first 2 shown]
	s_waitcnt lgkmcnt(0)
	s_bitcmp1_b32 s19, 0
	s_cselect_b32 s0, -1, 0
	s_and_b32 vcc_lo, exec_lo, s0
	s_xor_b32 s0, s0, -1
	s_cbranch_vccnz .LBB111_2
; %bb.1:
	s_load_dword s16, s[16:17], 0x0
.LBB111_2:
	s_andn2_b32 vcc_lo, exec_lo, s0
	s_cbranch_vccnz .LBB111_4
; %bb.3:
	s_load_dword s2, s[2:3], 0x0
.LBB111_4:
	s_waitcnt lgkmcnt(0)
	v_cmp_neq_f32_e64 s0, s16, 0
	v_cmp_neq_f32_e64 s1, s2, 1.0
	s_mov_b32 s3, 0
	s_or_b32 s0, s0, s1
	s_andn2_b32 vcc_lo, exec_lo, s0
	s_cbranch_vccnz .LBB111_10
; %bb.5:
	s_clause 0x1
	s_load_dwordx2 s[8:9], s[4:5], 0x18
	s_load_dwordx2 s[0:1], s[4:5], 0x0
	v_lshrrev_b32_e32 v1, 3, v0
	v_lshl_or_b32 v4, s6, 4, v1
	s_waitcnt lgkmcnt(0)
	s_cmp_lg_u64 s[8:9], 0
	s_cbranch_scc0 .LBB111_11
; %bb.6:
	s_load_dword s3, s[4:5], 0x10
	s_mov_b32 s6, 0
                                        ; implicit-def: $vgpr1
	s_waitcnt lgkmcnt(0)
	v_cmp_gt_i32_e32 vcc_lo, s3, v4
	s_mov_b32 s3, 0
	s_and_saveexec_b32 s7, vcc_lo
	s_xor_b32 s7, exec_lo, s7
	s_cbranch_execz .LBB111_8
; %bb.7:
	v_ashrrev_i32_e32 v5, 31, v4
	s_mov_b32 s3, exec_lo
	v_lshlrev_b64 v[1:2], 2, v[4:5]
	v_add_co_u32 v1, vcc_lo, s8, v1
	v_add_co_ci_u32_e64 v2, null, s9, v2, vcc_lo
	global_load_dword v1, v[1:2], off
	s_waitcnt vmcnt(0)
	v_subrev_nc_u32_e32 v1, s18, v1
.LBB111_8:
	s_or_b32 exec_lo, exec_lo, s7
	s_and_b32 vcc_lo, exec_lo, s6
	s_cbranch_vccz .LBB111_12
.LBB111_9:
	v_cmp_gt_i32_e32 vcc_lo, s0, v4
	s_andn2_b32 s0, s3, exec_lo
	s_and_b32 s3, vcc_lo, exec_lo
	s_or_b32 s3, s0, s3
	s_and_saveexec_b32 s0, s3
	s_cbranch_execnz .LBB111_13
.LBB111_10:
	s_endpgm
.LBB111_11:
                                        ; implicit-def: $vgpr1
	s_cbranch_execnz .LBB111_9
.LBB111_12:
	v_mov_b32_e32 v4, v1
	s_and_saveexec_b32 s0, s3
	s_cbranch_execz .LBB111_10
.LBB111_13:
	s_load_dwordx8 s[8:15], s[4:5], 0x20
	v_ashrrev_i32_e32 v5, 31, v4
	v_and_b32_e32 v21, 7, v0
	s_load_dwordx2 s[6:7], s[4:5], 0x40
	v_mov_b32_e32 v22, 0
	v_lshlrev_b64 v[1:2], 3, v[4:5]
	s_waitcnt lgkmcnt(0)
	v_add_co_u32 v5, vcc_lo, s8, v1
	v_add_co_ci_u32_e64 v6, null, s9, v2, vcc_lo
	v_add_co_u32 v1, vcc_lo, s10, v1
	v_add_co_ci_u32_e64 v2, null, s11, v2, vcc_lo
	v_add_co_u32 v3, vcc_lo, v5, 8
	global_load_dwordx2 v[9:10], v[5:6], off
	v_add_co_ci_u32_e64 v7, null, 0, v6, vcc_lo
	s_cmp_eq_u64 s[10:11], 0
	s_cselect_b32 vcc_lo, -1, 0
	s_cmp_eq_u32 s1, 1
	v_cndmask_b32_e32 v2, v2, v7, vcc_lo
	v_cndmask_b32_e32 v1, v1, v3, vcc_lo
	global_load_dwordx2 v[2:3], v[1:2], off
	s_waitcnt vmcnt(1)
	v_sub_co_u32 v0, vcc_lo, v9, s18
	v_subrev_co_ci_u32_e64 v1, null, 0, v10, vcc_lo
	v_add_co_u32 v0, vcc_lo, v0, v21
	v_add_co_ci_u32_e64 v1, null, 0, v1, vcc_lo
	v_lshlrev_b64 v[5:6], 5, v[0:1]
	s_waitcnt vmcnt(0)
	v_sub_co_u32 v2, vcc_lo, v2, s18
	v_subrev_co_ci_u32_e64 v3, null, 0, v3, vcc_lo
	v_add_co_u32 v5, vcc_lo, s14, v5
	v_cmp_lt_i64_e64 s0, v[0:1], v[2:3]
	v_add_co_ci_u32_e64 v6, null, s15, v6, vcc_lo
	s_cbranch_scc1 .LBB111_25
; %bb.14:
	v_mov_b32_e32 v23, 0
	v_mov_b32_e32 v24, 0
	;; [unrolled: 1-line block ×3, first 2 shown]
	s_and_saveexec_b32 s1, s0
	s_cbranch_execz .LBB111_24
; %bb.15:
	v_or_b32_e32 v7, 8, v21
	v_not_b32_e32 v12, v9
	v_not_b32_e32 v11, v10
	v_sub_co_u32 v7, s3, v7, s18
	v_sub_co_ci_u32_e64 v8, null, 0, 0, s3
	v_sub_co_u32 v13, s3, s18, v21
	v_add_co_u32 v7, vcc_lo, v7, v9
	v_add_co_ci_u32_e64 v8, null, v8, v10, vcc_lo
	v_sub_co_ci_u32_e64 v14, null, 0, 0, s3
	s_mov_b32 s3, exec_lo
	v_cmp_gt_i64_e32 vcc_lo, v[7:8], v[2:3]
	v_cndmask_b32_e32 v16, v3, v8, vcc_lo
	v_cndmask_b32_e32 v7, v2, v7, vcc_lo
	v_add_co_u32 v8, vcc_lo, v13, v12
	v_add_co_ci_u32_e64 v11, null, v14, v11, vcc_lo
	v_mov_b32_e32 v14, v6
	v_add_co_u32 v15, vcc_lo, v8, v7
	v_mov_b32_e32 v8, 0
	v_add_co_ci_u32_e64 v16, null, v11, v16, vcc_lo
	v_mov_b32_e32 v12, v1
	v_and_b32_e32 v7, 24, v15
	v_mov_b32_e32 v24, v8
	v_mov_b32_e32 v23, v8
	;; [unrolled: 1-line block ×5, first 2 shown]
	v_cmpx_ne_u64_e32 24, v[7:8]
	s_cbranch_execz .LBB111_19
; %bb.16:
	v_lshrrev_b32_e32 v7, 3, v15
	v_mov_b32_e32 v14, v6
	v_mov_b32_e32 v12, v1
	;; [unrolled: 1-line block ×4, first 2 shown]
	v_add_nc_u32_e32 v17, 1, v7
	v_lshlrev_b64 v[7:8], 2, v[0:1]
	v_mov_b32_e32 v11, v0
	v_mov_b32_e32 v23, 0
	;; [unrolled: 1-line block ×3, first 2 shown]
	v_and_b32_e32 v19, 3, v17
	v_add_co_u32 v17, vcc_lo, s12, v7
	v_add_co_ci_u32_e64 v18, null, s13, v8, vcc_lo
	v_sub_co_u32 v19, s8, 0, v19
	v_sub_co_ci_u32_e64 v20, null, 0, 0, s8
	v_mov_b32_e32 v8, 0
	s_mov_b32 s8, 0
.LBB111_17:                             ; =>This Inner Loop Header: Depth=1
	global_load_dword v7, v[17:18], off
	global_load_dwordx4 v[25:28], v[13:14], off
	s_waitcnt vmcnt(1)
	v_subrev_nc_u32_e32 v7, s18, v7
	s_waitcnt vmcnt(0)
	v_lshlrev_b32_e32 v36, 16, v27
	v_and_b32_e32 v27, 0xffff0000, v27
	v_lshlrev_b32_e32 v35, 16, v26
	v_lshlrev_b32_e32 v37, 16, v28
	;; [unrolled: 1-line block ×4, first 2 shown]
	v_and_b32_e32 v25, 0xffff0000, v25
	v_and_b32_e32 v26, 0xffff0000, v26
	;; [unrolled: 1-line block ×3, first 2 shown]
	v_ashrrev_i32_e32 v30, 31, v29
	v_lshlrev_b64 v[29:30], 1, v[29:30]
	v_add_co_u32 v33, vcc_lo, s6, v29
	v_add_co_ci_u32_e64 v34, null, s7, v30, vcc_lo
	global_load_dwordx4 v[29:32], v[13:14], off offset:16
	global_load_dwordx2 v[33:34], v[33:34], off
	v_add_co_u32 v13, vcc_lo, 0x100, v13
	v_add_co_ci_u32_e64 v14, null, 0, v14, vcc_lo
	v_add_co_u32 v11, vcc_lo, v11, 8
	v_add_co_ci_u32_e64 v12, null, 0, v12, vcc_lo
	;; [unrolled: 2-line block ×4, first 2 shown]
	v_cmp_eq_u64_e32 vcc_lo, 0, v[19:20]
	s_or_b32 s8, vcc_lo, s8
	s_waitcnt vmcnt(1)
	v_lshlrev_b32_e32 v38, 16, v29
	v_lshlrev_b32_e32 v40, 16, v31
	s_waitcnt vmcnt(0)
	v_lshlrev_b32_e32 v42, 16, v33
	v_and_b32_e32 v29, 0xffff0000, v29
	v_and_b32_e32 v31, 0xffff0000, v31
	;; [unrolled: 1-line block ×3, first 2 shown]
	v_lshlrev_b32_e32 v39, 16, v30
	v_fmac_f32_e32 v8, v7, v42
	v_fmac_f32_e32 v24, v36, v42
	;; [unrolled: 1-line block ×4, first 2 shown]
	v_lshlrev_b32_e32 v41, 16, v32
	v_lshlrev_b32_e32 v7, 16, v34
	v_fmac_f32_e32 v8, v25, v33
	v_fmac_f32_e32 v24, v27, v33
	;; [unrolled: 1-line block ×4, first 2 shown]
	v_and_b32_e32 v30, 0xffff0000, v30
	v_and_b32_e32 v32, 0xffff0000, v32
	;; [unrolled: 1-line block ×3, first 2 shown]
	v_fmac_f32_e32 v8, v35, v7
	v_fmac_f32_e32 v24, v37, v7
	;; [unrolled: 1-line block ×8, first 2 shown]
	s_andn2_b32 exec_lo, exec_lo, s8
	s_cbranch_execnz .LBB111_17
; %bb.18:
	s_or_b32 exec_lo, exec_lo, s8
.LBB111_19:
	s_or_b32 exec_lo, exec_lo, s3
	s_mov_b32 s3, exec_lo
	v_cmpx_lt_u64_e32 23, v[15:16]
	s_cbranch_execz .LBB111_23
; %bb.20:
	v_lshlrev_b64 v[15:16], 2, v[11:12]
	s_mov_b32 s8, 0
	v_add_co_u32 v7, vcc_lo, s12, v15
	v_add_co_ci_u32_e64 v16, null, s13, v16, vcc_lo
	v_add_co_u32 v15, vcc_lo, v7, 64
	v_add_co_ci_u32_e64 v16, null, 0, v16, vcc_lo
.LBB111_21:                             ; =>This Inner Loop Header: Depth=1
	s_clause 0x3
	global_load_dword v7, v[15:16], off offset:-64
	global_load_dword v53, v[15:16], off offset:-32
	global_load_dword v54, v[15:16], off
	global_load_dword v55, v[15:16], off offset:32
	s_clause 0x7
	global_load_dwordx4 v[17:20], v[13:14], off
	global_load_dwordx4 v[25:28], v[13:14], off offset:16
	global_load_dwordx4 v[29:32], v[13:14], off offset:256
	;; [unrolled: 1-line block ×7, first 2 shown]
	s_waitcnt vmcnt(11)
	v_subrev_nc_u32_e32 v7, s18, v7
	s_waitcnt vmcnt(10)
	v_subrev_nc_u32_e32 v56, s18, v53
	;; [unrolled: 2-line block ×4, first 2 shown]
	s_waitcnt vmcnt(7)
	v_lshlrev_b32_e32 v62, 16, v19
	v_lshlrev_b32_e32 v53, 2, v7
	v_lshlrev_b32_e32 v55, 2, v56
	v_lshlrev_b32_e32 v57, 2, v54
	v_lshlrev_b32_e32 v59, 2, v58
	v_lshlrev_b32_e32 v7, 16, v17
	v_ashrrev_i32_e32 v54, 31, v53
	v_ashrrev_i32_e32 v56, 31, v55
	;; [unrolled: 1-line block ×4, first 2 shown]
	s_waitcnt vmcnt(6)
	v_lshlrev_b32_e32 v64, 16, v25
	v_lshlrev_b64 v[53:54], 1, v[53:54]
	v_lshlrev_b64 v[55:56], 1, v[55:56]
	;; [unrolled: 1-line block ×4, first 2 shown]
	v_lshlrev_b32_e32 v66, 16, v27
	v_and_b32_e32 v17, 0xffff0000, v17
	v_add_co_u32 v53, vcc_lo, s6, v53
	v_add_co_ci_u32_e64 v54, null, s7, v54, vcc_lo
	v_add_co_u32 v55, vcc_lo, s6, v55
	v_add_co_ci_u32_e64 v56, null, s7, v56, vcc_lo
	global_load_dwordx2 v[53:54], v[53:54], off
	v_add_co_u32 v57, vcc_lo, s6, v57
	global_load_dwordx2 v[55:56], v[55:56], off
	v_add_co_ci_u32_e64 v58, null, s7, v58, vcc_lo
	v_add_co_u32 v59, vcc_lo, s6, v59
	v_add_co_ci_u32_e64 v60, null, s7, v60, vcc_lo
	global_load_dwordx2 v[57:58], v[57:58], off
	v_and_b32_e32 v19, 0xffff0000, v19
	v_and_b32_e32 v25, 0xffff0000, v25
	global_load_dwordx2 v[59:60], v[59:60], off
	v_and_b32_e32 v27, 0xffff0000, v27
	v_lshlrev_b32_e32 v61, 16, v18
	v_lshlrev_b32_e32 v63, 16, v20
	v_lshlrev_b32_e32 v65, 16, v26
	v_lshlrev_b32_e32 v67, 16, v28
	v_and_b32_e32 v18, 0xffff0000, v18
	v_and_b32_e32 v20, 0xffff0000, v20
	v_and_b32_e32 v26, 0xffff0000, v26
	v_and_b32_e32 v28, 0xffff0000, v28
	s_waitcnt vmcnt(9)
	v_lshlrev_b32_e32 v68, 16, v29
	v_lshlrev_b32_e32 v70, 16, v31
	s_waitcnt vmcnt(8)
	v_lshlrev_b32_e32 v72, 16, v33
	v_lshlrev_b32_e32 v74, 16, v35
	v_and_b32_e32 v29, 0xffff0000, v29
	v_and_b32_e32 v31, 0xffff0000, v31
	v_and_b32_e32 v33, 0xffff0000, v33
	v_and_b32_e32 v35, 0xffff0000, v35
	v_lshlrev_b32_e32 v69, 16, v30
	v_lshlrev_b32_e32 v71, 16, v32
	v_lshlrev_b32_e32 v73, 16, v34
	v_lshlrev_b32_e32 v75, 16, v36
	v_and_b32_e32 v30, 0xffff0000, v30
	v_and_b32_e32 v32, 0xffff0000, v32
	v_and_b32_e32 v34, 0xffff0000, v34
	v_and_b32_e32 v36, 0xffff0000, v36
	s_waitcnt vmcnt(7)
	v_lshlrev_b32_e32 v76, 16, v37
	v_lshlrev_b32_e32 v78, 16, v39
	s_waitcnt vmcnt(6)
	v_lshlrev_b32_e32 v80, 16, v41
	v_lshlrev_b32_e32 v82, 16, v43
	v_and_b32_e32 v37, 0xffff0000, v37
	v_and_b32_e32 v39, 0xffff0000, v39
	v_and_b32_e32 v41, 0xffff0000, v41
	;; [unrolled: 18-line block ×3, first 2 shown]
	v_and_b32_e32 v51, 0xffff0000, v51
	v_add_co_u32 v13, vcc_lo, 0x400, v13
	v_add_co_ci_u32_e64 v14, null, 0, v14, vcc_lo
	v_add_co_u32 v11, vcc_lo, v11, 32
	v_lshlrev_b32_e32 v85, 16, v46
	v_lshlrev_b32_e32 v87, 16, v48
	;; [unrolled: 1-line block ×4, first 2 shown]
	v_add_co_ci_u32_e64 v12, null, 0, v12, vcc_lo
	v_add_co_u32 v15, vcc_lo, 0x80, v15
	v_and_b32_e32 v46, 0xffff0000, v46
	v_and_b32_e32 v48, 0xffff0000, v48
	;; [unrolled: 1-line block ×4, first 2 shown]
	v_add_co_ci_u32_e64 v16, null, 0, v16, vcc_lo
	v_cmp_ge_i64_e32 vcc_lo, v[11:12], v[2:3]
	s_or_b32 s8, vcc_lo, s8
	s_waitcnt vmcnt(3)
	v_lshlrev_b32_e32 v92, 16, v53
	v_and_b32_e32 v53, 0xffff0000, v53
	v_fmac_f32_e32 v8, v7, v92
	v_fmac_f32_e32 v24, v62, v92
	v_fmac_f32_e32 v23, v64, v92
	v_fmac_f32_e32 v22, v66, v92
	v_lshlrev_b32_e32 v7, 16, v54
	v_fmac_f32_e32 v8, v17, v53
	v_fmac_f32_e32 v24, v19, v53
	v_fmac_f32_e32 v23, v25, v53
	v_fmac_f32_e32 v22, v27, v53
	v_and_b32_e32 v17, 0xffff0000, v54
	v_fmac_f32_e32 v8, v61, v7
	v_fmac_f32_e32 v24, v63, v7
	v_fmac_f32_e32 v23, v65, v7
	v_fmac_f32_e32 v22, v67, v7
	s_waitcnt vmcnt(2)
	v_lshlrev_b32_e32 v7, 16, v55
	v_fmac_f32_e32 v8, v18, v17
	v_fmac_f32_e32 v24, v20, v17
	v_fmac_f32_e32 v23, v26, v17
	v_fmac_f32_e32 v22, v28, v17
	v_and_b32_e32 v17, 0xffff0000, v55
	v_fmac_f32_e32 v8, v68, v7
	v_fmac_f32_e32 v24, v70, v7
	v_fmac_f32_e32 v23, v72, v7
	v_fmac_f32_e32 v22, v74, v7
	v_lshlrev_b32_e32 v7, 16, v56
	v_fmac_f32_e32 v8, v29, v17
	v_fmac_f32_e32 v24, v31, v17
	v_fmac_f32_e32 v23, v33, v17
	v_fmac_f32_e32 v22, v35, v17
	v_and_b32_e32 v17, 0xffff0000, v56
	v_fmac_f32_e32 v8, v69, v7
	v_fmac_f32_e32 v24, v71, v7
	v_fmac_f32_e32 v23, v73, v7
	v_fmac_f32_e32 v22, v75, v7
	s_waitcnt vmcnt(1)
	v_lshlrev_b32_e32 v7, 16, v57
	v_fmac_f32_e32 v8, v30, v17
	v_fmac_f32_e32 v24, v32, v17
	v_fmac_f32_e32 v23, v34, v17
	v_fmac_f32_e32 v22, v36, v17
	;; [unrolled: 21-line block ×3, first 2 shown]
	v_and_b32_e32 v17, 0xffff0000, v59
	v_fmac_f32_e32 v8, v84, v7
	v_fmac_f32_e32 v24, v86, v7
	;; [unrolled: 1-line block ×4, first 2 shown]
	v_lshlrev_b32_e32 v7, 16, v60
	v_fmac_f32_e32 v8, v45, v17
	v_fmac_f32_e32 v24, v47, v17
	;; [unrolled: 1-line block ×4, first 2 shown]
	v_and_b32_e32 v17, 0xffff0000, v60
	v_fmac_f32_e32 v8, v85, v7
	v_fmac_f32_e32 v24, v87, v7
	;; [unrolled: 1-line block ×8, first 2 shown]
	s_andn2_b32 exec_lo, exec_lo, s8
	s_cbranch_execnz .LBB111_21
; %bb.22:
	s_or_b32 exec_lo, exec_lo, s8
.LBB111_23:
	s_or_b32 exec_lo, exec_lo, s3
.LBB111_24:
	s_or_b32 exec_lo, exec_lo, s1
	s_cbranch_execz .LBB111_26
	s_branch .LBB111_37
.LBB111_25:
                                        ; implicit-def: $vgpr22
                                        ; implicit-def: $vgpr23
                                        ; implicit-def: $vgpr24
                                        ; implicit-def: $vgpr8
.LBB111_26:
	v_mov_b32_e32 v22, 0
	v_mov_b32_e32 v23, 0
	;; [unrolled: 1-line block ×4, first 2 shown]
	s_and_saveexec_b32 s1, s0
	s_cbranch_execz .LBB111_36
; %bb.27:
	v_or_b32_e32 v7, 8, v21
	v_sub_co_u32 v7, s0, v7, s18
	v_sub_co_ci_u32_e64 v8, null, 0, 0, s0
	v_sub_co_u32 v11, s0, s18, v21
	v_add_co_u32 v7, vcc_lo, v7, v9
	v_add_co_ci_u32_e64 v8, null, v8, v10, vcc_lo
	v_not_b32_e32 v9, v9
	v_not_b32_e32 v10, v10
	v_sub_co_ci_u32_e64 v12, null, 0, 0, s0
	v_cmp_gt_i64_e32 vcc_lo, v[7:8], v[2:3]
	s_mov_b32 s0, exec_lo
	v_cndmask_b32_e32 v13, v3, v8, vcc_lo
	v_cndmask_b32_e32 v7, v2, v7, vcc_lo
	v_add_co_u32 v8, vcc_lo, v11, v9
	v_add_co_ci_u32_e64 v10, null, v12, v10, vcc_lo
	v_add_co_u32 v9, vcc_lo, v8, v7
	v_mov_b32_e32 v8, 0
	v_add_co_ci_u32_e64 v10, null, v10, v13, vcc_lo
	v_and_b32_e32 v7, 24, v9
	v_mov_b32_e32 v24, v8
	v_mov_b32_e32 v23, v8
	;; [unrolled: 1-line block ×3, first 2 shown]
	v_cmpx_ne_u64_e32 24, v[7:8]
	s_cbranch_execz .LBB111_31
; %bb.28:
	v_lshrrev_b32_e32 v7, 3, v9
	v_mov_b32_e32 v22, 0
	v_mov_b32_e32 v23, 0
	;; [unrolled: 1-line block ×3, first 2 shown]
	v_add_nc_u32_e32 v11, 1, v7
	v_lshlrev_b64 v[7:8], 2, v[0:1]
	v_and_b32_e32 v13, 3, v11
	v_add_co_u32 v11, vcc_lo, s12, v7
	v_add_co_ci_u32_e64 v12, null, s13, v8, vcc_lo
	v_sub_co_u32 v13, s3, 0, v13
	v_sub_co_ci_u32_e64 v14, null, 0, 0, s3
	v_mov_b32_e32 v8, 0
	s_mov_b32 s3, 0
.LBB111_29:                             ; =>This Inner Loop Header: Depth=1
	global_load_dword v7, v[11:12], off
	global_load_dwordx4 v[15:18], v[5:6], off
	s_waitcnt vmcnt(1)
	v_subrev_nc_u32_e32 v7, s18, v7
	s_waitcnt vmcnt(0)
	v_lshlrev_b32_e32 v29, 16, v16
	v_and_b32_e32 v16, 0xffff0000, v16
	v_lshlrev_b32_e32 v30, 16, v17
	v_and_b32_e32 v17, 0xffff0000, v17
	v_lshlrev_b32_e32 v19, 2, v7
	v_lshlrev_b32_e32 v7, 16, v15
	v_and_b32_e32 v15, 0xffff0000, v15
	v_lshlrev_b32_e32 v31, 16, v18
	v_and_b32_e32 v18, 0xffff0000, v18
	v_ashrrev_i32_e32 v20, 31, v19
	v_lshlrev_b64 v[19:20], 1, v[19:20]
	v_add_co_u32 v19, vcc_lo, s6, v19
	v_add_co_ci_u32_e64 v20, null, s7, v20, vcc_lo
	global_load_dwordx2 v[19:20], v[19:20], off
	global_load_dwordx4 v[25:28], v[5:6], off offset:16
	v_add_co_u32 v5, vcc_lo, 0x100, v5
	v_add_co_ci_u32_e64 v6, null, 0, v6, vcc_lo
	v_add_co_u32 v0, vcc_lo, v0, 8
	v_add_co_ci_u32_e64 v1, null, 0, v1, vcc_lo
	v_add_co_u32 v11, vcc_lo, v11, 32
	v_add_co_ci_u32_e64 v12, null, 0, v12, vcc_lo
	v_add_co_u32 v13, vcc_lo, v13, 1
	v_add_co_ci_u32_e64 v14, null, 0, v14, vcc_lo
	v_cmp_eq_u64_e32 vcc_lo, 0, v[13:14]
	s_or_b32 s3, vcc_lo, s3
	s_waitcnt vmcnt(1)
	v_lshlrev_b32_e32 v36, 16, v19
	v_and_b32_e32 v19, 0xffff0000, v19
	s_waitcnt vmcnt(0)
	v_lshlrev_b32_e32 v32, 16, v25
	v_and_b32_e32 v25, 0xffff0000, v25
	v_lshlrev_b32_e32 v33, 16, v26
	v_fmac_f32_e32 v8, v7, v36
	v_fmac_f32_e32 v24, v15, v36
	;; [unrolled: 1-line block ×4, first 2 shown]
	v_and_b32_e32 v26, 0xffff0000, v26
	v_lshlrev_b32_e32 v7, 16, v20
	v_fmac_f32_e32 v8, v30, v19
	v_fmac_f32_e32 v24, v17, v19
	;; [unrolled: 1-line block ×4, first 2 shown]
	v_lshlrev_b32_e32 v34, 16, v27
	v_and_b32_e32 v27, 0xffff0000, v27
	v_lshlrev_b32_e32 v35, 16, v28
	v_and_b32_e32 v28, 0xffff0000, v28
	v_and_b32_e32 v15, 0xffff0000, v20
	v_fmac_f32_e32 v8, v32, v7
	v_fmac_f32_e32 v24, v25, v7
	;; [unrolled: 1-line block ×8, first 2 shown]
	s_andn2_b32 exec_lo, exec_lo, s3
	s_cbranch_execnz .LBB111_29
; %bb.30:
	s_or_b32 exec_lo, exec_lo, s3
.LBB111_31:
	s_or_b32 exec_lo, exec_lo, s0
	s_mov_b32 s0, exec_lo
	v_cmpx_lt_u64_e32 23, v[9:10]
	s_cbranch_execz .LBB111_35
; %bb.32:
	v_lshlrev_b64 v[9:10], 2, v[0:1]
	s_mov_b32 s3, 0
	v_add_co_u32 v7, vcc_lo, s12, v9
	v_add_co_ci_u32_e64 v10, null, s13, v10, vcc_lo
	v_add_co_u32 v9, vcc_lo, v7, 64
	v_add_co_ci_u32_e64 v10, null, 0, v10, vcc_lo
.LBB111_33:                             ; =>This Inner Loop Header: Depth=1
	s_clause 0x3
	global_load_dword v7, v[9:10], off offset:-64
	global_load_dword v19, v[9:10], off offset:-32
	global_load_dword v20, v[9:10], off
	global_load_dword v45, v[9:10], off offset:32
	s_clause 0x6
	global_load_dwordx4 v[11:14], v[5:6], off
	global_load_dwordx4 v[15:18], v[5:6], off offset:16
	global_load_dwordx4 v[25:28], v[5:6], off offset:256
	global_load_dwordx4 v[29:32], v[5:6], off offset:272
	global_load_dwordx4 v[33:36], v[5:6], off offset:512
	global_load_dwordx4 v[37:40], v[5:6], off offset:528
	global_load_dwordx4 v[41:44], v[5:6], off offset:768
	s_waitcnt vmcnt(10)
	v_subrev_nc_u32_e32 v7, s18, v7
	s_waitcnt vmcnt(9)
	v_subrev_nc_u32_e32 v46, s18, v19
	;; [unrolled: 2-line block ×4, first 2 shown]
	s_waitcnt vmcnt(6)
	v_lshlrev_b32_e32 v55, 16, v12
	v_lshlrev_b32_e32 v19, 2, v7
	v_lshlrev_b32_e32 v45, 2, v46
	v_lshlrev_b32_e32 v47, 2, v20
	v_lshlrev_b32_e32 v49, 2, v48
	v_lshlrev_b32_e32 v7, 16, v11
	v_ashrrev_i32_e32 v20, 31, v19
	v_ashrrev_i32_e32 v46, 31, v45
	;; [unrolled: 1-line block ×4, first 2 shown]
	v_and_b32_e32 v11, 0xffff0000, v11
	v_lshlrev_b64 v[19:20], 1, v[19:20]
	v_lshlrev_b64 v[45:46], 1, v[45:46]
	v_lshlrev_b64 v[47:48], 1, v[47:48]
	v_lshlrev_b64 v[49:50], 1, v[49:50]
	v_and_b32_e32 v12, 0xffff0000, v12
	v_lshlrev_b32_e32 v56, 16, v13
	v_add_co_u32 v19, vcc_lo, s6, v19
	v_add_co_ci_u32_e64 v20, null, s7, v20, vcc_lo
	v_add_co_u32 v45, vcc_lo, s6, v45
	v_add_co_ci_u32_e64 v46, null, s7, v46, vcc_lo
	;; [unrolled: 2-line block ×4, first 2 shown]
	s_clause 0x3
	global_load_dwordx2 v[19:20], v[19:20], off
	global_load_dwordx2 v[51:52], v[45:46], off
	;; [unrolled: 1-line block ×4, first 2 shown]
	global_load_dwordx4 v[45:48], v[5:6], off offset:784
	v_and_b32_e32 v13, 0xffff0000, v13
	v_lshlrev_b32_e32 v57, 16, v14
	v_and_b32_e32 v14, 0xffff0000, v14
	s_waitcnt vmcnt(10)
	v_lshlrev_b32_e32 v58, 16, v15
	v_and_b32_e32 v15, 0xffff0000, v15
	v_lshlrev_b32_e32 v59, 16, v16
	v_and_b32_e32 v16, 0xffff0000, v16
	v_lshlrev_b32_e32 v60, 16, v17
	v_and_b32_e32 v17, 0xffff0000, v17
	v_lshlrev_b32_e32 v61, 16, v18
	v_and_b32_e32 v18, 0xffff0000, v18
	s_waitcnt vmcnt(9)
	v_lshlrev_b32_e32 v62, 16, v25
	v_and_b32_e32 v25, 0xffff0000, v25
	v_lshlrev_b32_e32 v63, 16, v26
	v_and_b32_e32 v26, 0xffff0000, v26
	v_lshlrev_b32_e32 v64, 16, v27
	;; [unrolled: 9-line block ×6, first 2 shown]
	v_and_b32_e32 v43, 0xffff0000, v43
	v_lshlrev_b32_e32 v81, 16, v44
	v_and_b32_e32 v44, 0xffff0000, v44
	v_add_co_u32 v5, vcc_lo, 0x400, v5
	v_add_co_ci_u32_e64 v6, null, 0, v6, vcc_lo
	v_add_co_u32 v0, vcc_lo, v0, 32
	v_add_co_ci_u32_e64 v1, null, 0, v1, vcc_lo
	;; [unrolled: 2-line block ×3, first 2 shown]
	v_cmp_ge_i64_e32 vcc_lo, v[0:1], v[2:3]
	s_or_b32 s3, vcc_lo, s3
	s_waitcnt vmcnt(4)
	v_lshlrev_b32_e32 v86, 16, v19
	v_and_b32_e32 v19, 0xffff0000, v19
	s_waitcnt vmcnt(0)
	v_lshlrev_b32_e32 v82, 16, v45
	v_fmac_f32_e32 v8, v7, v86
	v_fmac_f32_e32 v24, v11, v86
	v_fmac_f32_e32 v23, v55, v86
	v_fmac_f32_e32 v22, v12, v86
	v_lshlrev_b32_e32 v7, 16, v20
	v_fmac_f32_e32 v8, v56, v19
	v_fmac_f32_e32 v24, v13, v19
	v_fmac_f32_e32 v23, v57, v19
	v_fmac_f32_e32 v22, v14, v19
	v_and_b32_e32 v11, 0xffff0000, v20
	v_fmac_f32_e32 v8, v58, v7
	v_fmac_f32_e32 v24, v15, v7
	v_fmac_f32_e32 v23, v59, v7
	v_fmac_f32_e32 v22, v16, v7
	v_lshlrev_b32_e32 v7, 16, v51
	v_fmac_f32_e32 v8, v60, v11
	v_fmac_f32_e32 v24, v17, v11
	v_fmac_f32_e32 v23, v61, v11
	v_fmac_f32_e32 v22, v18, v11
	v_and_b32_e32 v11, 0xffff0000, v51
	;; [unrolled: 10-line block ×6, first 2 shown]
	v_fmac_f32_e32 v8, v78, v7
	v_fmac_f32_e32 v24, v41, v7
	;; [unrolled: 1-line block ×4, first 2 shown]
	v_and_b32_e32 v45, 0xffff0000, v45
	v_lshlrev_b32_e32 v83, 16, v46
	v_and_b32_e32 v46, 0xffff0000, v46
	v_lshlrev_b32_e32 v7, 16, v50
	v_fmac_f32_e32 v8, v80, v11
	v_fmac_f32_e32 v24, v43, v11
	;; [unrolled: 1-line block ×4, first 2 shown]
	v_lshlrev_b32_e32 v84, 16, v47
	v_and_b32_e32 v47, 0xffff0000, v47
	v_lshlrev_b32_e32 v85, 16, v48
	v_and_b32_e32 v48, 0xffff0000, v48
	v_and_b32_e32 v11, 0xffff0000, v50
	v_fmac_f32_e32 v8, v82, v7
	v_fmac_f32_e32 v24, v45, v7
	;; [unrolled: 1-line block ×8, first 2 shown]
	s_andn2_b32 exec_lo, exec_lo, s3
	s_cbranch_execnz .LBB111_33
; %bb.34:
	s_or_b32 exec_lo, exec_lo, s3
.LBB111_35:
	s_or_b32 exec_lo, exec_lo, s0
.LBB111_36:
	s_or_b32 exec_lo, exec_lo, s1
.LBB111_37:
	v_mbcnt_lo_u32_b32 v0, -1, 0
	s_mov_b32 s3, -1
	v_xor_b32_e32 v1, 4, v0
	v_xor_b32_e32 v6, 2, v0
	;; [unrolled: 1-line block ×3, first 2 shown]
	v_cmp_gt_i32_e32 vcc_lo, 32, v1
	v_cndmask_b32_e32 v1, v0, v1, vcc_lo
	v_cmp_gt_i32_e32 vcc_lo, 32, v6
	v_lshlrev_b32_e32 v1, 2, v1
	v_cndmask_b32_e32 v6, v0, v6, vcc_lo
	v_cmp_gt_i32_e32 vcc_lo, 32, v10
	ds_bpermute_b32 v2, v1, v8
	ds_bpermute_b32 v3, v1, v24
	;; [unrolled: 1-line block ×4, first 2 shown]
	v_lshlrev_b32_e32 v6, 2, v6
	v_cndmask_b32_e32 v0, v0, v10, vcc_lo
	v_cmp_eq_u32_e32 vcc_lo, 7, v21
	v_lshlrev_b32_e32 v10, 2, v0
	s_waitcnt lgkmcnt(3)
	v_add_f32_e32 v2, v8, v2
	s_waitcnt lgkmcnt(2)
	v_add_f32_e32 v3, v24, v3
	;; [unrolled: 2-line block ×4, first 2 shown]
	ds_bpermute_b32 v1, v6, v2
	ds_bpermute_b32 v8, v6, v3
	ds_bpermute_b32 v9, v6, v5
	ds_bpermute_b32 v6, v6, v7
	s_waitcnt lgkmcnt(3)
	v_add_f32_e32 v0, v2, v1
	s_waitcnt lgkmcnt(2)
	v_add_f32_e32 v1, v3, v8
	;; [unrolled: 2-line block ×4, first 2 shown]
	ds_bpermute_b32 v5, v10, v0
	ds_bpermute_b32 v6, v10, v1
	;; [unrolled: 1-line block ×4, first 2 shown]
	s_and_b32 exec_lo, exec_lo, vcc_lo
	s_cbranch_execz .LBB111_10
; %bb.38:
	s_load_dwordx2 s[0:1], s[4:5], 0x50
	s_waitcnt lgkmcnt(0)
	v_add_f32_e32 v0, v0, v5
	v_add_f32_e32 v1, v1, v6
	;; [unrolled: 1-line block ×4, first 2 shown]
	v_cmp_eq_f32_e64 s4, s2, 0
	v_mul_f32_e32 v0, s16, v0
	v_mul_f32_e32 v1, s16, v1
	;; [unrolled: 1-line block ×4, first 2 shown]
	v_lshlrev_b32_e32 v4, 2, v4
	s_and_b32 vcc_lo, exec_lo, s4
	s_cbranch_vccz .LBB111_40
; %bb.39:
	v_ashrrev_i32_e32 v5, 31, v4
	s_mov_b32 s3, 0
	v_lshlrev_b64 v[5:6], 2, v[4:5]
	v_add_co_u32 v5, vcc_lo, s0, v5
	v_add_co_ci_u32_e64 v6, null, s1, v6, vcc_lo
	global_store_dwordx4 v[5:6], v[0:3], off
.LBB111_40:
	s_andn2_b32 vcc_lo, exec_lo, s3
	s_cbranch_vccnz .LBB111_10
; %bb.41:
	v_ashrrev_i32_e32 v5, 31, v4
	v_lshlrev_b64 v[4:5], 2, v[4:5]
	v_add_co_u32 v8, vcc_lo, s0, v4
	v_add_co_ci_u32_e64 v9, null, s1, v5, vcc_lo
	global_load_dwordx4 v[4:7], v[8:9], off
	s_waitcnt vmcnt(0)
	v_fmac_f32_e32 v0, s2, v4
	v_fmac_f32_e32 v1, s2, v5
	;; [unrolled: 1-line block ×4, first 2 shown]
	global_store_dwordx4 v[8:9], v[0:3], off
	s_endpgm
	.section	.rodata,"a",@progbits
	.p2align	6, 0x0
	.amdhsa_kernel _ZN9rocsparseL18bsrxmvn_4x4_kernelILj128ELj8Efli18rocsparse_bfloat16S1_fEEvT3_20rocsparse_direction_NS_24const_host_device_scalarIT1_EES2_PKS2_PKT2_SB_S8_PKT4_PKT5_S6_PT6_21rocsparse_index_base_b
		.amdhsa_group_segment_fixed_size 0
		.amdhsa_private_segment_fixed_size 0
		.amdhsa_kernarg_size 96
		.amdhsa_user_sgpr_count 6
		.amdhsa_user_sgpr_private_segment_buffer 1
		.amdhsa_user_sgpr_dispatch_ptr 0
		.amdhsa_user_sgpr_queue_ptr 0
		.amdhsa_user_sgpr_kernarg_segment_ptr 1
		.amdhsa_user_sgpr_dispatch_id 0
		.amdhsa_user_sgpr_flat_scratch_init 0
		.amdhsa_user_sgpr_private_segment_size 0
		.amdhsa_wavefront_size32 1
		.amdhsa_uses_dynamic_stack 0
		.amdhsa_system_sgpr_private_segment_wavefront_offset 0
		.amdhsa_system_sgpr_workgroup_id_x 1
		.amdhsa_system_sgpr_workgroup_id_y 0
		.amdhsa_system_sgpr_workgroup_id_z 0
		.amdhsa_system_sgpr_workgroup_info 0
		.amdhsa_system_vgpr_workitem_id 0
		.amdhsa_next_free_vgpr 93
		.amdhsa_next_free_sgpr 20
		.amdhsa_reserve_vcc 1
		.amdhsa_reserve_flat_scratch 0
		.amdhsa_float_round_mode_32 0
		.amdhsa_float_round_mode_16_64 0
		.amdhsa_float_denorm_mode_32 3
		.amdhsa_float_denorm_mode_16_64 3
		.amdhsa_dx10_clamp 1
		.amdhsa_ieee_mode 1
		.amdhsa_fp16_overflow 0
		.amdhsa_workgroup_processor_mode 1
		.amdhsa_memory_ordered 1
		.amdhsa_forward_progress 1
		.amdhsa_shared_vgpr_count 0
		.amdhsa_exception_fp_ieee_invalid_op 0
		.amdhsa_exception_fp_denorm_src 0
		.amdhsa_exception_fp_ieee_div_zero 0
		.amdhsa_exception_fp_ieee_overflow 0
		.amdhsa_exception_fp_ieee_underflow 0
		.amdhsa_exception_fp_ieee_inexact 0
		.amdhsa_exception_int_div_zero 0
	.end_amdhsa_kernel
	.section	.text._ZN9rocsparseL18bsrxmvn_4x4_kernelILj128ELj8Efli18rocsparse_bfloat16S1_fEEvT3_20rocsparse_direction_NS_24const_host_device_scalarIT1_EES2_PKS2_PKT2_SB_S8_PKT4_PKT5_S6_PT6_21rocsparse_index_base_b,"axG",@progbits,_ZN9rocsparseL18bsrxmvn_4x4_kernelILj128ELj8Efli18rocsparse_bfloat16S1_fEEvT3_20rocsparse_direction_NS_24const_host_device_scalarIT1_EES2_PKS2_PKT2_SB_S8_PKT4_PKT5_S6_PT6_21rocsparse_index_base_b,comdat
.Lfunc_end111:
	.size	_ZN9rocsparseL18bsrxmvn_4x4_kernelILj128ELj8Efli18rocsparse_bfloat16S1_fEEvT3_20rocsparse_direction_NS_24const_host_device_scalarIT1_EES2_PKS2_PKT2_SB_S8_PKT4_PKT5_S6_PT6_21rocsparse_index_base_b, .Lfunc_end111-_ZN9rocsparseL18bsrxmvn_4x4_kernelILj128ELj8Efli18rocsparse_bfloat16S1_fEEvT3_20rocsparse_direction_NS_24const_host_device_scalarIT1_EES2_PKS2_PKT2_SB_S8_PKT4_PKT5_S6_PT6_21rocsparse_index_base_b
                                        ; -- End function
	.set _ZN9rocsparseL18bsrxmvn_4x4_kernelILj128ELj8Efli18rocsparse_bfloat16S1_fEEvT3_20rocsparse_direction_NS_24const_host_device_scalarIT1_EES2_PKS2_PKT2_SB_S8_PKT4_PKT5_S6_PT6_21rocsparse_index_base_b.num_vgpr, 93
	.set _ZN9rocsparseL18bsrxmvn_4x4_kernelILj128ELj8Efli18rocsparse_bfloat16S1_fEEvT3_20rocsparse_direction_NS_24const_host_device_scalarIT1_EES2_PKS2_PKT2_SB_S8_PKT4_PKT5_S6_PT6_21rocsparse_index_base_b.num_agpr, 0
	.set _ZN9rocsparseL18bsrxmvn_4x4_kernelILj128ELj8Efli18rocsparse_bfloat16S1_fEEvT3_20rocsparse_direction_NS_24const_host_device_scalarIT1_EES2_PKS2_PKT2_SB_S8_PKT4_PKT5_S6_PT6_21rocsparse_index_base_b.numbered_sgpr, 20
	.set _ZN9rocsparseL18bsrxmvn_4x4_kernelILj128ELj8Efli18rocsparse_bfloat16S1_fEEvT3_20rocsparse_direction_NS_24const_host_device_scalarIT1_EES2_PKS2_PKT2_SB_S8_PKT4_PKT5_S6_PT6_21rocsparse_index_base_b.num_named_barrier, 0
	.set _ZN9rocsparseL18bsrxmvn_4x4_kernelILj128ELj8Efli18rocsparse_bfloat16S1_fEEvT3_20rocsparse_direction_NS_24const_host_device_scalarIT1_EES2_PKS2_PKT2_SB_S8_PKT4_PKT5_S6_PT6_21rocsparse_index_base_b.private_seg_size, 0
	.set _ZN9rocsparseL18bsrxmvn_4x4_kernelILj128ELj8Efli18rocsparse_bfloat16S1_fEEvT3_20rocsparse_direction_NS_24const_host_device_scalarIT1_EES2_PKS2_PKT2_SB_S8_PKT4_PKT5_S6_PT6_21rocsparse_index_base_b.uses_vcc, 1
	.set _ZN9rocsparseL18bsrxmvn_4x4_kernelILj128ELj8Efli18rocsparse_bfloat16S1_fEEvT3_20rocsparse_direction_NS_24const_host_device_scalarIT1_EES2_PKS2_PKT2_SB_S8_PKT4_PKT5_S6_PT6_21rocsparse_index_base_b.uses_flat_scratch, 0
	.set _ZN9rocsparseL18bsrxmvn_4x4_kernelILj128ELj8Efli18rocsparse_bfloat16S1_fEEvT3_20rocsparse_direction_NS_24const_host_device_scalarIT1_EES2_PKS2_PKT2_SB_S8_PKT4_PKT5_S6_PT6_21rocsparse_index_base_b.has_dyn_sized_stack, 0
	.set _ZN9rocsparseL18bsrxmvn_4x4_kernelILj128ELj8Efli18rocsparse_bfloat16S1_fEEvT3_20rocsparse_direction_NS_24const_host_device_scalarIT1_EES2_PKS2_PKT2_SB_S8_PKT4_PKT5_S6_PT6_21rocsparse_index_base_b.has_recursion, 0
	.set _ZN9rocsparseL18bsrxmvn_4x4_kernelILj128ELj8Efli18rocsparse_bfloat16S1_fEEvT3_20rocsparse_direction_NS_24const_host_device_scalarIT1_EES2_PKS2_PKT2_SB_S8_PKT4_PKT5_S6_PT6_21rocsparse_index_base_b.has_indirect_call, 0
	.section	.AMDGPU.csdata,"",@progbits
; Kernel info:
; codeLenInByte = 4576
; TotalNumSgprs: 22
; NumVgprs: 93
; ScratchSize: 0
; MemoryBound: 0
; FloatMode: 240
; IeeeMode: 1
; LDSByteSize: 0 bytes/workgroup (compile time only)
; SGPRBlocks: 0
; VGPRBlocks: 11
; NumSGPRsForWavesPerEU: 22
; NumVGPRsForWavesPerEU: 93
; Occupancy: 10
; WaveLimiterHint : 1
; COMPUTE_PGM_RSRC2:SCRATCH_EN: 0
; COMPUTE_PGM_RSRC2:USER_SGPR: 6
; COMPUTE_PGM_RSRC2:TRAP_HANDLER: 0
; COMPUTE_PGM_RSRC2:TGID_X_EN: 1
; COMPUTE_PGM_RSRC2:TGID_Y_EN: 0
; COMPUTE_PGM_RSRC2:TGID_Z_EN: 0
; COMPUTE_PGM_RSRC2:TIDIG_COMP_CNT: 0
	.section	.text._ZN9rocsparseL18bsrxmvn_4x4_kernelILj128ELj16Efli18rocsparse_bfloat16S1_fEEvT3_20rocsparse_direction_NS_24const_host_device_scalarIT1_EES2_PKS2_PKT2_SB_S8_PKT4_PKT5_S6_PT6_21rocsparse_index_base_b,"axG",@progbits,_ZN9rocsparseL18bsrxmvn_4x4_kernelILj128ELj16Efli18rocsparse_bfloat16S1_fEEvT3_20rocsparse_direction_NS_24const_host_device_scalarIT1_EES2_PKS2_PKT2_SB_S8_PKT4_PKT5_S6_PT6_21rocsparse_index_base_b,comdat
	.globl	_ZN9rocsparseL18bsrxmvn_4x4_kernelILj128ELj16Efli18rocsparse_bfloat16S1_fEEvT3_20rocsparse_direction_NS_24const_host_device_scalarIT1_EES2_PKS2_PKT2_SB_S8_PKT4_PKT5_S6_PT6_21rocsparse_index_base_b ; -- Begin function _ZN9rocsparseL18bsrxmvn_4x4_kernelILj128ELj16Efli18rocsparse_bfloat16S1_fEEvT3_20rocsparse_direction_NS_24const_host_device_scalarIT1_EES2_PKS2_PKT2_SB_S8_PKT4_PKT5_S6_PT6_21rocsparse_index_base_b
	.p2align	8
	.type	_ZN9rocsparseL18bsrxmvn_4x4_kernelILj128ELj16Efli18rocsparse_bfloat16S1_fEEvT3_20rocsparse_direction_NS_24const_host_device_scalarIT1_EES2_PKS2_PKT2_SB_S8_PKT4_PKT5_S6_PT6_21rocsparse_index_base_b,@function
_ZN9rocsparseL18bsrxmvn_4x4_kernelILj128ELj16Efli18rocsparse_bfloat16S1_fEEvT3_20rocsparse_direction_NS_24const_host_device_scalarIT1_EES2_PKS2_PKT2_SB_S8_PKT4_PKT5_S6_PT6_21rocsparse_index_base_b: ; @_ZN9rocsparseL18bsrxmvn_4x4_kernelILj128ELj16Efli18rocsparse_bfloat16S1_fEEvT3_20rocsparse_direction_NS_24const_host_device_scalarIT1_EES2_PKS2_PKT2_SB_S8_PKT4_PKT5_S6_PT6_21rocsparse_index_base_b
; %bb.0:
	s_clause 0x2
	s_load_dwordx2 s[18:19], s[4:5], 0x58
	s_load_dwordx2 s[16:17], s[4:5], 0x8
	;; [unrolled: 1-line block ×3, first 2 shown]
	s_waitcnt lgkmcnt(0)
	s_bitcmp1_b32 s19, 0
	s_cselect_b32 s0, -1, 0
	s_and_b32 vcc_lo, exec_lo, s0
	s_xor_b32 s0, s0, -1
	s_cbranch_vccnz .LBB112_2
; %bb.1:
	s_load_dword s16, s[16:17], 0x0
.LBB112_2:
	s_andn2_b32 vcc_lo, exec_lo, s0
	s_cbranch_vccnz .LBB112_4
; %bb.3:
	s_load_dword s2, s[2:3], 0x0
.LBB112_4:
	s_waitcnt lgkmcnt(0)
	v_cmp_neq_f32_e64 s0, s16, 0
	v_cmp_neq_f32_e64 s1, s2, 1.0
	s_mov_b32 s3, 0
	s_or_b32 s0, s0, s1
	s_andn2_b32 vcc_lo, exec_lo, s0
	s_cbranch_vccnz .LBB112_10
; %bb.5:
	s_clause 0x1
	s_load_dwordx2 s[8:9], s[4:5], 0x18
	s_load_dwordx2 s[0:1], s[4:5], 0x0
	v_lshrrev_b32_e32 v1, 4, v0
	v_lshl_or_b32 v4, s6, 3, v1
	s_waitcnt lgkmcnt(0)
	s_cmp_lg_u64 s[8:9], 0
	s_cbranch_scc0 .LBB112_11
; %bb.6:
	s_load_dword s3, s[4:5], 0x10
	s_mov_b32 s6, 0
                                        ; implicit-def: $vgpr1
	s_waitcnt lgkmcnt(0)
	v_cmp_gt_i32_e32 vcc_lo, s3, v4
	s_mov_b32 s3, 0
	s_and_saveexec_b32 s7, vcc_lo
	s_xor_b32 s7, exec_lo, s7
	s_cbranch_execz .LBB112_8
; %bb.7:
	v_ashrrev_i32_e32 v5, 31, v4
	s_mov_b32 s3, exec_lo
	v_lshlrev_b64 v[1:2], 2, v[4:5]
	v_add_co_u32 v1, vcc_lo, s8, v1
	v_add_co_ci_u32_e64 v2, null, s9, v2, vcc_lo
	global_load_dword v1, v[1:2], off
	s_waitcnt vmcnt(0)
	v_subrev_nc_u32_e32 v1, s18, v1
.LBB112_8:
	s_or_b32 exec_lo, exec_lo, s7
	s_and_b32 vcc_lo, exec_lo, s6
	s_cbranch_vccz .LBB112_12
.LBB112_9:
	v_cmp_gt_i32_e32 vcc_lo, s0, v4
	s_andn2_b32 s0, s3, exec_lo
	s_and_b32 s3, vcc_lo, exec_lo
	s_or_b32 s3, s0, s3
	s_and_saveexec_b32 s0, s3
	s_cbranch_execnz .LBB112_13
.LBB112_10:
	s_endpgm
.LBB112_11:
                                        ; implicit-def: $vgpr1
	s_cbranch_execnz .LBB112_9
.LBB112_12:
	v_mov_b32_e32 v4, v1
	s_and_saveexec_b32 s0, s3
	s_cbranch_execz .LBB112_10
.LBB112_13:
	s_load_dwordx8 s[8:15], s[4:5], 0x20
	v_ashrrev_i32_e32 v5, 31, v4
	v_and_b32_e32 v21, 15, v0
	s_load_dwordx2 s[6:7], s[4:5], 0x40
	v_mov_b32_e32 v22, 0
	v_lshlrev_b64 v[1:2], 3, v[4:5]
	s_waitcnt lgkmcnt(0)
	v_add_co_u32 v5, vcc_lo, s8, v1
	v_add_co_ci_u32_e64 v6, null, s9, v2, vcc_lo
	v_add_co_u32 v1, vcc_lo, s10, v1
	v_add_co_ci_u32_e64 v2, null, s11, v2, vcc_lo
	v_add_co_u32 v3, vcc_lo, v5, 8
	global_load_dwordx2 v[9:10], v[5:6], off
	v_add_co_ci_u32_e64 v7, null, 0, v6, vcc_lo
	s_cmp_eq_u64 s[10:11], 0
	s_cselect_b32 vcc_lo, -1, 0
	s_cmp_eq_u32 s1, 1
	v_cndmask_b32_e32 v2, v2, v7, vcc_lo
	v_cndmask_b32_e32 v1, v1, v3, vcc_lo
	global_load_dwordx2 v[2:3], v[1:2], off
	s_waitcnt vmcnt(1)
	v_sub_co_u32 v0, vcc_lo, v9, s18
	v_subrev_co_ci_u32_e64 v1, null, 0, v10, vcc_lo
	v_add_co_u32 v0, vcc_lo, v0, v21
	v_add_co_ci_u32_e64 v1, null, 0, v1, vcc_lo
	v_lshlrev_b64 v[5:6], 5, v[0:1]
	s_waitcnt vmcnt(0)
	v_sub_co_u32 v2, vcc_lo, v2, s18
	v_subrev_co_ci_u32_e64 v3, null, 0, v3, vcc_lo
	v_add_co_u32 v5, vcc_lo, s14, v5
	v_cmp_lt_i64_e64 s0, v[0:1], v[2:3]
	v_add_co_ci_u32_e64 v6, null, s15, v6, vcc_lo
	s_cbranch_scc1 .LBB112_25
; %bb.14:
	v_mov_b32_e32 v23, 0
	v_mov_b32_e32 v24, 0
	;; [unrolled: 1-line block ×3, first 2 shown]
	s_and_saveexec_b32 s1, s0
	s_cbranch_execz .LBB112_24
; %bb.15:
	v_or_b32_e32 v7, 16, v21
	v_not_b32_e32 v12, v9
	v_not_b32_e32 v11, v10
	v_sub_co_u32 v7, s3, v7, s18
	v_sub_co_ci_u32_e64 v8, null, 0, 0, s3
	v_sub_co_u32 v13, s3, s18, v21
	v_add_co_u32 v7, vcc_lo, v7, v9
	v_add_co_ci_u32_e64 v8, null, v8, v10, vcc_lo
	v_sub_co_ci_u32_e64 v14, null, 0, 0, s3
	s_mov_b32 s3, exec_lo
	v_cmp_gt_i64_e32 vcc_lo, v[7:8], v[2:3]
	v_cndmask_b32_e32 v16, v3, v8, vcc_lo
	v_cndmask_b32_e32 v7, v2, v7, vcc_lo
	v_add_co_u32 v8, vcc_lo, v13, v12
	v_add_co_ci_u32_e64 v11, null, v14, v11, vcc_lo
	v_mov_b32_e32 v14, v6
	v_add_co_u32 v15, vcc_lo, v8, v7
	v_mov_b32_e32 v8, 0
	v_add_co_ci_u32_e64 v16, null, v11, v16, vcc_lo
	v_mov_b32_e32 v12, v1
	v_and_b32_e32 v7, 48, v15
	v_mov_b32_e32 v24, v8
	v_mov_b32_e32 v23, v8
	;; [unrolled: 1-line block ×5, first 2 shown]
	v_cmpx_ne_u64_e32 48, v[7:8]
	s_cbranch_execz .LBB112_19
; %bb.16:
	v_lshrrev_b32_e32 v7, 4, v15
	v_mov_b32_e32 v14, v6
	v_mov_b32_e32 v12, v1
	;; [unrolled: 1-line block ×4, first 2 shown]
	v_add_nc_u32_e32 v17, 1, v7
	v_lshlrev_b64 v[7:8], 2, v[0:1]
	v_mov_b32_e32 v11, v0
	v_mov_b32_e32 v23, 0
	;; [unrolled: 1-line block ×3, first 2 shown]
	v_and_b32_e32 v19, 3, v17
	v_add_co_u32 v17, vcc_lo, s12, v7
	v_add_co_ci_u32_e64 v18, null, s13, v8, vcc_lo
	v_sub_co_u32 v19, s8, 0, v19
	v_sub_co_ci_u32_e64 v20, null, 0, 0, s8
	v_mov_b32_e32 v8, 0
	s_mov_b32 s8, 0
.LBB112_17:                             ; =>This Inner Loop Header: Depth=1
	global_load_dword v7, v[17:18], off
	global_load_dwordx4 v[25:28], v[13:14], off
	s_waitcnt vmcnt(1)
	v_subrev_nc_u32_e32 v7, s18, v7
	s_waitcnt vmcnt(0)
	v_lshlrev_b32_e32 v36, 16, v27
	v_and_b32_e32 v27, 0xffff0000, v27
	v_lshlrev_b32_e32 v35, 16, v26
	v_lshlrev_b32_e32 v37, 16, v28
	;; [unrolled: 1-line block ×4, first 2 shown]
	v_and_b32_e32 v25, 0xffff0000, v25
	v_and_b32_e32 v26, 0xffff0000, v26
	;; [unrolled: 1-line block ×3, first 2 shown]
	v_ashrrev_i32_e32 v30, 31, v29
	v_lshlrev_b64 v[29:30], 1, v[29:30]
	v_add_co_u32 v33, vcc_lo, s6, v29
	v_add_co_ci_u32_e64 v34, null, s7, v30, vcc_lo
	global_load_dwordx4 v[29:32], v[13:14], off offset:16
	global_load_dwordx2 v[33:34], v[33:34], off
	v_add_co_u32 v13, vcc_lo, 0x200, v13
	v_add_co_ci_u32_e64 v14, null, 0, v14, vcc_lo
	v_add_co_u32 v11, vcc_lo, v11, 16
	v_add_co_ci_u32_e64 v12, null, 0, v12, vcc_lo
	;; [unrolled: 2-line block ×4, first 2 shown]
	v_cmp_eq_u64_e32 vcc_lo, 0, v[19:20]
	s_or_b32 s8, vcc_lo, s8
	s_waitcnt vmcnt(1)
	v_lshlrev_b32_e32 v38, 16, v29
	v_lshlrev_b32_e32 v40, 16, v31
	s_waitcnt vmcnt(0)
	v_lshlrev_b32_e32 v42, 16, v33
	v_and_b32_e32 v29, 0xffff0000, v29
	v_and_b32_e32 v31, 0xffff0000, v31
	;; [unrolled: 1-line block ×3, first 2 shown]
	v_lshlrev_b32_e32 v39, 16, v30
	v_fmac_f32_e32 v8, v7, v42
	v_fmac_f32_e32 v24, v36, v42
	;; [unrolled: 1-line block ×4, first 2 shown]
	v_lshlrev_b32_e32 v41, 16, v32
	v_lshlrev_b32_e32 v7, 16, v34
	v_fmac_f32_e32 v8, v25, v33
	v_fmac_f32_e32 v24, v27, v33
	;; [unrolled: 1-line block ×4, first 2 shown]
	v_and_b32_e32 v30, 0xffff0000, v30
	v_and_b32_e32 v32, 0xffff0000, v32
	;; [unrolled: 1-line block ×3, first 2 shown]
	v_fmac_f32_e32 v8, v35, v7
	v_fmac_f32_e32 v24, v37, v7
	;; [unrolled: 1-line block ×8, first 2 shown]
	s_andn2_b32 exec_lo, exec_lo, s8
	s_cbranch_execnz .LBB112_17
; %bb.18:
	s_or_b32 exec_lo, exec_lo, s8
.LBB112_19:
	s_or_b32 exec_lo, exec_lo, s3
	s_mov_b32 s3, exec_lo
	v_cmpx_lt_u64_e32 47, v[15:16]
	s_cbranch_execz .LBB112_23
; %bb.20:
	v_lshlrev_b64 v[15:16], 2, v[11:12]
	s_mov_b32 s8, 0
	v_add_co_u32 v7, vcc_lo, s12, v15
	v_add_co_ci_u32_e64 v16, null, s13, v16, vcc_lo
	v_add_co_u32 v15, vcc_lo, 0x80, v7
	v_add_co_ci_u32_e64 v16, null, 0, v16, vcc_lo
.LBB112_21:                             ; =>This Inner Loop Header: Depth=1
	s_clause 0x3
	global_load_dword v7, v[15:16], off offset:-128
	global_load_dword v53, v[15:16], off offset:-64
	global_load_dword v54, v[15:16], off
	global_load_dword v55, v[15:16], off offset:64
	s_clause 0x7
	global_load_dwordx4 v[17:20], v[13:14], off
	global_load_dwordx4 v[25:28], v[13:14], off offset:16
	global_load_dwordx4 v[29:32], v[13:14], off offset:512
	;; [unrolled: 1-line block ×7, first 2 shown]
	s_waitcnt vmcnt(11)
	v_subrev_nc_u32_e32 v7, s18, v7
	s_waitcnt vmcnt(10)
	v_subrev_nc_u32_e32 v56, s18, v53
	;; [unrolled: 2-line block ×4, first 2 shown]
	s_waitcnt vmcnt(7)
	v_lshlrev_b32_e32 v62, 16, v19
	v_lshlrev_b32_e32 v53, 2, v7
	;; [unrolled: 1-line block ×6, first 2 shown]
	v_ashrrev_i32_e32 v54, 31, v53
	v_ashrrev_i32_e32 v56, 31, v55
	v_ashrrev_i32_e32 v58, 31, v57
	v_ashrrev_i32_e32 v60, 31, v59
	s_waitcnt vmcnt(6)
	v_lshlrev_b32_e32 v64, 16, v25
	v_lshlrev_b64 v[53:54], 1, v[53:54]
	v_lshlrev_b64 v[55:56], 1, v[55:56]
	;; [unrolled: 1-line block ×4, first 2 shown]
	v_lshlrev_b32_e32 v66, 16, v27
	v_and_b32_e32 v17, 0xffff0000, v17
	v_add_co_u32 v53, vcc_lo, s6, v53
	v_add_co_ci_u32_e64 v54, null, s7, v54, vcc_lo
	v_add_co_u32 v55, vcc_lo, s6, v55
	v_add_co_ci_u32_e64 v56, null, s7, v56, vcc_lo
	global_load_dwordx2 v[53:54], v[53:54], off
	v_add_co_u32 v57, vcc_lo, s6, v57
	global_load_dwordx2 v[55:56], v[55:56], off
	v_add_co_ci_u32_e64 v58, null, s7, v58, vcc_lo
	v_add_co_u32 v59, vcc_lo, s6, v59
	v_add_co_ci_u32_e64 v60, null, s7, v60, vcc_lo
	global_load_dwordx2 v[57:58], v[57:58], off
	v_and_b32_e32 v19, 0xffff0000, v19
	v_and_b32_e32 v25, 0xffff0000, v25
	global_load_dwordx2 v[59:60], v[59:60], off
	v_and_b32_e32 v27, 0xffff0000, v27
	v_lshlrev_b32_e32 v61, 16, v18
	v_lshlrev_b32_e32 v63, 16, v20
	v_lshlrev_b32_e32 v65, 16, v26
	v_lshlrev_b32_e32 v67, 16, v28
	v_and_b32_e32 v18, 0xffff0000, v18
	v_and_b32_e32 v20, 0xffff0000, v20
	v_and_b32_e32 v26, 0xffff0000, v26
	v_and_b32_e32 v28, 0xffff0000, v28
	s_waitcnt vmcnt(9)
	v_lshlrev_b32_e32 v68, 16, v29
	v_lshlrev_b32_e32 v70, 16, v31
	s_waitcnt vmcnt(8)
	v_lshlrev_b32_e32 v72, 16, v33
	v_lshlrev_b32_e32 v74, 16, v35
	v_and_b32_e32 v29, 0xffff0000, v29
	v_and_b32_e32 v31, 0xffff0000, v31
	v_and_b32_e32 v33, 0xffff0000, v33
	v_and_b32_e32 v35, 0xffff0000, v35
	v_lshlrev_b32_e32 v69, 16, v30
	v_lshlrev_b32_e32 v71, 16, v32
	v_lshlrev_b32_e32 v73, 16, v34
	v_lshlrev_b32_e32 v75, 16, v36
	v_and_b32_e32 v30, 0xffff0000, v30
	v_and_b32_e32 v32, 0xffff0000, v32
	v_and_b32_e32 v34, 0xffff0000, v34
	v_and_b32_e32 v36, 0xffff0000, v36
	s_waitcnt vmcnt(7)
	v_lshlrev_b32_e32 v76, 16, v37
	v_lshlrev_b32_e32 v78, 16, v39
	s_waitcnt vmcnt(6)
	v_lshlrev_b32_e32 v80, 16, v41
	v_lshlrev_b32_e32 v82, 16, v43
	v_and_b32_e32 v37, 0xffff0000, v37
	v_and_b32_e32 v39, 0xffff0000, v39
	v_and_b32_e32 v41, 0xffff0000, v41
	;; [unrolled: 18-line block ×3, first 2 shown]
	v_and_b32_e32 v51, 0xffff0000, v51
	v_add_co_u32 v13, vcc_lo, 0x800, v13
	v_add_co_ci_u32_e64 v14, null, 0, v14, vcc_lo
	v_add_co_u32 v11, vcc_lo, v11, 64
	v_lshlrev_b32_e32 v85, 16, v46
	v_lshlrev_b32_e32 v87, 16, v48
	;; [unrolled: 1-line block ×4, first 2 shown]
	v_add_co_ci_u32_e64 v12, null, 0, v12, vcc_lo
	v_add_co_u32 v15, vcc_lo, 0x100, v15
	v_and_b32_e32 v46, 0xffff0000, v46
	v_and_b32_e32 v48, 0xffff0000, v48
	;; [unrolled: 1-line block ×4, first 2 shown]
	v_add_co_ci_u32_e64 v16, null, 0, v16, vcc_lo
	v_cmp_ge_i64_e32 vcc_lo, v[11:12], v[2:3]
	s_or_b32 s8, vcc_lo, s8
	s_waitcnt vmcnt(3)
	v_lshlrev_b32_e32 v92, 16, v53
	v_and_b32_e32 v53, 0xffff0000, v53
	v_fmac_f32_e32 v8, v7, v92
	v_fmac_f32_e32 v24, v62, v92
	v_fmac_f32_e32 v23, v64, v92
	v_fmac_f32_e32 v22, v66, v92
	v_lshlrev_b32_e32 v7, 16, v54
	v_fmac_f32_e32 v8, v17, v53
	v_fmac_f32_e32 v24, v19, v53
	v_fmac_f32_e32 v23, v25, v53
	v_fmac_f32_e32 v22, v27, v53
	v_and_b32_e32 v17, 0xffff0000, v54
	v_fmac_f32_e32 v8, v61, v7
	v_fmac_f32_e32 v24, v63, v7
	v_fmac_f32_e32 v23, v65, v7
	v_fmac_f32_e32 v22, v67, v7
	s_waitcnt vmcnt(2)
	v_lshlrev_b32_e32 v7, 16, v55
	v_fmac_f32_e32 v8, v18, v17
	v_fmac_f32_e32 v24, v20, v17
	v_fmac_f32_e32 v23, v26, v17
	v_fmac_f32_e32 v22, v28, v17
	v_and_b32_e32 v17, 0xffff0000, v55
	v_fmac_f32_e32 v8, v68, v7
	v_fmac_f32_e32 v24, v70, v7
	v_fmac_f32_e32 v23, v72, v7
	v_fmac_f32_e32 v22, v74, v7
	v_lshlrev_b32_e32 v7, 16, v56
	v_fmac_f32_e32 v8, v29, v17
	v_fmac_f32_e32 v24, v31, v17
	v_fmac_f32_e32 v23, v33, v17
	v_fmac_f32_e32 v22, v35, v17
	v_and_b32_e32 v17, 0xffff0000, v56
	v_fmac_f32_e32 v8, v69, v7
	v_fmac_f32_e32 v24, v71, v7
	v_fmac_f32_e32 v23, v73, v7
	v_fmac_f32_e32 v22, v75, v7
	s_waitcnt vmcnt(1)
	v_lshlrev_b32_e32 v7, 16, v57
	v_fmac_f32_e32 v8, v30, v17
	v_fmac_f32_e32 v24, v32, v17
	v_fmac_f32_e32 v23, v34, v17
	v_fmac_f32_e32 v22, v36, v17
	;; [unrolled: 21-line block ×3, first 2 shown]
	v_and_b32_e32 v17, 0xffff0000, v59
	v_fmac_f32_e32 v8, v84, v7
	v_fmac_f32_e32 v24, v86, v7
	;; [unrolled: 1-line block ×4, first 2 shown]
	v_lshlrev_b32_e32 v7, 16, v60
	v_fmac_f32_e32 v8, v45, v17
	v_fmac_f32_e32 v24, v47, v17
	;; [unrolled: 1-line block ×4, first 2 shown]
	v_and_b32_e32 v17, 0xffff0000, v60
	v_fmac_f32_e32 v8, v85, v7
	v_fmac_f32_e32 v24, v87, v7
	;; [unrolled: 1-line block ×8, first 2 shown]
	s_andn2_b32 exec_lo, exec_lo, s8
	s_cbranch_execnz .LBB112_21
; %bb.22:
	s_or_b32 exec_lo, exec_lo, s8
.LBB112_23:
	s_or_b32 exec_lo, exec_lo, s3
.LBB112_24:
	s_or_b32 exec_lo, exec_lo, s1
	s_cbranch_execz .LBB112_26
	s_branch .LBB112_37
.LBB112_25:
                                        ; implicit-def: $vgpr22
                                        ; implicit-def: $vgpr23
                                        ; implicit-def: $vgpr24
                                        ; implicit-def: $vgpr8
.LBB112_26:
	v_mov_b32_e32 v22, 0
	v_mov_b32_e32 v23, 0
	;; [unrolled: 1-line block ×4, first 2 shown]
	s_and_saveexec_b32 s1, s0
	s_cbranch_execz .LBB112_36
; %bb.27:
	v_or_b32_e32 v7, 16, v21
	v_sub_co_u32 v7, s0, v7, s18
	v_sub_co_ci_u32_e64 v8, null, 0, 0, s0
	v_sub_co_u32 v11, s0, s18, v21
	v_add_co_u32 v7, vcc_lo, v7, v9
	v_add_co_ci_u32_e64 v8, null, v8, v10, vcc_lo
	v_not_b32_e32 v9, v9
	v_not_b32_e32 v10, v10
	v_sub_co_ci_u32_e64 v12, null, 0, 0, s0
	v_cmp_gt_i64_e32 vcc_lo, v[7:8], v[2:3]
	s_mov_b32 s0, exec_lo
	v_cndmask_b32_e32 v13, v3, v8, vcc_lo
	v_cndmask_b32_e32 v7, v2, v7, vcc_lo
	v_add_co_u32 v8, vcc_lo, v11, v9
	v_add_co_ci_u32_e64 v10, null, v12, v10, vcc_lo
	v_add_co_u32 v9, vcc_lo, v8, v7
	v_mov_b32_e32 v8, 0
	v_add_co_ci_u32_e64 v10, null, v10, v13, vcc_lo
	v_and_b32_e32 v7, 48, v9
	v_mov_b32_e32 v24, v8
	v_mov_b32_e32 v23, v8
	;; [unrolled: 1-line block ×3, first 2 shown]
	v_cmpx_ne_u64_e32 48, v[7:8]
	s_cbranch_execz .LBB112_31
; %bb.28:
	v_lshrrev_b32_e32 v7, 4, v9
	v_mov_b32_e32 v22, 0
	v_mov_b32_e32 v23, 0
	;; [unrolled: 1-line block ×3, first 2 shown]
	v_add_nc_u32_e32 v11, 1, v7
	v_lshlrev_b64 v[7:8], 2, v[0:1]
	v_and_b32_e32 v13, 3, v11
	v_add_co_u32 v11, vcc_lo, s12, v7
	v_add_co_ci_u32_e64 v12, null, s13, v8, vcc_lo
	v_sub_co_u32 v13, s3, 0, v13
	v_sub_co_ci_u32_e64 v14, null, 0, 0, s3
	v_mov_b32_e32 v8, 0
	s_mov_b32 s3, 0
.LBB112_29:                             ; =>This Inner Loop Header: Depth=1
	global_load_dword v7, v[11:12], off
	global_load_dwordx4 v[15:18], v[5:6], off
	s_waitcnt vmcnt(1)
	v_subrev_nc_u32_e32 v7, s18, v7
	s_waitcnt vmcnt(0)
	v_lshlrev_b32_e32 v29, 16, v16
	v_and_b32_e32 v16, 0xffff0000, v16
	v_lshlrev_b32_e32 v30, 16, v17
	v_and_b32_e32 v17, 0xffff0000, v17
	v_lshlrev_b32_e32 v19, 2, v7
	v_lshlrev_b32_e32 v7, 16, v15
	v_and_b32_e32 v15, 0xffff0000, v15
	v_lshlrev_b32_e32 v31, 16, v18
	v_and_b32_e32 v18, 0xffff0000, v18
	v_ashrrev_i32_e32 v20, 31, v19
	v_lshlrev_b64 v[19:20], 1, v[19:20]
	v_add_co_u32 v19, vcc_lo, s6, v19
	v_add_co_ci_u32_e64 v20, null, s7, v20, vcc_lo
	global_load_dwordx2 v[19:20], v[19:20], off
	global_load_dwordx4 v[25:28], v[5:6], off offset:16
	v_add_co_u32 v5, vcc_lo, 0x200, v5
	v_add_co_ci_u32_e64 v6, null, 0, v6, vcc_lo
	v_add_co_u32 v0, vcc_lo, v0, 16
	v_add_co_ci_u32_e64 v1, null, 0, v1, vcc_lo
	;; [unrolled: 2-line block ×4, first 2 shown]
	v_cmp_eq_u64_e32 vcc_lo, 0, v[13:14]
	s_or_b32 s3, vcc_lo, s3
	s_waitcnt vmcnt(1)
	v_lshlrev_b32_e32 v36, 16, v19
	v_and_b32_e32 v19, 0xffff0000, v19
	s_waitcnt vmcnt(0)
	v_lshlrev_b32_e32 v32, 16, v25
	v_and_b32_e32 v25, 0xffff0000, v25
	v_lshlrev_b32_e32 v33, 16, v26
	v_fmac_f32_e32 v8, v7, v36
	v_fmac_f32_e32 v24, v15, v36
	;; [unrolled: 1-line block ×4, first 2 shown]
	v_and_b32_e32 v26, 0xffff0000, v26
	v_lshlrev_b32_e32 v7, 16, v20
	v_fmac_f32_e32 v8, v30, v19
	v_fmac_f32_e32 v24, v17, v19
	;; [unrolled: 1-line block ×4, first 2 shown]
	v_lshlrev_b32_e32 v34, 16, v27
	v_and_b32_e32 v27, 0xffff0000, v27
	v_lshlrev_b32_e32 v35, 16, v28
	v_and_b32_e32 v28, 0xffff0000, v28
	v_and_b32_e32 v15, 0xffff0000, v20
	v_fmac_f32_e32 v8, v32, v7
	v_fmac_f32_e32 v24, v25, v7
	;; [unrolled: 1-line block ×8, first 2 shown]
	s_andn2_b32 exec_lo, exec_lo, s3
	s_cbranch_execnz .LBB112_29
; %bb.30:
	s_or_b32 exec_lo, exec_lo, s3
.LBB112_31:
	s_or_b32 exec_lo, exec_lo, s0
	s_mov_b32 s0, exec_lo
	v_cmpx_lt_u64_e32 47, v[9:10]
	s_cbranch_execz .LBB112_35
; %bb.32:
	v_lshlrev_b64 v[9:10], 2, v[0:1]
	s_mov_b32 s3, 0
	v_add_co_u32 v7, vcc_lo, s12, v9
	v_add_co_ci_u32_e64 v10, null, s13, v10, vcc_lo
	v_add_co_u32 v9, vcc_lo, 0x80, v7
	v_add_co_ci_u32_e64 v10, null, 0, v10, vcc_lo
.LBB112_33:                             ; =>This Inner Loop Header: Depth=1
	s_clause 0x3
	global_load_dword v7, v[9:10], off offset:-128
	global_load_dword v19, v[9:10], off offset:-64
	global_load_dword v20, v[9:10], off
	global_load_dword v45, v[9:10], off offset:64
	s_clause 0x6
	global_load_dwordx4 v[11:14], v[5:6], off
	global_load_dwordx4 v[15:18], v[5:6], off offset:16
	global_load_dwordx4 v[25:28], v[5:6], off offset:512
	;; [unrolled: 1-line block ×6, first 2 shown]
	s_waitcnt vmcnt(10)
	v_subrev_nc_u32_e32 v7, s18, v7
	s_waitcnt vmcnt(9)
	v_subrev_nc_u32_e32 v46, s18, v19
	;; [unrolled: 2-line block ×4, first 2 shown]
	s_waitcnt vmcnt(6)
	v_lshlrev_b32_e32 v55, 16, v12
	v_lshlrev_b32_e32 v19, 2, v7
	;; [unrolled: 1-line block ×6, first 2 shown]
	v_ashrrev_i32_e32 v20, 31, v19
	v_ashrrev_i32_e32 v46, 31, v45
	;; [unrolled: 1-line block ×4, first 2 shown]
	v_and_b32_e32 v11, 0xffff0000, v11
	v_lshlrev_b64 v[19:20], 1, v[19:20]
	v_lshlrev_b64 v[45:46], 1, v[45:46]
	;; [unrolled: 1-line block ×4, first 2 shown]
	v_and_b32_e32 v12, 0xffff0000, v12
	v_lshlrev_b32_e32 v56, 16, v13
	v_add_co_u32 v19, vcc_lo, s6, v19
	v_add_co_ci_u32_e64 v20, null, s7, v20, vcc_lo
	v_add_co_u32 v45, vcc_lo, s6, v45
	v_add_co_ci_u32_e64 v46, null, s7, v46, vcc_lo
	;; [unrolled: 2-line block ×4, first 2 shown]
	s_clause 0x3
	global_load_dwordx2 v[19:20], v[19:20], off
	global_load_dwordx2 v[51:52], v[45:46], off
	;; [unrolled: 1-line block ×4, first 2 shown]
	global_load_dwordx4 v[45:48], v[5:6], off offset:1552
	v_and_b32_e32 v13, 0xffff0000, v13
	v_lshlrev_b32_e32 v57, 16, v14
	v_and_b32_e32 v14, 0xffff0000, v14
	s_waitcnt vmcnt(10)
	v_lshlrev_b32_e32 v58, 16, v15
	v_and_b32_e32 v15, 0xffff0000, v15
	v_lshlrev_b32_e32 v59, 16, v16
	v_and_b32_e32 v16, 0xffff0000, v16
	v_lshlrev_b32_e32 v60, 16, v17
	v_and_b32_e32 v17, 0xffff0000, v17
	v_lshlrev_b32_e32 v61, 16, v18
	v_and_b32_e32 v18, 0xffff0000, v18
	s_waitcnt vmcnt(9)
	v_lshlrev_b32_e32 v62, 16, v25
	v_and_b32_e32 v25, 0xffff0000, v25
	v_lshlrev_b32_e32 v63, 16, v26
	v_and_b32_e32 v26, 0xffff0000, v26
	v_lshlrev_b32_e32 v64, 16, v27
	;; [unrolled: 9-line block ×6, first 2 shown]
	v_and_b32_e32 v43, 0xffff0000, v43
	v_lshlrev_b32_e32 v81, 16, v44
	v_and_b32_e32 v44, 0xffff0000, v44
	v_add_co_u32 v5, vcc_lo, 0x800, v5
	v_add_co_ci_u32_e64 v6, null, 0, v6, vcc_lo
	v_add_co_u32 v0, vcc_lo, v0, 64
	v_add_co_ci_u32_e64 v1, null, 0, v1, vcc_lo
	;; [unrolled: 2-line block ×3, first 2 shown]
	v_cmp_ge_i64_e32 vcc_lo, v[0:1], v[2:3]
	s_or_b32 s3, vcc_lo, s3
	s_waitcnt vmcnt(4)
	v_lshlrev_b32_e32 v86, 16, v19
	v_and_b32_e32 v19, 0xffff0000, v19
	s_waitcnt vmcnt(0)
	v_lshlrev_b32_e32 v82, 16, v45
	v_fmac_f32_e32 v8, v7, v86
	v_fmac_f32_e32 v24, v11, v86
	v_fmac_f32_e32 v23, v55, v86
	v_fmac_f32_e32 v22, v12, v86
	v_lshlrev_b32_e32 v7, 16, v20
	v_fmac_f32_e32 v8, v56, v19
	v_fmac_f32_e32 v24, v13, v19
	v_fmac_f32_e32 v23, v57, v19
	v_fmac_f32_e32 v22, v14, v19
	v_and_b32_e32 v11, 0xffff0000, v20
	v_fmac_f32_e32 v8, v58, v7
	v_fmac_f32_e32 v24, v15, v7
	v_fmac_f32_e32 v23, v59, v7
	v_fmac_f32_e32 v22, v16, v7
	v_lshlrev_b32_e32 v7, 16, v51
	v_fmac_f32_e32 v8, v60, v11
	v_fmac_f32_e32 v24, v17, v11
	v_fmac_f32_e32 v23, v61, v11
	v_fmac_f32_e32 v22, v18, v11
	v_and_b32_e32 v11, 0xffff0000, v51
	;; [unrolled: 10-line block ×6, first 2 shown]
	v_fmac_f32_e32 v8, v78, v7
	v_fmac_f32_e32 v24, v41, v7
	;; [unrolled: 1-line block ×4, first 2 shown]
	v_and_b32_e32 v45, 0xffff0000, v45
	v_lshlrev_b32_e32 v83, 16, v46
	v_and_b32_e32 v46, 0xffff0000, v46
	v_lshlrev_b32_e32 v7, 16, v50
	v_fmac_f32_e32 v8, v80, v11
	v_fmac_f32_e32 v24, v43, v11
	;; [unrolled: 1-line block ×4, first 2 shown]
	v_lshlrev_b32_e32 v84, 16, v47
	v_and_b32_e32 v47, 0xffff0000, v47
	v_lshlrev_b32_e32 v85, 16, v48
	v_and_b32_e32 v48, 0xffff0000, v48
	v_and_b32_e32 v11, 0xffff0000, v50
	v_fmac_f32_e32 v8, v82, v7
	v_fmac_f32_e32 v24, v45, v7
	;; [unrolled: 1-line block ×8, first 2 shown]
	s_andn2_b32 exec_lo, exec_lo, s3
	s_cbranch_execnz .LBB112_33
; %bb.34:
	s_or_b32 exec_lo, exec_lo, s3
.LBB112_35:
	s_or_b32 exec_lo, exec_lo, s0
.LBB112_36:
	s_or_b32 exec_lo, exec_lo, s1
.LBB112_37:
	v_mbcnt_lo_u32_b32 v0, -1, 0
	s_mov_b32 s3, -1
	v_xor_b32_e32 v1, 8, v0
	v_xor_b32_e32 v6, 4, v0
	;; [unrolled: 1-line block ×3, first 2 shown]
	v_cmp_gt_i32_e32 vcc_lo, 32, v1
	v_cndmask_b32_e32 v1, v0, v1, vcc_lo
	v_cmp_gt_i32_e32 vcc_lo, 32, v6
	v_lshlrev_b32_e32 v1, 2, v1
	v_cndmask_b32_e32 v6, v0, v6, vcc_lo
	v_cmp_gt_i32_e32 vcc_lo, 32, v10
	ds_bpermute_b32 v2, v1, v8
	ds_bpermute_b32 v3, v1, v24
	;; [unrolled: 1-line block ×4, first 2 shown]
	v_lshlrev_b32_e32 v6, 2, v6
	v_cndmask_b32_e32 v10, v0, v10, vcc_lo
	v_lshlrev_b32_e32 v10, 2, v10
	s_waitcnt lgkmcnt(3)
	v_add_f32_e32 v2, v8, v2
	s_waitcnt lgkmcnt(2)
	v_add_f32_e32 v3, v24, v3
	;; [unrolled: 2-line block ×4, first 2 shown]
	ds_bpermute_b32 v7, v6, v2
	ds_bpermute_b32 v8, v6, v3
	;; [unrolled: 1-line block ×4, first 2 shown]
	s_waitcnt lgkmcnt(3)
	v_add_f32_e32 v2, v2, v7
	s_waitcnt lgkmcnt(2)
	v_add_f32_e32 v3, v3, v8
	;; [unrolled: 2-line block ×4, first 2 shown]
	ds_bpermute_b32 v1, v10, v2
	ds_bpermute_b32 v7, v10, v3
	ds_bpermute_b32 v8, v10, v5
	ds_bpermute_b32 v9, v10, v6
	v_xor_b32_e32 v10, 1, v0
	v_cmp_gt_i32_e32 vcc_lo, 32, v10
	v_cndmask_b32_e32 v0, v0, v10, vcc_lo
	v_cmp_eq_u32_e32 vcc_lo, 15, v21
	v_lshlrev_b32_e32 v10, 2, v0
	s_waitcnt lgkmcnt(3)
	v_add_f32_e32 v0, v2, v1
	s_waitcnt lgkmcnt(2)
	v_add_f32_e32 v1, v3, v7
	;; [unrolled: 2-line block ×4, first 2 shown]
	ds_bpermute_b32 v5, v10, v0
	ds_bpermute_b32 v6, v10, v1
	;; [unrolled: 1-line block ×4, first 2 shown]
	s_and_b32 exec_lo, exec_lo, vcc_lo
	s_cbranch_execz .LBB112_10
; %bb.38:
	s_load_dwordx2 s[0:1], s[4:5], 0x50
	s_waitcnt lgkmcnt(0)
	v_add_f32_e32 v0, v0, v5
	v_add_f32_e32 v1, v1, v6
	v_add_f32_e32 v2, v2, v7
	v_add_f32_e32 v3, v3, v8
	v_cmp_eq_f32_e64 s4, s2, 0
	v_mul_f32_e32 v0, s16, v0
	v_mul_f32_e32 v1, s16, v1
	;; [unrolled: 1-line block ×4, first 2 shown]
	v_lshlrev_b32_e32 v4, 2, v4
	s_and_b32 vcc_lo, exec_lo, s4
	s_cbranch_vccz .LBB112_40
; %bb.39:
	v_ashrrev_i32_e32 v5, 31, v4
	s_mov_b32 s3, 0
	v_lshlrev_b64 v[5:6], 2, v[4:5]
	v_add_co_u32 v5, vcc_lo, s0, v5
	v_add_co_ci_u32_e64 v6, null, s1, v6, vcc_lo
	global_store_dwordx4 v[5:6], v[0:3], off
.LBB112_40:
	s_andn2_b32 vcc_lo, exec_lo, s3
	s_cbranch_vccnz .LBB112_10
; %bb.41:
	v_ashrrev_i32_e32 v5, 31, v4
	v_lshlrev_b64 v[4:5], 2, v[4:5]
	v_add_co_u32 v8, vcc_lo, s0, v4
	v_add_co_ci_u32_e64 v9, null, s1, v5, vcc_lo
	global_load_dwordx4 v[4:7], v[8:9], off
	s_waitcnt vmcnt(0)
	v_fmac_f32_e32 v0, s2, v4
	v_fmac_f32_e32 v1, s2, v5
	;; [unrolled: 1-line block ×4, first 2 shown]
	global_store_dwordx4 v[8:9], v[0:3], off
	s_endpgm
	.section	.rodata,"a",@progbits
	.p2align	6, 0x0
	.amdhsa_kernel _ZN9rocsparseL18bsrxmvn_4x4_kernelILj128ELj16Efli18rocsparse_bfloat16S1_fEEvT3_20rocsparse_direction_NS_24const_host_device_scalarIT1_EES2_PKS2_PKT2_SB_S8_PKT4_PKT5_S6_PT6_21rocsparse_index_base_b
		.amdhsa_group_segment_fixed_size 0
		.amdhsa_private_segment_fixed_size 0
		.amdhsa_kernarg_size 96
		.amdhsa_user_sgpr_count 6
		.amdhsa_user_sgpr_private_segment_buffer 1
		.amdhsa_user_sgpr_dispatch_ptr 0
		.amdhsa_user_sgpr_queue_ptr 0
		.amdhsa_user_sgpr_kernarg_segment_ptr 1
		.amdhsa_user_sgpr_dispatch_id 0
		.amdhsa_user_sgpr_flat_scratch_init 0
		.amdhsa_user_sgpr_private_segment_size 0
		.amdhsa_wavefront_size32 1
		.amdhsa_uses_dynamic_stack 0
		.amdhsa_system_sgpr_private_segment_wavefront_offset 0
		.amdhsa_system_sgpr_workgroup_id_x 1
		.amdhsa_system_sgpr_workgroup_id_y 0
		.amdhsa_system_sgpr_workgroup_id_z 0
		.amdhsa_system_sgpr_workgroup_info 0
		.amdhsa_system_vgpr_workitem_id 0
		.amdhsa_next_free_vgpr 93
		.amdhsa_next_free_sgpr 20
		.amdhsa_reserve_vcc 1
		.amdhsa_reserve_flat_scratch 0
		.amdhsa_float_round_mode_32 0
		.amdhsa_float_round_mode_16_64 0
		.amdhsa_float_denorm_mode_32 3
		.amdhsa_float_denorm_mode_16_64 3
		.amdhsa_dx10_clamp 1
		.amdhsa_ieee_mode 1
		.amdhsa_fp16_overflow 0
		.amdhsa_workgroup_processor_mode 1
		.amdhsa_memory_ordered 1
		.amdhsa_forward_progress 1
		.amdhsa_shared_vgpr_count 0
		.amdhsa_exception_fp_ieee_invalid_op 0
		.amdhsa_exception_fp_denorm_src 0
		.amdhsa_exception_fp_ieee_div_zero 0
		.amdhsa_exception_fp_ieee_overflow 0
		.amdhsa_exception_fp_ieee_underflow 0
		.amdhsa_exception_fp_ieee_inexact 0
		.amdhsa_exception_int_div_zero 0
	.end_amdhsa_kernel
	.section	.text._ZN9rocsparseL18bsrxmvn_4x4_kernelILj128ELj16Efli18rocsparse_bfloat16S1_fEEvT3_20rocsparse_direction_NS_24const_host_device_scalarIT1_EES2_PKS2_PKT2_SB_S8_PKT4_PKT5_S6_PT6_21rocsparse_index_base_b,"axG",@progbits,_ZN9rocsparseL18bsrxmvn_4x4_kernelILj128ELj16Efli18rocsparse_bfloat16S1_fEEvT3_20rocsparse_direction_NS_24const_host_device_scalarIT1_EES2_PKS2_PKT2_SB_S8_PKT4_PKT5_S6_PT6_21rocsparse_index_base_b,comdat
.Lfunc_end112:
	.size	_ZN9rocsparseL18bsrxmvn_4x4_kernelILj128ELj16Efli18rocsparse_bfloat16S1_fEEvT3_20rocsparse_direction_NS_24const_host_device_scalarIT1_EES2_PKS2_PKT2_SB_S8_PKT4_PKT5_S6_PT6_21rocsparse_index_base_b, .Lfunc_end112-_ZN9rocsparseL18bsrxmvn_4x4_kernelILj128ELj16Efli18rocsparse_bfloat16S1_fEEvT3_20rocsparse_direction_NS_24const_host_device_scalarIT1_EES2_PKS2_PKT2_SB_S8_PKT4_PKT5_S6_PT6_21rocsparse_index_base_b
                                        ; -- End function
	.set _ZN9rocsparseL18bsrxmvn_4x4_kernelILj128ELj16Efli18rocsparse_bfloat16S1_fEEvT3_20rocsparse_direction_NS_24const_host_device_scalarIT1_EES2_PKS2_PKT2_SB_S8_PKT4_PKT5_S6_PT6_21rocsparse_index_base_b.num_vgpr, 93
	.set _ZN9rocsparseL18bsrxmvn_4x4_kernelILj128ELj16Efli18rocsparse_bfloat16S1_fEEvT3_20rocsparse_direction_NS_24const_host_device_scalarIT1_EES2_PKS2_PKT2_SB_S8_PKT4_PKT5_S6_PT6_21rocsparse_index_base_b.num_agpr, 0
	.set _ZN9rocsparseL18bsrxmvn_4x4_kernelILj128ELj16Efli18rocsparse_bfloat16S1_fEEvT3_20rocsparse_direction_NS_24const_host_device_scalarIT1_EES2_PKS2_PKT2_SB_S8_PKT4_PKT5_S6_PT6_21rocsparse_index_base_b.numbered_sgpr, 20
	.set _ZN9rocsparseL18bsrxmvn_4x4_kernelILj128ELj16Efli18rocsparse_bfloat16S1_fEEvT3_20rocsparse_direction_NS_24const_host_device_scalarIT1_EES2_PKS2_PKT2_SB_S8_PKT4_PKT5_S6_PT6_21rocsparse_index_base_b.num_named_barrier, 0
	.set _ZN9rocsparseL18bsrxmvn_4x4_kernelILj128ELj16Efli18rocsparse_bfloat16S1_fEEvT3_20rocsparse_direction_NS_24const_host_device_scalarIT1_EES2_PKS2_PKT2_SB_S8_PKT4_PKT5_S6_PT6_21rocsparse_index_base_b.private_seg_size, 0
	.set _ZN9rocsparseL18bsrxmvn_4x4_kernelILj128ELj16Efli18rocsparse_bfloat16S1_fEEvT3_20rocsparse_direction_NS_24const_host_device_scalarIT1_EES2_PKS2_PKT2_SB_S8_PKT4_PKT5_S6_PT6_21rocsparse_index_base_b.uses_vcc, 1
	.set _ZN9rocsparseL18bsrxmvn_4x4_kernelILj128ELj16Efli18rocsparse_bfloat16S1_fEEvT3_20rocsparse_direction_NS_24const_host_device_scalarIT1_EES2_PKS2_PKT2_SB_S8_PKT4_PKT5_S6_PT6_21rocsparse_index_base_b.uses_flat_scratch, 0
	.set _ZN9rocsparseL18bsrxmvn_4x4_kernelILj128ELj16Efli18rocsparse_bfloat16S1_fEEvT3_20rocsparse_direction_NS_24const_host_device_scalarIT1_EES2_PKS2_PKT2_SB_S8_PKT4_PKT5_S6_PT6_21rocsparse_index_base_b.has_dyn_sized_stack, 0
	.set _ZN9rocsparseL18bsrxmvn_4x4_kernelILj128ELj16Efli18rocsparse_bfloat16S1_fEEvT3_20rocsparse_direction_NS_24const_host_device_scalarIT1_EES2_PKS2_PKT2_SB_S8_PKT4_PKT5_S6_PT6_21rocsparse_index_base_b.has_recursion, 0
	.set _ZN9rocsparseL18bsrxmvn_4x4_kernelILj128ELj16Efli18rocsparse_bfloat16S1_fEEvT3_20rocsparse_direction_NS_24const_host_device_scalarIT1_EES2_PKS2_PKT2_SB_S8_PKT4_PKT5_S6_PT6_21rocsparse_index_base_b.has_indirect_call, 0
	.section	.AMDGPU.csdata,"",@progbits
; Kernel info:
; codeLenInByte = 4664
; TotalNumSgprs: 22
; NumVgprs: 93
; ScratchSize: 0
; MemoryBound: 0
; FloatMode: 240
; IeeeMode: 1
; LDSByteSize: 0 bytes/workgroup (compile time only)
; SGPRBlocks: 0
; VGPRBlocks: 11
; NumSGPRsForWavesPerEU: 22
; NumVGPRsForWavesPerEU: 93
; Occupancy: 10
; WaveLimiterHint : 1
; COMPUTE_PGM_RSRC2:SCRATCH_EN: 0
; COMPUTE_PGM_RSRC2:USER_SGPR: 6
; COMPUTE_PGM_RSRC2:TRAP_HANDLER: 0
; COMPUTE_PGM_RSRC2:TGID_X_EN: 1
; COMPUTE_PGM_RSRC2:TGID_Y_EN: 0
; COMPUTE_PGM_RSRC2:TGID_Z_EN: 0
; COMPUTE_PGM_RSRC2:TIDIG_COMP_CNT: 0
	.section	.text._ZN9rocsparseL18bsrxmvn_4x4_kernelILj128ELj32Efli18rocsparse_bfloat16S1_fEEvT3_20rocsparse_direction_NS_24const_host_device_scalarIT1_EES2_PKS2_PKT2_SB_S8_PKT4_PKT5_S6_PT6_21rocsparse_index_base_b,"axG",@progbits,_ZN9rocsparseL18bsrxmvn_4x4_kernelILj128ELj32Efli18rocsparse_bfloat16S1_fEEvT3_20rocsparse_direction_NS_24const_host_device_scalarIT1_EES2_PKS2_PKT2_SB_S8_PKT4_PKT5_S6_PT6_21rocsparse_index_base_b,comdat
	.globl	_ZN9rocsparseL18bsrxmvn_4x4_kernelILj128ELj32Efli18rocsparse_bfloat16S1_fEEvT3_20rocsparse_direction_NS_24const_host_device_scalarIT1_EES2_PKS2_PKT2_SB_S8_PKT4_PKT5_S6_PT6_21rocsparse_index_base_b ; -- Begin function _ZN9rocsparseL18bsrxmvn_4x4_kernelILj128ELj32Efli18rocsparse_bfloat16S1_fEEvT3_20rocsparse_direction_NS_24const_host_device_scalarIT1_EES2_PKS2_PKT2_SB_S8_PKT4_PKT5_S6_PT6_21rocsparse_index_base_b
	.p2align	8
	.type	_ZN9rocsparseL18bsrxmvn_4x4_kernelILj128ELj32Efli18rocsparse_bfloat16S1_fEEvT3_20rocsparse_direction_NS_24const_host_device_scalarIT1_EES2_PKS2_PKT2_SB_S8_PKT4_PKT5_S6_PT6_21rocsparse_index_base_b,@function
_ZN9rocsparseL18bsrxmvn_4x4_kernelILj128ELj32Efli18rocsparse_bfloat16S1_fEEvT3_20rocsparse_direction_NS_24const_host_device_scalarIT1_EES2_PKS2_PKT2_SB_S8_PKT4_PKT5_S6_PT6_21rocsparse_index_base_b: ; @_ZN9rocsparseL18bsrxmvn_4x4_kernelILj128ELj32Efli18rocsparse_bfloat16S1_fEEvT3_20rocsparse_direction_NS_24const_host_device_scalarIT1_EES2_PKS2_PKT2_SB_S8_PKT4_PKT5_S6_PT6_21rocsparse_index_base_b
; %bb.0:
	s_clause 0x2
	s_load_dwordx2 s[18:19], s[4:5], 0x58
	s_load_dwordx2 s[16:17], s[4:5], 0x8
	;; [unrolled: 1-line block ×3, first 2 shown]
	s_waitcnt lgkmcnt(0)
	s_bitcmp1_b32 s19, 0
	s_cselect_b32 s0, -1, 0
	s_and_b32 vcc_lo, exec_lo, s0
	s_xor_b32 s0, s0, -1
	s_cbranch_vccnz .LBB113_2
; %bb.1:
	s_load_dword s16, s[16:17], 0x0
.LBB113_2:
	s_andn2_b32 vcc_lo, exec_lo, s0
	s_cbranch_vccnz .LBB113_4
; %bb.3:
	s_load_dword s2, s[2:3], 0x0
.LBB113_4:
	s_waitcnt lgkmcnt(0)
	v_cmp_neq_f32_e64 s0, s16, 0
	v_cmp_neq_f32_e64 s1, s2, 1.0
	s_mov_b32 s3, 0
	s_or_b32 s0, s0, s1
	s_andn2_b32 vcc_lo, exec_lo, s0
	s_cbranch_vccnz .LBB113_10
; %bb.5:
	s_clause 0x1
	s_load_dwordx2 s[8:9], s[4:5], 0x18
	s_load_dwordx2 s[0:1], s[4:5], 0x0
	v_lshrrev_b32_e32 v1, 5, v0
	v_lshl_or_b32 v4, s6, 2, v1
	s_waitcnt lgkmcnt(0)
	s_cmp_lg_u64 s[8:9], 0
	s_cbranch_scc0 .LBB113_11
; %bb.6:
	s_load_dword s3, s[4:5], 0x10
	s_mov_b32 s6, 0
                                        ; implicit-def: $vgpr1
	s_waitcnt lgkmcnt(0)
	v_cmp_gt_i32_e32 vcc_lo, s3, v4
	s_mov_b32 s3, 0
	s_and_saveexec_b32 s7, vcc_lo
	s_xor_b32 s7, exec_lo, s7
	s_cbranch_execz .LBB113_8
; %bb.7:
	v_ashrrev_i32_e32 v5, 31, v4
	s_mov_b32 s3, exec_lo
	v_lshlrev_b64 v[1:2], 2, v[4:5]
	v_add_co_u32 v1, vcc_lo, s8, v1
	v_add_co_ci_u32_e64 v2, null, s9, v2, vcc_lo
	global_load_dword v1, v[1:2], off
	s_waitcnt vmcnt(0)
	v_subrev_nc_u32_e32 v1, s18, v1
.LBB113_8:
	s_or_b32 exec_lo, exec_lo, s7
	s_and_b32 vcc_lo, exec_lo, s6
	s_cbranch_vccz .LBB113_12
.LBB113_9:
	v_cmp_gt_i32_e32 vcc_lo, s0, v4
	s_andn2_b32 s0, s3, exec_lo
	s_and_b32 s3, vcc_lo, exec_lo
	s_or_b32 s3, s0, s3
	s_and_saveexec_b32 s0, s3
	s_cbranch_execnz .LBB113_13
.LBB113_10:
	s_endpgm
.LBB113_11:
                                        ; implicit-def: $vgpr1
	s_cbranch_execnz .LBB113_9
.LBB113_12:
	v_mov_b32_e32 v4, v1
	s_and_saveexec_b32 s0, s3
	s_cbranch_execz .LBB113_10
.LBB113_13:
	s_load_dwordx8 s[8:15], s[4:5], 0x20
	v_ashrrev_i32_e32 v5, 31, v4
	v_and_b32_e32 v21, 31, v0
	s_load_dwordx2 s[6:7], s[4:5], 0x40
	v_mov_b32_e32 v22, 0
	v_lshlrev_b64 v[1:2], 3, v[4:5]
	s_waitcnt lgkmcnt(0)
	v_add_co_u32 v5, vcc_lo, s8, v1
	v_add_co_ci_u32_e64 v6, null, s9, v2, vcc_lo
	v_add_co_u32 v1, vcc_lo, s10, v1
	v_add_co_ci_u32_e64 v2, null, s11, v2, vcc_lo
	v_add_co_u32 v3, vcc_lo, v5, 8
	global_load_dwordx2 v[9:10], v[5:6], off
	v_add_co_ci_u32_e64 v7, null, 0, v6, vcc_lo
	s_cmp_eq_u64 s[10:11], 0
	s_cselect_b32 vcc_lo, -1, 0
	s_cmp_eq_u32 s1, 1
	v_cndmask_b32_e32 v2, v2, v7, vcc_lo
	v_cndmask_b32_e32 v1, v1, v3, vcc_lo
	global_load_dwordx2 v[2:3], v[1:2], off
	s_waitcnt vmcnt(1)
	v_sub_co_u32 v0, vcc_lo, v9, s18
	v_subrev_co_ci_u32_e64 v1, null, 0, v10, vcc_lo
	v_add_co_u32 v0, vcc_lo, v0, v21
	v_add_co_ci_u32_e64 v1, null, 0, v1, vcc_lo
	v_lshlrev_b64 v[5:6], 5, v[0:1]
	s_waitcnt vmcnt(0)
	v_sub_co_u32 v2, vcc_lo, v2, s18
	v_subrev_co_ci_u32_e64 v3, null, 0, v3, vcc_lo
	v_add_co_u32 v5, vcc_lo, s14, v5
	v_cmp_lt_i64_e64 s0, v[0:1], v[2:3]
	v_add_co_ci_u32_e64 v6, null, s15, v6, vcc_lo
	s_cbranch_scc1 .LBB113_25
; %bb.14:
	v_mov_b32_e32 v23, 0
	v_mov_b32_e32 v24, 0
	v_mov_b32_e32 v8, 0
	s_and_saveexec_b32 s1, s0
	s_cbranch_execz .LBB113_24
; %bb.15:
	v_or_b32_e32 v7, 32, v21
	v_not_b32_e32 v12, v9
	v_not_b32_e32 v11, v10
	v_sub_co_u32 v7, s3, v7, s18
	v_sub_co_ci_u32_e64 v8, null, 0, 0, s3
	v_sub_co_u32 v13, s3, s18, v21
	v_add_co_u32 v7, vcc_lo, v7, v9
	v_add_co_ci_u32_e64 v8, null, v8, v10, vcc_lo
	v_sub_co_ci_u32_e64 v14, null, 0, 0, s3
	s_mov_b32 s3, exec_lo
	v_cmp_gt_i64_e32 vcc_lo, v[7:8], v[2:3]
	v_cndmask_b32_e32 v16, v3, v8, vcc_lo
	v_cndmask_b32_e32 v7, v2, v7, vcc_lo
	v_add_co_u32 v8, vcc_lo, v13, v12
	v_add_co_ci_u32_e64 v11, null, v14, v11, vcc_lo
	v_mov_b32_e32 v14, v6
	v_add_co_u32 v15, vcc_lo, v8, v7
	v_mov_b32_e32 v8, 0
	v_add_co_ci_u32_e64 v16, null, v11, v16, vcc_lo
	v_mov_b32_e32 v12, v1
	v_and_b32_e32 v7, 0x60, v15
	v_mov_b32_e32 v24, v8
	v_mov_b32_e32 v23, v8
	;; [unrolled: 1-line block ×5, first 2 shown]
	v_cmpx_ne_u64_e32 0x60, v[7:8]
	s_cbranch_execz .LBB113_19
; %bb.16:
	v_lshrrev_b32_e32 v7, 5, v15
	v_mov_b32_e32 v14, v6
	v_mov_b32_e32 v12, v1
	;; [unrolled: 1-line block ×4, first 2 shown]
	v_add_nc_u32_e32 v17, 1, v7
	v_lshlrev_b64 v[7:8], 2, v[0:1]
	v_mov_b32_e32 v11, v0
	v_mov_b32_e32 v23, 0
	;; [unrolled: 1-line block ×3, first 2 shown]
	v_and_b32_e32 v19, 3, v17
	v_add_co_u32 v17, vcc_lo, s12, v7
	v_add_co_ci_u32_e64 v18, null, s13, v8, vcc_lo
	v_sub_co_u32 v19, s8, 0, v19
	v_sub_co_ci_u32_e64 v20, null, 0, 0, s8
	v_mov_b32_e32 v8, 0
	s_mov_b32 s8, 0
.LBB113_17:                             ; =>This Inner Loop Header: Depth=1
	global_load_dword v7, v[17:18], off
	global_load_dwordx4 v[25:28], v[13:14], off
	s_waitcnt vmcnt(1)
	v_subrev_nc_u32_e32 v7, s18, v7
	s_waitcnt vmcnt(0)
	v_lshlrev_b32_e32 v36, 16, v27
	v_and_b32_e32 v27, 0xffff0000, v27
	v_lshlrev_b32_e32 v35, 16, v26
	v_lshlrev_b32_e32 v37, 16, v28
	;; [unrolled: 1-line block ×4, first 2 shown]
	v_and_b32_e32 v25, 0xffff0000, v25
	v_and_b32_e32 v26, 0xffff0000, v26
	v_and_b32_e32 v28, 0xffff0000, v28
	v_ashrrev_i32_e32 v30, 31, v29
	v_lshlrev_b64 v[29:30], 1, v[29:30]
	v_add_co_u32 v33, vcc_lo, s6, v29
	v_add_co_ci_u32_e64 v34, null, s7, v30, vcc_lo
	global_load_dwordx4 v[29:32], v[13:14], off offset:16
	global_load_dwordx2 v[33:34], v[33:34], off
	v_add_co_u32 v13, vcc_lo, 0x400, v13
	v_add_co_ci_u32_e64 v14, null, 0, v14, vcc_lo
	v_add_co_u32 v11, vcc_lo, v11, 32
	v_add_co_ci_u32_e64 v12, null, 0, v12, vcc_lo
	;; [unrolled: 2-line block ×4, first 2 shown]
	v_cmp_eq_u64_e32 vcc_lo, 0, v[19:20]
	s_or_b32 s8, vcc_lo, s8
	s_waitcnt vmcnt(1)
	v_lshlrev_b32_e32 v38, 16, v29
	v_lshlrev_b32_e32 v40, 16, v31
	s_waitcnt vmcnt(0)
	v_lshlrev_b32_e32 v42, 16, v33
	v_and_b32_e32 v29, 0xffff0000, v29
	v_and_b32_e32 v31, 0xffff0000, v31
	;; [unrolled: 1-line block ×3, first 2 shown]
	v_lshlrev_b32_e32 v39, 16, v30
	v_fmac_f32_e32 v8, v7, v42
	v_fmac_f32_e32 v24, v36, v42
	;; [unrolled: 1-line block ×4, first 2 shown]
	v_lshlrev_b32_e32 v41, 16, v32
	v_lshlrev_b32_e32 v7, 16, v34
	v_fmac_f32_e32 v8, v25, v33
	v_fmac_f32_e32 v24, v27, v33
	;; [unrolled: 1-line block ×4, first 2 shown]
	v_and_b32_e32 v30, 0xffff0000, v30
	v_and_b32_e32 v32, 0xffff0000, v32
	;; [unrolled: 1-line block ×3, first 2 shown]
	v_fmac_f32_e32 v8, v35, v7
	v_fmac_f32_e32 v24, v37, v7
	;; [unrolled: 1-line block ×8, first 2 shown]
	s_andn2_b32 exec_lo, exec_lo, s8
	s_cbranch_execnz .LBB113_17
; %bb.18:
	s_or_b32 exec_lo, exec_lo, s8
.LBB113_19:
	s_or_b32 exec_lo, exec_lo, s3
	s_mov_b32 s3, exec_lo
	v_cmpx_lt_u64_e32 0x5f, v[15:16]
	s_cbranch_execz .LBB113_23
; %bb.20:
	v_lshlrev_b64 v[15:16], 2, v[11:12]
	s_mov_b32 s8, 0
	v_add_co_u32 v7, vcc_lo, s12, v15
	v_add_co_ci_u32_e64 v16, null, s13, v16, vcc_lo
	v_add_co_u32 v15, vcc_lo, 0x100, v7
	v_add_co_ci_u32_e64 v16, null, 0, v16, vcc_lo
.LBB113_21:                             ; =>This Inner Loop Header: Depth=1
	s_clause 0x3
	global_load_dword v7, v[15:16], off offset:-256
	global_load_dword v53, v[15:16], off offset:-128
	global_load_dword v54, v[15:16], off
	global_load_dword v55, v[15:16], off offset:128
	s_clause 0x3
	global_load_dwordx4 v[17:20], v[13:14], off
	global_load_dwordx4 v[25:28], v[13:14], off offset:16
	global_load_dwordx4 v[29:32], v[13:14], off offset:1024
	;; [unrolled: 1-line block ×3, first 2 shown]
	v_add_co_u32 v49, vcc_lo, 0x800, v13
	v_add_co_ci_u32_e64 v50, null, 0, v14, vcc_lo
	s_clause 0x3
	global_load_dwordx4 v[37:40], v[49:50], off
	global_load_dwordx4 v[41:44], v[49:50], off offset:16
	global_load_dwordx4 v[45:48], v[49:50], off offset:1024
	;; [unrolled: 1-line block ×3, first 2 shown]
	s_waitcnt vmcnt(11)
	v_subrev_nc_u32_e32 v7, s18, v7
	s_waitcnt vmcnt(10)
	v_subrev_nc_u32_e32 v56, s18, v53
	;; [unrolled: 2-line block ×4, first 2 shown]
	s_waitcnt vmcnt(7)
	v_lshlrev_b32_e32 v62, 16, v19
	v_lshlrev_b32_e32 v53, 2, v7
	;; [unrolled: 1-line block ×6, first 2 shown]
	v_ashrrev_i32_e32 v54, 31, v53
	v_ashrrev_i32_e32 v56, 31, v55
	;; [unrolled: 1-line block ×4, first 2 shown]
	s_waitcnt vmcnt(6)
	v_lshlrev_b32_e32 v64, 16, v25
	v_lshlrev_b64 v[53:54], 1, v[53:54]
	v_lshlrev_b64 v[55:56], 1, v[55:56]
	v_lshlrev_b64 v[57:58], 1, v[57:58]
	v_lshlrev_b64 v[59:60], 1, v[59:60]
	v_lshlrev_b32_e32 v66, 16, v27
	v_and_b32_e32 v17, 0xffff0000, v17
	v_add_co_u32 v53, vcc_lo, s6, v53
	v_add_co_ci_u32_e64 v54, null, s7, v54, vcc_lo
	v_add_co_u32 v55, vcc_lo, s6, v55
	v_add_co_ci_u32_e64 v56, null, s7, v56, vcc_lo
	global_load_dwordx2 v[53:54], v[53:54], off
	v_add_co_u32 v57, vcc_lo, s6, v57
	global_load_dwordx2 v[55:56], v[55:56], off
	v_add_co_ci_u32_e64 v58, null, s7, v58, vcc_lo
	v_add_co_u32 v59, vcc_lo, s6, v59
	v_add_co_ci_u32_e64 v60, null, s7, v60, vcc_lo
	global_load_dwordx2 v[57:58], v[57:58], off
	v_and_b32_e32 v19, 0xffff0000, v19
	v_and_b32_e32 v25, 0xffff0000, v25
	global_load_dwordx2 v[59:60], v[59:60], off
	v_and_b32_e32 v27, 0xffff0000, v27
	v_lshlrev_b32_e32 v61, 16, v18
	v_lshlrev_b32_e32 v63, 16, v20
	v_lshlrev_b32_e32 v65, 16, v26
	v_lshlrev_b32_e32 v67, 16, v28
	v_and_b32_e32 v18, 0xffff0000, v18
	v_and_b32_e32 v20, 0xffff0000, v20
	v_and_b32_e32 v26, 0xffff0000, v26
	v_and_b32_e32 v28, 0xffff0000, v28
	s_waitcnt vmcnt(9)
	v_lshlrev_b32_e32 v68, 16, v29
	v_lshlrev_b32_e32 v70, 16, v31
	s_waitcnt vmcnt(8)
	v_lshlrev_b32_e32 v72, 16, v33
	v_lshlrev_b32_e32 v74, 16, v35
	v_and_b32_e32 v29, 0xffff0000, v29
	v_and_b32_e32 v31, 0xffff0000, v31
	v_and_b32_e32 v33, 0xffff0000, v33
	v_and_b32_e32 v35, 0xffff0000, v35
	v_lshlrev_b32_e32 v69, 16, v30
	v_lshlrev_b32_e32 v71, 16, v32
	v_lshlrev_b32_e32 v73, 16, v34
	v_lshlrev_b32_e32 v75, 16, v36
	v_and_b32_e32 v30, 0xffff0000, v30
	v_and_b32_e32 v32, 0xffff0000, v32
	v_and_b32_e32 v34, 0xffff0000, v34
	v_and_b32_e32 v36, 0xffff0000, v36
	s_waitcnt vmcnt(7)
	v_lshlrev_b32_e32 v76, 16, v37
	v_lshlrev_b32_e32 v78, 16, v39
	s_waitcnt vmcnt(6)
	v_lshlrev_b32_e32 v80, 16, v41
	v_lshlrev_b32_e32 v82, 16, v43
	v_and_b32_e32 v37, 0xffff0000, v37
	v_and_b32_e32 v39, 0xffff0000, v39
	v_and_b32_e32 v41, 0xffff0000, v41
	;; [unrolled: 18-line block ×3, first 2 shown]
	v_and_b32_e32 v51, 0xffff0000, v51
	v_add_co_u32 v11, vcc_lo, 0x80, v11
	v_lshlrev_b32_e32 v85, 16, v46
	v_lshlrev_b32_e32 v87, 16, v48
	;; [unrolled: 1-line block ×4, first 2 shown]
	v_add_co_ci_u32_e64 v12, null, 0, v12, vcc_lo
	v_add_co_u32 v15, vcc_lo, 0x200, v15
	v_add_co_ci_u32_e64 v16, null, 0, v16, vcc_lo
	v_add_co_u32 v13, vcc_lo, 0x1000, v13
	v_and_b32_e32 v46, 0xffff0000, v46
	v_and_b32_e32 v48, 0xffff0000, v48
	;; [unrolled: 1-line block ×4, first 2 shown]
	v_add_co_ci_u32_e64 v14, null, 0, v14, vcc_lo
	v_cmp_ge_i64_e32 vcc_lo, v[11:12], v[2:3]
	s_or_b32 s8, vcc_lo, s8
	s_waitcnt vmcnt(3)
	v_lshlrev_b32_e32 v92, 16, v53
	v_and_b32_e32 v53, 0xffff0000, v53
	v_fmac_f32_e32 v8, v7, v92
	v_fmac_f32_e32 v24, v62, v92
	v_fmac_f32_e32 v23, v64, v92
	v_fmac_f32_e32 v22, v66, v92
	v_lshlrev_b32_e32 v7, 16, v54
	v_fmac_f32_e32 v8, v17, v53
	v_fmac_f32_e32 v24, v19, v53
	v_fmac_f32_e32 v23, v25, v53
	v_fmac_f32_e32 v22, v27, v53
	v_and_b32_e32 v17, 0xffff0000, v54
	v_fmac_f32_e32 v8, v61, v7
	v_fmac_f32_e32 v24, v63, v7
	v_fmac_f32_e32 v23, v65, v7
	v_fmac_f32_e32 v22, v67, v7
	s_waitcnt vmcnt(2)
	v_lshlrev_b32_e32 v7, 16, v55
	v_fmac_f32_e32 v8, v18, v17
	v_fmac_f32_e32 v24, v20, v17
	v_fmac_f32_e32 v23, v26, v17
	v_fmac_f32_e32 v22, v28, v17
	v_and_b32_e32 v17, 0xffff0000, v55
	v_fmac_f32_e32 v8, v68, v7
	v_fmac_f32_e32 v24, v70, v7
	v_fmac_f32_e32 v23, v72, v7
	v_fmac_f32_e32 v22, v74, v7
	v_lshlrev_b32_e32 v7, 16, v56
	v_fmac_f32_e32 v8, v29, v17
	v_fmac_f32_e32 v24, v31, v17
	v_fmac_f32_e32 v23, v33, v17
	v_fmac_f32_e32 v22, v35, v17
	v_and_b32_e32 v17, 0xffff0000, v56
	v_fmac_f32_e32 v8, v69, v7
	v_fmac_f32_e32 v24, v71, v7
	v_fmac_f32_e32 v23, v73, v7
	v_fmac_f32_e32 v22, v75, v7
	s_waitcnt vmcnt(1)
	v_lshlrev_b32_e32 v7, 16, v57
	v_fmac_f32_e32 v8, v30, v17
	v_fmac_f32_e32 v24, v32, v17
	v_fmac_f32_e32 v23, v34, v17
	v_fmac_f32_e32 v22, v36, v17
	;; [unrolled: 21-line block ×3, first 2 shown]
	v_and_b32_e32 v17, 0xffff0000, v59
	v_fmac_f32_e32 v8, v84, v7
	v_fmac_f32_e32 v24, v86, v7
	;; [unrolled: 1-line block ×4, first 2 shown]
	v_lshlrev_b32_e32 v7, 16, v60
	v_fmac_f32_e32 v8, v45, v17
	v_fmac_f32_e32 v24, v47, v17
	;; [unrolled: 1-line block ×4, first 2 shown]
	v_and_b32_e32 v17, 0xffff0000, v60
	v_fmac_f32_e32 v8, v85, v7
	v_fmac_f32_e32 v24, v87, v7
	;; [unrolled: 1-line block ×8, first 2 shown]
	s_andn2_b32 exec_lo, exec_lo, s8
	s_cbranch_execnz .LBB113_21
; %bb.22:
	s_or_b32 exec_lo, exec_lo, s8
.LBB113_23:
	s_or_b32 exec_lo, exec_lo, s3
.LBB113_24:
	s_or_b32 exec_lo, exec_lo, s1
	s_cbranch_execz .LBB113_26
	s_branch .LBB113_37
.LBB113_25:
                                        ; implicit-def: $vgpr22
                                        ; implicit-def: $vgpr23
                                        ; implicit-def: $vgpr24
                                        ; implicit-def: $vgpr8
.LBB113_26:
	v_mov_b32_e32 v22, 0
	v_mov_b32_e32 v23, 0
	v_mov_b32_e32 v24, 0
	v_mov_b32_e32 v8, 0
	s_and_saveexec_b32 s1, s0
	s_cbranch_execz .LBB113_36
; %bb.27:
	v_or_b32_e32 v7, 32, v21
	v_sub_co_u32 v7, s0, v7, s18
	v_sub_co_ci_u32_e64 v8, null, 0, 0, s0
	v_sub_co_u32 v11, s0, s18, v21
	v_add_co_u32 v7, vcc_lo, v7, v9
	v_add_co_ci_u32_e64 v8, null, v8, v10, vcc_lo
	v_not_b32_e32 v9, v9
	v_not_b32_e32 v10, v10
	v_sub_co_ci_u32_e64 v12, null, 0, 0, s0
	v_cmp_gt_i64_e32 vcc_lo, v[7:8], v[2:3]
	s_mov_b32 s0, exec_lo
	v_cndmask_b32_e32 v13, v3, v8, vcc_lo
	v_cndmask_b32_e32 v7, v2, v7, vcc_lo
	v_add_co_u32 v8, vcc_lo, v11, v9
	v_add_co_ci_u32_e64 v10, null, v12, v10, vcc_lo
	v_add_co_u32 v9, vcc_lo, v8, v7
	v_mov_b32_e32 v8, 0
	v_add_co_ci_u32_e64 v10, null, v10, v13, vcc_lo
	v_and_b32_e32 v7, 0x60, v9
	v_mov_b32_e32 v24, v8
	v_mov_b32_e32 v23, v8
	;; [unrolled: 1-line block ×3, first 2 shown]
	v_cmpx_ne_u64_e32 0x60, v[7:8]
	s_cbranch_execz .LBB113_31
; %bb.28:
	v_lshrrev_b32_e32 v7, 5, v9
	v_mov_b32_e32 v22, 0
	v_mov_b32_e32 v23, 0
	;; [unrolled: 1-line block ×3, first 2 shown]
	v_add_nc_u32_e32 v11, 1, v7
	v_lshlrev_b64 v[7:8], 2, v[0:1]
	v_and_b32_e32 v13, 3, v11
	v_add_co_u32 v11, vcc_lo, s12, v7
	v_add_co_ci_u32_e64 v12, null, s13, v8, vcc_lo
	v_sub_co_u32 v13, s3, 0, v13
	v_sub_co_ci_u32_e64 v14, null, 0, 0, s3
	v_mov_b32_e32 v8, 0
	s_mov_b32 s3, 0
.LBB113_29:                             ; =>This Inner Loop Header: Depth=1
	global_load_dword v7, v[11:12], off
	global_load_dwordx4 v[15:18], v[5:6], off
	s_waitcnt vmcnt(1)
	v_subrev_nc_u32_e32 v7, s18, v7
	s_waitcnt vmcnt(0)
	v_lshlrev_b32_e32 v29, 16, v16
	v_and_b32_e32 v16, 0xffff0000, v16
	v_lshlrev_b32_e32 v30, 16, v17
	v_and_b32_e32 v17, 0xffff0000, v17
	v_lshlrev_b32_e32 v19, 2, v7
	v_lshlrev_b32_e32 v7, 16, v15
	v_and_b32_e32 v15, 0xffff0000, v15
	v_lshlrev_b32_e32 v31, 16, v18
	v_and_b32_e32 v18, 0xffff0000, v18
	v_ashrrev_i32_e32 v20, 31, v19
	v_lshlrev_b64 v[19:20], 1, v[19:20]
	v_add_co_u32 v19, vcc_lo, s6, v19
	v_add_co_ci_u32_e64 v20, null, s7, v20, vcc_lo
	global_load_dwordx2 v[19:20], v[19:20], off
	global_load_dwordx4 v[25:28], v[5:6], off offset:16
	v_add_co_u32 v5, vcc_lo, 0x400, v5
	v_add_co_ci_u32_e64 v6, null, 0, v6, vcc_lo
	v_add_co_u32 v0, vcc_lo, v0, 32
	v_add_co_ci_u32_e64 v1, null, 0, v1, vcc_lo
	;; [unrolled: 2-line block ×4, first 2 shown]
	v_cmp_eq_u64_e32 vcc_lo, 0, v[13:14]
	s_or_b32 s3, vcc_lo, s3
	s_waitcnt vmcnt(1)
	v_lshlrev_b32_e32 v36, 16, v19
	v_and_b32_e32 v19, 0xffff0000, v19
	s_waitcnt vmcnt(0)
	v_lshlrev_b32_e32 v32, 16, v25
	v_and_b32_e32 v25, 0xffff0000, v25
	v_lshlrev_b32_e32 v33, 16, v26
	v_fmac_f32_e32 v8, v7, v36
	v_fmac_f32_e32 v24, v15, v36
	;; [unrolled: 1-line block ×4, first 2 shown]
	v_and_b32_e32 v26, 0xffff0000, v26
	v_lshlrev_b32_e32 v7, 16, v20
	v_fmac_f32_e32 v8, v30, v19
	v_fmac_f32_e32 v24, v17, v19
	v_fmac_f32_e32 v23, v31, v19
	v_fmac_f32_e32 v22, v18, v19
	v_lshlrev_b32_e32 v34, 16, v27
	v_and_b32_e32 v27, 0xffff0000, v27
	v_lshlrev_b32_e32 v35, 16, v28
	v_and_b32_e32 v28, 0xffff0000, v28
	v_and_b32_e32 v15, 0xffff0000, v20
	v_fmac_f32_e32 v8, v32, v7
	v_fmac_f32_e32 v24, v25, v7
	;; [unrolled: 1-line block ×8, first 2 shown]
	s_andn2_b32 exec_lo, exec_lo, s3
	s_cbranch_execnz .LBB113_29
; %bb.30:
	s_or_b32 exec_lo, exec_lo, s3
.LBB113_31:
	s_or_b32 exec_lo, exec_lo, s0
	s_mov_b32 s0, exec_lo
	v_cmpx_lt_u64_e32 0x5f, v[9:10]
	s_cbranch_execz .LBB113_35
; %bb.32:
	v_lshlrev_b64 v[9:10], 2, v[0:1]
	s_mov_b32 s3, 0
	v_add_co_u32 v7, vcc_lo, s12, v9
	v_add_co_ci_u32_e64 v10, null, s13, v10, vcc_lo
	v_add_co_u32 v9, vcc_lo, 0x100, v7
	v_add_co_ci_u32_e64 v10, null, 0, v10, vcc_lo
.LBB113_33:                             ; =>This Inner Loop Header: Depth=1
	s_clause 0x3
	global_load_dword v7, v[9:10], off offset:-256
	global_load_dword v45, v[9:10], off offset:-128
	global_load_dword v46, v[9:10], off
	global_load_dword v47, v[9:10], off offset:128
	global_load_dwordx4 v[11:14], v[5:6], off
	v_add_co_u32 v19, vcc_lo, 0x800, v5
	v_add_co_ci_u32_e64 v20, null, 0, v6, vcc_lo
	s_clause 0x5
	global_load_dwordx4 v[15:18], v[5:6], off offset:16
	global_load_dwordx4 v[25:28], v[5:6], off offset:1024
	;; [unrolled: 1-line block ×3, first 2 shown]
	global_load_dwordx4 v[33:36], v[19:20], off
	global_load_dwordx4 v[37:40], v[19:20], off offset:16
	global_load_dwordx4 v[41:44], v[19:20], off offset:1024
	s_waitcnt vmcnt(10)
	v_subrev_nc_u32_e32 v7, s18, v7
	s_waitcnt vmcnt(9)
	v_subrev_nc_u32_e32 v48, s18, v45
	s_waitcnt vmcnt(8)
	v_subrev_nc_u32_e32 v46, s18, v46
	s_waitcnt vmcnt(7)
	v_subrev_nc_u32_e32 v50, s18, v47
	s_waitcnt vmcnt(6)
	v_lshlrev_b32_e32 v57, 16, v14
	v_lshlrev_b32_e32 v45, 2, v7
	v_lshlrev_b32_e32 v47, 2, v48
	v_lshlrev_b32_e32 v49, 2, v46
	v_lshlrev_b32_e32 v51, 2, v50
	v_lshlrev_b32_e32 v7, 16, v11
	v_ashrrev_i32_e32 v46, 31, v45
	v_ashrrev_i32_e32 v48, 31, v47
	;; [unrolled: 1-line block ×4, first 2 shown]
	v_and_b32_e32 v11, 0xffff0000, v11
	v_lshlrev_b64 v[45:46], 1, v[45:46]
	v_lshlrev_b64 v[47:48], 1, v[47:48]
	;; [unrolled: 1-line block ×4, first 2 shown]
	v_and_b32_e32 v14, 0xffff0000, v14
	s_waitcnt vmcnt(5)
	v_lshlrev_b32_e32 v58, 16, v15
	v_add_co_u32 v45, vcc_lo, s6, v45
	v_add_co_ci_u32_e64 v46, null, s7, v46, vcc_lo
	v_add_co_u32 v47, vcc_lo, s6, v47
	v_add_co_ci_u32_e64 v48, null, s7, v48, vcc_lo
	;; [unrolled: 2-line block ×4, first 2 shown]
	s_clause 0x3
	global_load_dwordx2 v[53:54], v[45:46], off
	global_load_dwordx2 v[55:56], v[47:48], off
	;; [unrolled: 1-line block ×4, first 2 shown]
	global_load_dwordx4 v[45:48], v[19:20], off offset:1040
	v_lshlrev_b32_e32 v19, 16, v12
	v_and_b32_e32 v12, 0xffff0000, v12
	v_lshlrev_b32_e32 v20, 16, v13
	v_and_b32_e32 v13, 0xffff0000, v13
	v_and_b32_e32 v15, 0xffff0000, v15
	v_lshlrev_b32_e32 v59, 16, v16
	v_and_b32_e32 v16, 0xffff0000, v16
	v_lshlrev_b32_e32 v60, 16, v17
	v_and_b32_e32 v17, 0xffff0000, v17
	v_lshlrev_b32_e32 v61, 16, v18
	v_and_b32_e32 v18, 0xffff0000, v18
	s_waitcnt vmcnt(9)
	v_lshlrev_b32_e32 v62, 16, v25
	v_and_b32_e32 v25, 0xffff0000, v25
	v_lshlrev_b32_e32 v63, 16, v26
	v_and_b32_e32 v26, 0xffff0000, v26
	v_lshlrev_b32_e32 v64, 16, v27
	v_and_b32_e32 v27, 0xffff0000, v27
	v_lshlrev_b32_e32 v65, 16, v28
	v_and_b32_e32 v28, 0xffff0000, v28
	s_waitcnt vmcnt(8)
	v_lshlrev_b32_e32 v66, 16, v29
	v_and_b32_e32 v29, 0xffff0000, v29
	v_lshlrev_b32_e32 v67, 16, v30
	v_and_b32_e32 v30, 0xffff0000, v30
	v_lshlrev_b32_e32 v68, 16, v31
	v_and_b32_e32 v31, 0xffff0000, v31
	v_lshlrev_b32_e32 v69, 16, v32
	v_and_b32_e32 v32, 0xffff0000, v32
	s_waitcnt vmcnt(7)
	v_lshlrev_b32_e32 v70, 16, v33
	v_and_b32_e32 v33, 0xffff0000, v33
	v_lshlrev_b32_e32 v71, 16, v34
	v_and_b32_e32 v34, 0xffff0000, v34
	v_lshlrev_b32_e32 v72, 16, v35
	v_and_b32_e32 v35, 0xffff0000, v35
	v_lshlrev_b32_e32 v73, 16, v36
	v_and_b32_e32 v36, 0xffff0000, v36
	s_waitcnt vmcnt(6)
	v_lshlrev_b32_e32 v74, 16, v37
	v_and_b32_e32 v37, 0xffff0000, v37
	v_lshlrev_b32_e32 v75, 16, v38
	v_and_b32_e32 v38, 0xffff0000, v38
	v_lshlrev_b32_e32 v76, 16, v39
	v_and_b32_e32 v39, 0xffff0000, v39
	v_lshlrev_b32_e32 v77, 16, v40
	v_and_b32_e32 v40, 0xffff0000, v40
	s_waitcnt vmcnt(5)
	v_lshlrev_b32_e32 v78, 16, v41
	v_and_b32_e32 v41, 0xffff0000, v41
	v_lshlrev_b32_e32 v79, 16, v42
	v_and_b32_e32 v42, 0xffff0000, v42
	v_lshlrev_b32_e32 v80, 16, v43
	;; [unrolled: 2-line block ×3, first 2 shown]
	v_and_b32_e32 v44, 0xffff0000, v44
	v_add_co_u32 v0, vcc_lo, 0x80, v0
	v_add_co_ci_u32_e64 v1, null, 0, v1, vcc_lo
	v_add_co_u32 v9, vcc_lo, 0x200, v9
	v_add_co_ci_u32_e64 v10, null, 0, v10, vcc_lo
	;; [unrolled: 2-line block ×3, first 2 shown]
	v_cmp_ge_i64_e32 vcc_lo, v[0:1], v[2:3]
	s_or_b32 s3, vcc_lo, s3
	s_waitcnt vmcnt(4)
	v_lshlrev_b32_e32 v86, 16, v53
	v_and_b32_e32 v53, 0xffff0000, v53
	s_waitcnt vmcnt(0)
	v_lshlrev_b32_e32 v82, 16, v45
	v_fmac_f32_e32 v8, v7, v86
	v_fmac_f32_e32 v24, v11, v86
	v_fmac_f32_e32 v23, v19, v86
	v_fmac_f32_e32 v22, v12, v86
	v_lshlrev_b32_e32 v7, 16, v54
	v_fmac_f32_e32 v8, v20, v53
	v_fmac_f32_e32 v24, v13, v53
	v_fmac_f32_e32 v23, v57, v53
	v_fmac_f32_e32 v22, v14, v53
	v_and_b32_e32 v11, 0xffff0000, v54
	v_fmac_f32_e32 v8, v58, v7
	v_fmac_f32_e32 v24, v15, v7
	v_fmac_f32_e32 v23, v59, v7
	v_fmac_f32_e32 v22, v16, v7
	v_lshlrev_b32_e32 v7, 16, v55
	v_fmac_f32_e32 v8, v60, v11
	v_fmac_f32_e32 v24, v17, v11
	v_fmac_f32_e32 v23, v61, v11
	v_fmac_f32_e32 v22, v18, v11
	v_and_b32_e32 v11, 0xffff0000, v55
	;; [unrolled: 10-line block ×6, first 2 shown]
	v_fmac_f32_e32 v8, v78, v7
	v_fmac_f32_e32 v24, v41, v7
	;; [unrolled: 1-line block ×4, first 2 shown]
	v_and_b32_e32 v45, 0xffff0000, v45
	v_lshlrev_b32_e32 v83, 16, v46
	v_and_b32_e32 v46, 0xffff0000, v46
	v_lshlrev_b32_e32 v7, 16, v52
	v_fmac_f32_e32 v8, v80, v11
	v_fmac_f32_e32 v24, v43, v11
	;; [unrolled: 1-line block ×4, first 2 shown]
	v_lshlrev_b32_e32 v84, 16, v47
	v_and_b32_e32 v47, 0xffff0000, v47
	v_lshlrev_b32_e32 v85, 16, v48
	v_and_b32_e32 v48, 0xffff0000, v48
	v_and_b32_e32 v11, 0xffff0000, v52
	v_fmac_f32_e32 v8, v82, v7
	v_fmac_f32_e32 v24, v45, v7
	;; [unrolled: 1-line block ×8, first 2 shown]
	s_andn2_b32 exec_lo, exec_lo, s3
	s_cbranch_execnz .LBB113_33
; %bb.34:
	s_or_b32 exec_lo, exec_lo, s3
.LBB113_35:
	s_or_b32 exec_lo, exec_lo, s0
.LBB113_36:
	s_or_b32 exec_lo, exec_lo, s1
.LBB113_37:
	v_mbcnt_lo_u32_b32 v0, -1, 0
	s_mov_b32 s3, -1
	v_xor_b32_e32 v1, 16, v0
	v_xor_b32_e32 v6, 8, v0
	;; [unrolled: 1-line block ×3, first 2 shown]
	v_cmp_gt_i32_e32 vcc_lo, 32, v1
	v_cndmask_b32_e32 v1, v0, v1, vcc_lo
	v_cmp_gt_i32_e32 vcc_lo, 32, v6
	v_lshlrev_b32_e32 v1, 2, v1
	v_cndmask_b32_e32 v6, v0, v6, vcc_lo
	v_cmp_gt_i32_e32 vcc_lo, 32, v10
	ds_bpermute_b32 v2, v1, v8
	ds_bpermute_b32 v3, v1, v24
	;; [unrolled: 1-line block ×4, first 2 shown]
	v_lshlrev_b32_e32 v6, 2, v6
	v_cndmask_b32_e32 v10, v0, v10, vcc_lo
	v_lshlrev_b32_e32 v10, 2, v10
	s_waitcnt lgkmcnt(3)
	v_add_f32_e32 v2, v8, v2
	s_waitcnt lgkmcnt(2)
	v_add_f32_e32 v3, v24, v3
	;; [unrolled: 2-line block ×4, first 2 shown]
	ds_bpermute_b32 v7, v6, v2
	ds_bpermute_b32 v8, v6, v3
	;; [unrolled: 1-line block ×4, first 2 shown]
	s_waitcnt lgkmcnt(3)
	v_add_f32_e32 v2, v2, v7
	s_waitcnt lgkmcnt(2)
	v_add_f32_e32 v3, v3, v8
	;; [unrolled: 2-line block ×4, first 2 shown]
	ds_bpermute_b32 v6, v10, v2
	ds_bpermute_b32 v7, v10, v3
	;; [unrolled: 1-line block ×4, first 2 shown]
	v_xor_b32_e32 v10, 2, v0
	v_cmp_gt_i32_e32 vcc_lo, 32, v10
	v_cndmask_b32_e32 v10, v0, v10, vcc_lo
	v_lshlrev_b32_e32 v10, 2, v10
	s_waitcnt lgkmcnt(3)
	v_add_f32_e32 v2, v2, v6
	s_waitcnt lgkmcnt(2)
	v_add_f32_e32 v3, v3, v7
	s_waitcnt lgkmcnt(1)
	v_add_f32_e32 v5, v5, v8
	s_waitcnt lgkmcnt(0)
	v_add_f32_e32 v6, v1, v9
	ds_bpermute_b32 v1, v10, v2
	ds_bpermute_b32 v7, v10, v3
	;; [unrolled: 1-line block ×4, first 2 shown]
	v_xor_b32_e32 v10, 1, v0
	v_cmp_gt_i32_e32 vcc_lo, 32, v10
	v_cndmask_b32_e32 v0, v0, v10, vcc_lo
	v_cmp_eq_u32_e32 vcc_lo, 31, v21
	v_lshlrev_b32_e32 v10, 2, v0
	s_waitcnt lgkmcnt(3)
	v_add_f32_e32 v0, v2, v1
	s_waitcnt lgkmcnt(2)
	v_add_f32_e32 v1, v3, v7
	;; [unrolled: 2-line block ×4, first 2 shown]
	ds_bpermute_b32 v5, v10, v0
	ds_bpermute_b32 v6, v10, v1
	;; [unrolled: 1-line block ×4, first 2 shown]
	s_and_b32 exec_lo, exec_lo, vcc_lo
	s_cbranch_execz .LBB113_10
; %bb.38:
	s_load_dwordx2 s[0:1], s[4:5], 0x50
	s_waitcnt lgkmcnt(0)
	v_add_f32_e32 v0, v0, v5
	v_add_f32_e32 v1, v1, v6
	;; [unrolled: 1-line block ×4, first 2 shown]
	v_cmp_eq_f32_e64 s4, s2, 0
	v_mul_f32_e32 v0, s16, v0
	v_mul_f32_e32 v1, s16, v1
	;; [unrolled: 1-line block ×4, first 2 shown]
	v_lshlrev_b32_e32 v4, 2, v4
	s_and_b32 vcc_lo, exec_lo, s4
	s_cbranch_vccz .LBB113_40
; %bb.39:
	v_ashrrev_i32_e32 v5, 31, v4
	s_mov_b32 s3, 0
	v_lshlrev_b64 v[5:6], 2, v[4:5]
	v_add_co_u32 v5, vcc_lo, s0, v5
	v_add_co_ci_u32_e64 v6, null, s1, v6, vcc_lo
	global_store_dwordx4 v[5:6], v[0:3], off
.LBB113_40:
	s_andn2_b32 vcc_lo, exec_lo, s3
	s_cbranch_vccnz .LBB113_10
; %bb.41:
	v_ashrrev_i32_e32 v5, 31, v4
	v_lshlrev_b64 v[4:5], 2, v[4:5]
	v_add_co_u32 v8, vcc_lo, s0, v4
	v_add_co_ci_u32_e64 v9, null, s1, v5, vcc_lo
	global_load_dwordx4 v[4:7], v[8:9], off
	s_waitcnt vmcnt(0)
	v_fmac_f32_e32 v0, s2, v4
	v_fmac_f32_e32 v1, s2, v5
	;; [unrolled: 1-line block ×4, first 2 shown]
	global_store_dwordx4 v[8:9], v[0:3], off
	s_endpgm
	.section	.rodata,"a",@progbits
	.p2align	6, 0x0
	.amdhsa_kernel _ZN9rocsparseL18bsrxmvn_4x4_kernelILj128ELj32Efli18rocsparse_bfloat16S1_fEEvT3_20rocsparse_direction_NS_24const_host_device_scalarIT1_EES2_PKS2_PKT2_SB_S8_PKT4_PKT5_S6_PT6_21rocsparse_index_base_b
		.amdhsa_group_segment_fixed_size 0
		.amdhsa_private_segment_fixed_size 0
		.amdhsa_kernarg_size 96
		.amdhsa_user_sgpr_count 6
		.amdhsa_user_sgpr_private_segment_buffer 1
		.amdhsa_user_sgpr_dispatch_ptr 0
		.amdhsa_user_sgpr_queue_ptr 0
		.amdhsa_user_sgpr_kernarg_segment_ptr 1
		.amdhsa_user_sgpr_dispatch_id 0
		.amdhsa_user_sgpr_flat_scratch_init 0
		.amdhsa_user_sgpr_private_segment_size 0
		.amdhsa_wavefront_size32 1
		.amdhsa_uses_dynamic_stack 0
		.amdhsa_system_sgpr_private_segment_wavefront_offset 0
		.amdhsa_system_sgpr_workgroup_id_x 1
		.amdhsa_system_sgpr_workgroup_id_y 0
		.amdhsa_system_sgpr_workgroup_id_z 0
		.amdhsa_system_sgpr_workgroup_info 0
		.amdhsa_system_vgpr_workitem_id 0
		.amdhsa_next_free_vgpr 93
		.amdhsa_next_free_sgpr 20
		.amdhsa_reserve_vcc 1
		.amdhsa_reserve_flat_scratch 0
		.amdhsa_float_round_mode_32 0
		.amdhsa_float_round_mode_16_64 0
		.amdhsa_float_denorm_mode_32 3
		.amdhsa_float_denorm_mode_16_64 3
		.amdhsa_dx10_clamp 1
		.amdhsa_ieee_mode 1
		.amdhsa_fp16_overflow 0
		.amdhsa_workgroup_processor_mode 1
		.amdhsa_memory_ordered 1
		.amdhsa_forward_progress 1
		.amdhsa_shared_vgpr_count 0
		.amdhsa_exception_fp_ieee_invalid_op 0
		.amdhsa_exception_fp_denorm_src 0
		.amdhsa_exception_fp_ieee_div_zero 0
		.amdhsa_exception_fp_ieee_overflow 0
		.amdhsa_exception_fp_ieee_underflow 0
		.amdhsa_exception_fp_ieee_inexact 0
		.amdhsa_exception_int_div_zero 0
	.end_amdhsa_kernel
	.section	.text._ZN9rocsparseL18bsrxmvn_4x4_kernelILj128ELj32Efli18rocsparse_bfloat16S1_fEEvT3_20rocsparse_direction_NS_24const_host_device_scalarIT1_EES2_PKS2_PKT2_SB_S8_PKT4_PKT5_S6_PT6_21rocsparse_index_base_b,"axG",@progbits,_ZN9rocsparseL18bsrxmvn_4x4_kernelILj128ELj32Efli18rocsparse_bfloat16S1_fEEvT3_20rocsparse_direction_NS_24const_host_device_scalarIT1_EES2_PKS2_PKT2_SB_S8_PKT4_PKT5_S6_PT6_21rocsparse_index_base_b,comdat
.Lfunc_end113:
	.size	_ZN9rocsparseL18bsrxmvn_4x4_kernelILj128ELj32Efli18rocsparse_bfloat16S1_fEEvT3_20rocsparse_direction_NS_24const_host_device_scalarIT1_EES2_PKS2_PKT2_SB_S8_PKT4_PKT5_S6_PT6_21rocsparse_index_base_b, .Lfunc_end113-_ZN9rocsparseL18bsrxmvn_4x4_kernelILj128ELj32Efli18rocsparse_bfloat16S1_fEEvT3_20rocsparse_direction_NS_24const_host_device_scalarIT1_EES2_PKS2_PKT2_SB_S8_PKT4_PKT5_S6_PT6_21rocsparse_index_base_b
                                        ; -- End function
	.set _ZN9rocsparseL18bsrxmvn_4x4_kernelILj128ELj32Efli18rocsparse_bfloat16S1_fEEvT3_20rocsparse_direction_NS_24const_host_device_scalarIT1_EES2_PKS2_PKT2_SB_S8_PKT4_PKT5_S6_PT6_21rocsparse_index_base_b.num_vgpr, 93
	.set _ZN9rocsparseL18bsrxmvn_4x4_kernelILj128ELj32Efli18rocsparse_bfloat16S1_fEEvT3_20rocsparse_direction_NS_24const_host_device_scalarIT1_EES2_PKS2_PKT2_SB_S8_PKT4_PKT5_S6_PT6_21rocsparse_index_base_b.num_agpr, 0
	.set _ZN9rocsparseL18bsrxmvn_4x4_kernelILj128ELj32Efli18rocsparse_bfloat16S1_fEEvT3_20rocsparse_direction_NS_24const_host_device_scalarIT1_EES2_PKS2_PKT2_SB_S8_PKT4_PKT5_S6_PT6_21rocsparse_index_base_b.numbered_sgpr, 20
	.set _ZN9rocsparseL18bsrxmvn_4x4_kernelILj128ELj32Efli18rocsparse_bfloat16S1_fEEvT3_20rocsparse_direction_NS_24const_host_device_scalarIT1_EES2_PKS2_PKT2_SB_S8_PKT4_PKT5_S6_PT6_21rocsparse_index_base_b.num_named_barrier, 0
	.set _ZN9rocsparseL18bsrxmvn_4x4_kernelILj128ELj32Efli18rocsparse_bfloat16S1_fEEvT3_20rocsparse_direction_NS_24const_host_device_scalarIT1_EES2_PKS2_PKT2_SB_S8_PKT4_PKT5_S6_PT6_21rocsparse_index_base_b.private_seg_size, 0
	.set _ZN9rocsparseL18bsrxmvn_4x4_kernelILj128ELj32Efli18rocsparse_bfloat16S1_fEEvT3_20rocsparse_direction_NS_24const_host_device_scalarIT1_EES2_PKS2_PKT2_SB_S8_PKT4_PKT5_S6_PT6_21rocsparse_index_base_b.uses_vcc, 1
	.set _ZN9rocsparseL18bsrxmvn_4x4_kernelILj128ELj32Efli18rocsparse_bfloat16S1_fEEvT3_20rocsparse_direction_NS_24const_host_device_scalarIT1_EES2_PKS2_PKT2_SB_S8_PKT4_PKT5_S6_PT6_21rocsparse_index_base_b.uses_flat_scratch, 0
	.set _ZN9rocsparseL18bsrxmvn_4x4_kernelILj128ELj32Efli18rocsparse_bfloat16S1_fEEvT3_20rocsparse_direction_NS_24const_host_device_scalarIT1_EES2_PKS2_PKT2_SB_S8_PKT4_PKT5_S6_PT6_21rocsparse_index_base_b.has_dyn_sized_stack, 0
	.set _ZN9rocsparseL18bsrxmvn_4x4_kernelILj128ELj32Efli18rocsparse_bfloat16S1_fEEvT3_20rocsparse_direction_NS_24const_host_device_scalarIT1_EES2_PKS2_PKT2_SB_S8_PKT4_PKT5_S6_PT6_21rocsparse_index_base_b.has_recursion, 0
	.set _ZN9rocsparseL18bsrxmvn_4x4_kernelILj128ELj32Efli18rocsparse_bfloat16S1_fEEvT3_20rocsparse_direction_NS_24const_host_device_scalarIT1_EES2_PKS2_PKT2_SB_S8_PKT4_PKT5_S6_PT6_21rocsparse_index_base_b.has_indirect_call, 0
	.section	.AMDGPU.csdata,"",@progbits
; Kernel info:
; codeLenInByte = 4828
; TotalNumSgprs: 22
; NumVgprs: 93
; ScratchSize: 0
; MemoryBound: 0
; FloatMode: 240
; IeeeMode: 1
; LDSByteSize: 0 bytes/workgroup (compile time only)
; SGPRBlocks: 0
; VGPRBlocks: 11
; NumSGPRsForWavesPerEU: 22
; NumVGPRsForWavesPerEU: 93
; Occupancy: 10
; WaveLimiterHint : 1
; COMPUTE_PGM_RSRC2:SCRATCH_EN: 0
; COMPUTE_PGM_RSRC2:USER_SGPR: 6
; COMPUTE_PGM_RSRC2:TRAP_HANDLER: 0
; COMPUTE_PGM_RSRC2:TGID_X_EN: 1
; COMPUTE_PGM_RSRC2:TGID_Y_EN: 0
; COMPUTE_PGM_RSRC2:TGID_Z_EN: 0
; COMPUTE_PGM_RSRC2:TIDIG_COMP_CNT: 0
	.section	.text._ZN9rocsparseL18bsrxmvn_4x4_kernelILj128ELj64Efli18rocsparse_bfloat16S1_fEEvT3_20rocsparse_direction_NS_24const_host_device_scalarIT1_EES2_PKS2_PKT2_SB_S8_PKT4_PKT5_S6_PT6_21rocsparse_index_base_b,"axG",@progbits,_ZN9rocsparseL18bsrxmvn_4x4_kernelILj128ELj64Efli18rocsparse_bfloat16S1_fEEvT3_20rocsparse_direction_NS_24const_host_device_scalarIT1_EES2_PKS2_PKT2_SB_S8_PKT4_PKT5_S6_PT6_21rocsparse_index_base_b,comdat
	.globl	_ZN9rocsparseL18bsrxmvn_4x4_kernelILj128ELj64Efli18rocsparse_bfloat16S1_fEEvT3_20rocsparse_direction_NS_24const_host_device_scalarIT1_EES2_PKS2_PKT2_SB_S8_PKT4_PKT5_S6_PT6_21rocsparse_index_base_b ; -- Begin function _ZN9rocsparseL18bsrxmvn_4x4_kernelILj128ELj64Efli18rocsparse_bfloat16S1_fEEvT3_20rocsparse_direction_NS_24const_host_device_scalarIT1_EES2_PKS2_PKT2_SB_S8_PKT4_PKT5_S6_PT6_21rocsparse_index_base_b
	.p2align	8
	.type	_ZN9rocsparseL18bsrxmvn_4x4_kernelILj128ELj64Efli18rocsparse_bfloat16S1_fEEvT3_20rocsparse_direction_NS_24const_host_device_scalarIT1_EES2_PKS2_PKT2_SB_S8_PKT4_PKT5_S6_PT6_21rocsparse_index_base_b,@function
_ZN9rocsparseL18bsrxmvn_4x4_kernelILj128ELj64Efli18rocsparse_bfloat16S1_fEEvT3_20rocsparse_direction_NS_24const_host_device_scalarIT1_EES2_PKS2_PKT2_SB_S8_PKT4_PKT5_S6_PT6_21rocsparse_index_base_b: ; @_ZN9rocsparseL18bsrxmvn_4x4_kernelILj128ELj64Efli18rocsparse_bfloat16S1_fEEvT3_20rocsparse_direction_NS_24const_host_device_scalarIT1_EES2_PKS2_PKT2_SB_S8_PKT4_PKT5_S6_PT6_21rocsparse_index_base_b
; %bb.0:
	s_clause 0x2
	s_load_dwordx2 s[18:19], s[4:5], 0x58
	s_load_dwordx2 s[16:17], s[4:5], 0x8
	;; [unrolled: 1-line block ×3, first 2 shown]
	s_waitcnt lgkmcnt(0)
	s_bitcmp1_b32 s19, 0
	s_cselect_b32 s0, -1, 0
	s_and_b32 vcc_lo, exec_lo, s0
	s_xor_b32 s0, s0, -1
	s_cbranch_vccnz .LBB114_2
; %bb.1:
	s_load_dword s16, s[16:17], 0x0
.LBB114_2:
	s_andn2_b32 vcc_lo, exec_lo, s0
	s_cbranch_vccnz .LBB114_4
; %bb.3:
	s_load_dword s2, s[2:3], 0x0
.LBB114_4:
	s_waitcnt lgkmcnt(0)
	v_cmp_neq_f32_e64 s0, s16, 0
	v_cmp_neq_f32_e64 s1, s2, 1.0
	s_mov_b32 s3, 0
	s_or_b32 s0, s0, s1
	s_andn2_b32 vcc_lo, exec_lo, s0
	s_cbranch_vccnz .LBB114_10
; %bb.5:
	s_clause 0x1
	s_load_dwordx2 s[8:9], s[4:5], 0x18
	s_load_dwordx2 s[0:1], s[4:5], 0x0
	v_lshrrev_b32_e32 v1, 6, v0
	v_lshl_or_b32 v4, s6, 1, v1
	s_waitcnt lgkmcnt(0)
	s_cmp_lg_u64 s[8:9], 0
	s_cbranch_scc0 .LBB114_11
; %bb.6:
	s_load_dword s3, s[4:5], 0x10
	s_mov_b32 s6, 0
                                        ; implicit-def: $vgpr1
	s_waitcnt lgkmcnt(0)
	v_cmp_gt_i32_e32 vcc_lo, s3, v4
	s_mov_b32 s3, 0
	s_and_saveexec_b32 s7, vcc_lo
	s_xor_b32 s7, exec_lo, s7
	s_cbranch_execz .LBB114_8
; %bb.7:
	v_ashrrev_i32_e32 v5, 31, v4
	s_mov_b32 s3, exec_lo
	v_lshlrev_b64 v[1:2], 2, v[4:5]
	v_add_co_u32 v1, vcc_lo, s8, v1
	v_add_co_ci_u32_e64 v2, null, s9, v2, vcc_lo
	global_load_dword v1, v[1:2], off
	s_waitcnt vmcnt(0)
	v_subrev_nc_u32_e32 v1, s18, v1
.LBB114_8:
	s_or_b32 exec_lo, exec_lo, s7
	s_and_b32 vcc_lo, exec_lo, s6
	s_cbranch_vccz .LBB114_12
.LBB114_9:
	v_cmp_gt_i32_e32 vcc_lo, s0, v4
	s_andn2_b32 s0, s3, exec_lo
	s_and_b32 s3, vcc_lo, exec_lo
	s_or_b32 s3, s0, s3
	s_and_saveexec_b32 s0, s3
	s_cbranch_execnz .LBB114_13
.LBB114_10:
	s_endpgm
.LBB114_11:
                                        ; implicit-def: $vgpr1
	s_cbranch_execnz .LBB114_9
.LBB114_12:
	v_mov_b32_e32 v4, v1
	s_and_saveexec_b32 s0, s3
	s_cbranch_execz .LBB114_10
.LBB114_13:
	s_load_dwordx8 s[8:15], s[4:5], 0x20
	v_ashrrev_i32_e32 v5, 31, v4
	v_and_b32_e32 v21, 63, v0
	s_load_dwordx2 s[6:7], s[4:5], 0x40
	v_mov_b32_e32 v22, 0
	v_lshlrev_b64 v[1:2], 3, v[4:5]
	s_waitcnt lgkmcnt(0)
	v_add_co_u32 v5, vcc_lo, s8, v1
	v_add_co_ci_u32_e64 v6, null, s9, v2, vcc_lo
	v_add_co_u32 v1, vcc_lo, s10, v1
	v_add_co_ci_u32_e64 v2, null, s11, v2, vcc_lo
	v_add_co_u32 v3, vcc_lo, v5, 8
	global_load_dwordx2 v[9:10], v[5:6], off
	v_add_co_ci_u32_e64 v7, null, 0, v6, vcc_lo
	s_cmp_eq_u64 s[10:11], 0
	s_cselect_b32 vcc_lo, -1, 0
	s_cmp_eq_u32 s1, 1
	v_cndmask_b32_e32 v2, v2, v7, vcc_lo
	v_cndmask_b32_e32 v1, v1, v3, vcc_lo
	global_load_dwordx2 v[2:3], v[1:2], off
	s_waitcnt vmcnt(1)
	v_sub_co_u32 v0, vcc_lo, v9, s18
	v_subrev_co_ci_u32_e64 v1, null, 0, v10, vcc_lo
	v_add_co_u32 v0, vcc_lo, v0, v21
	v_add_co_ci_u32_e64 v1, null, 0, v1, vcc_lo
	v_lshlrev_b64 v[5:6], 5, v[0:1]
	s_waitcnt vmcnt(0)
	v_sub_co_u32 v2, vcc_lo, v2, s18
	v_subrev_co_ci_u32_e64 v3, null, 0, v3, vcc_lo
	v_add_co_u32 v5, vcc_lo, s14, v5
	v_cmp_lt_i64_e64 s0, v[0:1], v[2:3]
	v_add_co_ci_u32_e64 v6, null, s15, v6, vcc_lo
	s_cbranch_scc1 .LBB114_25
; %bb.14:
	v_mov_b32_e32 v23, 0
	v_mov_b32_e32 v24, 0
	;; [unrolled: 1-line block ×3, first 2 shown]
	s_and_saveexec_b32 s1, s0
	s_cbranch_execz .LBB114_24
; %bb.15:
	v_or_b32_e32 v7, 64, v21
	v_not_b32_e32 v12, v9
	v_not_b32_e32 v11, v10
	v_sub_co_u32 v7, s3, v7, s18
	v_sub_co_ci_u32_e64 v8, null, 0, 0, s3
	v_sub_co_u32 v13, s3, s18, v21
	v_add_co_u32 v7, vcc_lo, v7, v9
	v_add_co_ci_u32_e64 v8, null, v8, v10, vcc_lo
	v_sub_co_ci_u32_e64 v14, null, 0, 0, s3
	s_mov_b32 s3, exec_lo
	v_cmp_gt_i64_e32 vcc_lo, v[7:8], v[2:3]
	v_cndmask_b32_e32 v16, v3, v8, vcc_lo
	v_cndmask_b32_e32 v7, v2, v7, vcc_lo
	v_add_co_u32 v8, vcc_lo, v13, v12
	v_add_co_ci_u32_e64 v11, null, v14, v11, vcc_lo
	v_mov_b32_e32 v14, v6
	v_add_co_u32 v15, vcc_lo, v8, v7
	v_mov_b32_e32 v8, 0
	v_add_co_ci_u32_e64 v16, null, v11, v16, vcc_lo
	v_mov_b32_e32 v12, v1
	v_and_b32_e32 v7, 0xc0, v15
	v_mov_b32_e32 v24, v8
	v_mov_b32_e32 v23, v8
	;; [unrolled: 1-line block ×5, first 2 shown]
	v_cmpx_ne_u64_e32 0xc0, v[7:8]
	s_cbranch_execz .LBB114_19
; %bb.16:
	v_lshrrev_b32_e32 v7, 6, v15
	v_mov_b32_e32 v14, v6
	v_mov_b32_e32 v12, v1
	;; [unrolled: 1-line block ×4, first 2 shown]
	v_add_nc_u32_e32 v17, 1, v7
	v_lshlrev_b64 v[7:8], 2, v[0:1]
	v_mov_b32_e32 v11, v0
	v_mov_b32_e32 v23, 0
	;; [unrolled: 1-line block ×3, first 2 shown]
	v_and_b32_e32 v19, 3, v17
	v_add_co_u32 v17, vcc_lo, s12, v7
	v_add_co_ci_u32_e64 v18, null, s13, v8, vcc_lo
	v_sub_co_u32 v19, s8, 0, v19
	v_sub_co_ci_u32_e64 v20, null, 0, 0, s8
	v_mov_b32_e32 v8, 0
	s_mov_b32 s8, 0
.LBB114_17:                             ; =>This Inner Loop Header: Depth=1
	global_load_dword v7, v[17:18], off
	global_load_dwordx4 v[25:28], v[13:14], off
	s_waitcnt vmcnt(1)
	v_subrev_nc_u32_e32 v7, s18, v7
	s_waitcnt vmcnt(0)
	v_lshlrev_b32_e32 v36, 16, v27
	v_and_b32_e32 v27, 0xffff0000, v27
	v_lshlrev_b32_e32 v35, 16, v26
	v_lshlrev_b32_e32 v37, 16, v28
	;; [unrolled: 1-line block ×4, first 2 shown]
	v_and_b32_e32 v25, 0xffff0000, v25
	v_and_b32_e32 v26, 0xffff0000, v26
	;; [unrolled: 1-line block ×3, first 2 shown]
	v_ashrrev_i32_e32 v30, 31, v29
	v_lshlrev_b64 v[29:30], 1, v[29:30]
	v_add_co_u32 v33, vcc_lo, s6, v29
	v_add_co_ci_u32_e64 v34, null, s7, v30, vcc_lo
	global_load_dwordx4 v[29:32], v[13:14], off offset:16
	global_load_dwordx2 v[33:34], v[33:34], off
	v_add_co_u32 v13, vcc_lo, 0x800, v13
	v_add_co_ci_u32_e64 v14, null, 0, v14, vcc_lo
	v_add_co_u32 v11, vcc_lo, v11, 64
	v_add_co_ci_u32_e64 v12, null, 0, v12, vcc_lo
	;; [unrolled: 2-line block ×4, first 2 shown]
	v_cmp_eq_u64_e32 vcc_lo, 0, v[19:20]
	s_or_b32 s8, vcc_lo, s8
	s_waitcnt vmcnt(1)
	v_lshlrev_b32_e32 v38, 16, v29
	v_lshlrev_b32_e32 v40, 16, v31
	s_waitcnt vmcnt(0)
	v_lshlrev_b32_e32 v42, 16, v33
	v_and_b32_e32 v29, 0xffff0000, v29
	v_and_b32_e32 v31, 0xffff0000, v31
	;; [unrolled: 1-line block ×3, first 2 shown]
	v_lshlrev_b32_e32 v39, 16, v30
	v_fmac_f32_e32 v8, v7, v42
	v_fmac_f32_e32 v24, v36, v42
	;; [unrolled: 1-line block ×4, first 2 shown]
	v_lshlrev_b32_e32 v41, 16, v32
	v_lshlrev_b32_e32 v7, 16, v34
	v_fmac_f32_e32 v8, v25, v33
	v_fmac_f32_e32 v24, v27, v33
	;; [unrolled: 1-line block ×4, first 2 shown]
	v_and_b32_e32 v30, 0xffff0000, v30
	v_and_b32_e32 v32, 0xffff0000, v32
	;; [unrolled: 1-line block ×3, first 2 shown]
	v_fmac_f32_e32 v8, v35, v7
	v_fmac_f32_e32 v24, v37, v7
	;; [unrolled: 1-line block ×8, first 2 shown]
	s_andn2_b32 exec_lo, exec_lo, s8
	s_cbranch_execnz .LBB114_17
; %bb.18:
	s_or_b32 exec_lo, exec_lo, s8
.LBB114_19:
	s_or_b32 exec_lo, exec_lo, s3
	s_mov_b32 s3, exec_lo
	v_cmpx_lt_u64_e32 0xbf, v[15:16]
	s_cbranch_execz .LBB114_23
; %bb.20:
	v_lshlrev_b64 v[15:16], 2, v[11:12]
	s_mov_b32 s8, 0
	v_add_co_u32 v7, vcc_lo, s12, v15
	v_add_co_ci_u32_e64 v16, null, s13, v16, vcc_lo
	v_add_co_u32 v15, vcc_lo, 0x200, v7
	v_add_co_ci_u32_e64 v16, null, 0, v16, vcc_lo
.LBB114_21:                             ; =>This Inner Loop Header: Depth=1
	s_clause 0x3
	global_load_dword v7, v[15:16], off offset:-512
	global_load_dword v53, v[15:16], off offset:-256
	global_load_dword v54, v[15:16], off
	global_load_dword v55, v[15:16], off offset:256
	s_clause 0x1
	global_load_dwordx4 v[17:20], v[13:14], off
	global_load_dwordx4 v[25:28], v[13:14], off offset:16
	v_add_co_u32 v33, vcc_lo, 0x800, v13
	v_add_co_ci_u32_e64 v34, null, 0, v14, vcc_lo
	v_add_co_u32 v37, vcc_lo, v13, 0x1000
	v_add_co_ci_u32_e64 v38, null, 0, v14, vcc_lo
	;; [unrolled: 2-line block ×4, first 2 shown]
	s_clause 0x5
	global_load_dwordx4 v[29:32], v[37:38], off offset:-2048
	global_load_dwordx4 v[33:36], v[33:34], off offset:16
	global_load_dwordx4 v[37:40], v[37:38], off
	global_load_dwordx4 v[41:44], v[41:42], off offset:16
	global_load_dwordx4 v[45:48], v[49:50], off
	global_load_dwordx4 v[49:52], v[49:50], off offset:16
	s_waitcnt vmcnt(11)
	v_subrev_nc_u32_e32 v7, s18, v7
	s_waitcnt vmcnt(10)
	v_subrev_nc_u32_e32 v56, s18, v53
	;; [unrolled: 2-line block ×4, first 2 shown]
	s_waitcnt vmcnt(7)
	v_lshlrev_b32_e32 v62, 16, v19
	v_lshlrev_b32_e32 v53, 2, v7
	;; [unrolled: 1-line block ×6, first 2 shown]
	v_ashrrev_i32_e32 v54, 31, v53
	v_ashrrev_i32_e32 v56, 31, v55
	;; [unrolled: 1-line block ×4, first 2 shown]
	s_waitcnt vmcnt(6)
	v_lshlrev_b32_e32 v64, 16, v25
	v_lshlrev_b64 v[53:54], 1, v[53:54]
	v_lshlrev_b64 v[55:56], 1, v[55:56]
	;; [unrolled: 1-line block ×4, first 2 shown]
	v_lshlrev_b32_e32 v66, 16, v27
	v_and_b32_e32 v17, 0xffff0000, v17
	v_add_co_u32 v53, vcc_lo, s6, v53
	v_add_co_ci_u32_e64 v54, null, s7, v54, vcc_lo
	v_add_co_u32 v55, vcc_lo, s6, v55
	v_add_co_ci_u32_e64 v56, null, s7, v56, vcc_lo
	global_load_dwordx2 v[53:54], v[53:54], off
	v_add_co_u32 v57, vcc_lo, s6, v57
	global_load_dwordx2 v[55:56], v[55:56], off
	v_add_co_ci_u32_e64 v58, null, s7, v58, vcc_lo
	v_add_co_u32 v59, vcc_lo, s6, v59
	v_add_co_ci_u32_e64 v60, null, s7, v60, vcc_lo
	global_load_dwordx2 v[57:58], v[57:58], off
	v_and_b32_e32 v19, 0xffff0000, v19
	v_and_b32_e32 v25, 0xffff0000, v25
	global_load_dwordx2 v[59:60], v[59:60], off
	v_and_b32_e32 v27, 0xffff0000, v27
	v_lshlrev_b32_e32 v61, 16, v18
	v_lshlrev_b32_e32 v63, 16, v20
	v_lshlrev_b32_e32 v65, 16, v26
	v_lshlrev_b32_e32 v67, 16, v28
	v_and_b32_e32 v18, 0xffff0000, v18
	v_and_b32_e32 v20, 0xffff0000, v20
	v_and_b32_e32 v26, 0xffff0000, v26
	v_and_b32_e32 v28, 0xffff0000, v28
	s_waitcnt vmcnt(9)
	v_lshlrev_b32_e32 v68, 16, v29
	v_lshlrev_b32_e32 v70, 16, v31
	s_waitcnt vmcnt(8)
	v_lshlrev_b32_e32 v72, 16, v33
	v_lshlrev_b32_e32 v74, 16, v35
	v_and_b32_e32 v29, 0xffff0000, v29
	v_and_b32_e32 v31, 0xffff0000, v31
	v_and_b32_e32 v33, 0xffff0000, v33
	v_and_b32_e32 v35, 0xffff0000, v35
	v_lshlrev_b32_e32 v69, 16, v30
	v_lshlrev_b32_e32 v71, 16, v32
	v_lshlrev_b32_e32 v73, 16, v34
	v_lshlrev_b32_e32 v75, 16, v36
	v_and_b32_e32 v30, 0xffff0000, v30
	v_and_b32_e32 v32, 0xffff0000, v32
	v_and_b32_e32 v34, 0xffff0000, v34
	v_and_b32_e32 v36, 0xffff0000, v36
	s_waitcnt vmcnt(7)
	v_lshlrev_b32_e32 v76, 16, v37
	v_lshlrev_b32_e32 v78, 16, v39
	s_waitcnt vmcnt(6)
	v_lshlrev_b32_e32 v80, 16, v41
	v_lshlrev_b32_e32 v82, 16, v43
	v_and_b32_e32 v37, 0xffff0000, v37
	v_and_b32_e32 v39, 0xffff0000, v39
	v_and_b32_e32 v41, 0xffff0000, v41
	;; [unrolled: 18-line block ×3, first 2 shown]
	v_and_b32_e32 v51, 0xffff0000, v51
	v_add_co_u32 v11, vcc_lo, 0x100, v11
	v_lshlrev_b32_e32 v85, 16, v46
	v_lshlrev_b32_e32 v87, 16, v48
	;; [unrolled: 1-line block ×4, first 2 shown]
	v_add_co_ci_u32_e64 v12, null, 0, v12, vcc_lo
	v_add_co_u32 v15, vcc_lo, 0x400, v15
	v_add_co_ci_u32_e64 v16, null, 0, v16, vcc_lo
	v_add_co_u32 v13, vcc_lo, 0x2000, v13
	v_and_b32_e32 v46, 0xffff0000, v46
	v_and_b32_e32 v48, 0xffff0000, v48
	;; [unrolled: 1-line block ×4, first 2 shown]
	v_add_co_ci_u32_e64 v14, null, 0, v14, vcc_lo
	v_cmp_ge_i64_e32 vcc_lo, v[11:12], v[2:3]
	s_or_b32 s8, vcc_lo, s8
	s_waitcnt vmcnt(3)
	v_lshlrev_b32_e32 v92, 16, v53
	v_and_b32_e32 v53, 0xffff0000, v53
	v_fmac_f32_e32 v8, v7, v92
	v_fmac_f32_e32 v24, v62, v92
	v_fmac_f32_e32 v23, v64, v92
	v_fmac_f32_e32 v22, v66, v92
	v_lshlrev_b32_e32 v7, 16, v54
	v_fmac_f32_e32 v8, v17, v53
	v_fmac_f32_e32 v24, v19, v53
	v_fmac_f32_e32 v23, v25, v53
	v_fmac_f32_e32 v22, v27, v53
	v_and_b32_e32 v17, 0xffff0000, v54
	v_fmac_f32_e32 v8, v61, v7
	v_fmac_f32_e32 v24, v63, v7
	v_fmac_f32_e32 v23, v65, v7
	v_fmac_f32_e32 v22, v67, v7
	s_waitcnt vmcnt(2)
	v_lshlrev_b32_e32 v7, 16, v55
	v_fmac_f32_e32 v8, v18, v17
	v_fmac_f32_e32 v24, v20, v17
	v_fmac_f32_e32 v23, v26, v17
	v_fmac_f32_e32 v22, v28, v17
	v_and_b32_e32 v17, 0xffff0000, v55
	v_fmac_f32_e32 v8, v68, v7
	v_fmac_f32_e32 v24, v70, v7
	v_fmac_f32_e32 v23, v72, v7
	v_fmac_f32_e32 v22, v74, v7
	v_lshlrev_b32_e32 v7, 16, v56
	v_fmac_f32_e32 v8, v29, v17
	v_fmac_f32_e32 v24, v31, v17
	v_fmac_f32_e32 v23, v33, v17
	v_fmac_f32_e32 v22, v35, v17
	v_and_b32_e32 v17, 0xffff0000, v56
	v_fmac_f32_e32 v8, v69, v7
	v_fmac_f32_e32 v24, v71, v7
	v_fmac_f32_e32 v23, v73, v7
	v_fmac_f32_e32 v22, v75, v7
	s_waitcnt vmcnt(1)
	v_lshlrev_b32_e32 v7, 16, v57
	v_fmac_f32_e32 v8, v30, v17
	v_fmac_f32_e32 v24, v32, v17
	v_fmac_f32_e32 v23, v34, v17
	v_fmac_f32_e32 v22, v36, v17
	;; [unrolled: 21-line block ×3, first 2 shown]
	v_and_b32_e32 v17, 0xffff0000, v59
	v_fmac_f32_e32 v8, v84, v7
	v_fmac_f32_e32 v24, v86, v7
	;; [unrolled: 1-line block ×4, first 2 shown]
	v_lshlrev_b32_e32 v7, 16, v60
	v_fmac_f32_e32 v8, v45, v17
	v_fmac_f32_e32 v24, v47, v17
	;; [unrolled: 1-line block ×4, first 2 shown]
	v_and_b32_e32 v17, 0xffff0000, v60
	v_fmac_f32_e32 v8, v85, v7
	v_fmac_f32_e32 v24, v87, v7
	;; [unrolled: 1-line block ×8, first 2 shown]
	s_andn2_b32 exec_lo, exec_lo, s8
	s_cbranch_execnz .LBB114_21
; %bb.22:
	s_or_b32 exec_lo, exec_lo, s8
.LBB114_23:
	s_or_b32 exec_lo, exec_lo, s3
.LBB114_24:
	s_or_b32 exec_lo, exec_lo, s1
	s_cbranch_execz .LBB114_26
	s_branch .LBB114_37
.LBB114_25:
                                        ; implicit-def: $vgpr22
                                        ; implicit-def: $vgpr23
                                        ; implicit-def: $vgpr24
                                        ; implicit-def: $vgpr8
.LBB114_26:
	v_mov_b32_e32 v22, 0
	v_mov_b32_e32 v23, 0
	;; [unrolled: 1-line block ×4, first 2 shown]
	s_and_saveexec_b32 s1, s0
	s_cbranch_execz .LBB114_36
; %bb.27:
	v_or_b32_e32 v7, 64, v21
	v_sub_co_u32 v7, s0, v7, s18
	v_sub_co_ci_u32_e64 v8, null, 0, 0, s0
	v_sub_co_u32 v11, s0, s18, v21
	v_add_co_u32 v7, vcc_lo, v7, v9
	v_add_co_ci_u32_e64 v8, null, v8, v10, vcc_lo
	v_not_b32_e32 v9, v9
	v_not_b32_e32 v10, v10
	v_sub_co_ci_u32_e64 v12, null, 0, 0, s0
	v_cmp_gt_i64_e32 vcc_lo, v[7:8], v[2:3]
	s_mov_b32 s0, exec_lo
	v_cndmask_b32_e32 v13, v3, v8, vcc_lo
	v_cndmask_b32_e32 v7, v2, v7, vcc_lo
	v_add_co_u32 v8, vcc_lo, v11, v9
	v_add_co_ci_u32_e64 v10, null, v12, v10, vcc_lo
	v_add_co_u32 v9, vcc_lo, v8, v7
	v_mov_b32_e32 v8, 0
	v_add_co_ci_u32_e64 v10, null, v10, v13, vcc_lo
	v_and_b32_e32 v7, 0xc0, v9
	v_mov_b32_e32 v24, v8
	v_mov_b32_e32 v23, v8
	;; [unrolled: 1-line block ×3, first 2 shown]
	v_cmpx_ne_u64_e32 0xc0, v[7:8]
	s_cbranch_execz .LBB114_31
; %bb.28:
	v_lshrrev_b32_e32 v7, 6, v9
	v_mov_b32_e32 v22, 0
	v_mov_b32_e32 v23, 0
	v_mov_b32_e32 v24, 0
	v_add_nc_u32_e32 v11, 1, v7
	v_lshlrev_b64 v[7:8], 2, v[0:1]
	v_and_b32_e32 v13, 3, v11
	v_add_co_u32 v11, vcc_lo, s12, v7
	v_add_co_ci_u32_e64 v12, null, s13, v8, vcc_lo
	v_sub_co_u32 v13, s3, 0, v13
	v_sub_co_ci_u32_e64 v14, null, 0, 0, s3
	v_mov_b32_e32 v8, 0
	s_mov_b32 s3, 0
.LBB114_29:                             ; =>This Inner Loop Header: Depth=1
	global_load_dword v7, v[11:12], off
	global_load_dwordx4 v[15:18], v[5:6], off
	s_waitcnt vmcnt(1)
	v_subrev_nc_u32_e32 v7, s18, v7
	s_waitcnt vmcnt(0)
	v_lshlrev_b32_e32 v29, 16, v16
	v_and_b32_e32 v16, 0xffff0000, v16
	v_lshlrev_b32_e32 v30, 16, v17
	v_and_b32_e32 v17, 0xffff0000, v17
	v_lshlrev_b32_e32 v19, 2, v7
	v_lshlrev_b32_e32 v7, 16, v15
	v_and_b32_e32 v15, 0xffff0000, v15
	v_lshlrev_b32_e32 v31, 16, v18
	v_and_b32_e32 v18, 0xffff0000, v18
	v_ashrrev_i32_e32 v20, 31, v19
	v_lshlrev_b64 v[19:20], 1, v[19:20]
	v_add_co_u32 v19, vcc_lo, s6, v19
	v_add_co_ci_u32_e64 v20, null, s7, v20, vcc_lo
	global_load_dwordx2 v[19:20], v[19:20], off
	global_load_dwordx4 v[25:28], v[5:6], off offset:16
	v_add_co_u32 v5, vcc_lo, 0x800, v5
	v_add_co_ci_u32_e64 v6, null, 0, v6, vcc_lo
	v_add_co_u32 v0, vcc_lo, v0, 64
	v_add_co_ci_u32_e64 v1, null, 0, v1, vcc_lo
	;; [unrolled: 2-line block ×4, first 2 shown]
	v_cmp_eq_u64_e32 vcc_lo, 0, v[13:14]
	s_or_b32 s3, vcc_lo, s3
	s_waitcnt vmcnt(1)
	v_lshlrev_b32_e32 v36, 16, v19
	v_and_b32_e32 v19, 0xffff0000, v19
	s_waitcnt vmcnt(0)
	v_lshlrev_b32_e32 v32, 16, v25
	v_and_b32_e32 v25, 0xffff0000, v25
	v_lshlrev_b32_e32 v33, 16, v26
	v_fmac_f32_e32 v8, v7, v36
	v_fmac_f32_e32 v24, v15, v36
	;; [unrolled: 1-line block ×4, first 2 shown]
	v_and_b32_e32 v26, 0xffff0000, v26
	v_lshlrev_b32_e32 v7, 16, v20
	v_fmac_f32_e32 v8, v30, v19
	v_fmac_f32_e32 v24, v17, v19
	;; [unrolled: 1-line block ×4, first 2 shown]
	v_lshlrev_b32_e32 v34, 16, v27
	v_and_b32_e32 v27, 0xffff0000, v27
	v_lshlrev_b32_e32 v35, 16, v28
	v_and_b32_e32 v28, 0xffff0000, v28
	v_and_b32_e32 v15, 0xffff0000, v20
	v_fmac_f32_e32 v8, v32, v7
	v_fmac_f32_e32 v24, v25, v7
	;; [unrolled: 1-line block ×8, first 2 shown]
	s_andn2_b32 exec_lo, exec_lo, s3
	s_cbranch_execnz .LBB114_29
; %bb.30:
	s_or_b32 exec_lo, exec_lo, s3
.LBB114_31:
	s_or_b32 exec_lo, exec_lo, s0
	s_mov_b32 s0, exec_lo
	v_cmpx_lt_u64_e32 0xbf, v[9:10]
	s_cbranch_execz .LBB114_35
; %bb.32:
	v_lshlrev_b64 v[9:10], 2, v[0:1]
	s_mov_b32 s3, 0
	v_add_co_u32 v7, vcc_lo, s12, v9
	v_add_co_ci_u32_e64 v10, null, s13, v10, vcc_lo
	v_add_co_u32 v9, vcc_lo, 0x200, v7
	v_add_co_ci_u32_e64 v10, null, 0, v10, vcc_lo
.LBB114_33:                             ; =>This Inner Loop Header: Depth=1
	s_clause 0x3
	global_load_dword v7, v[9:10], off offset:-512
	global_load_dword v47, v[9:10], off offset:-256
	global_load_dword v48, v[9:10], off
	global_load_dword v49, v[9:10], off offset:256
	s_clause 0x1
	global_load_dwordx4 v[11:14], v[5:6], off
	global_load_dwordx4 v[15:18], v[5:6], off offset:16
	v_add_co_u32 v19, vcc_lo, 0x800, v5
	v_add_co_ci_u32_e64 v20, null, 0, v6, vcc_lo
	v_add_co_u32 v33, vcc_lo, v5, 0x1000
	v_add_co_ci_u32_e64 v34, null, 0, v6, vcc_lo
	;; [unrolled: 2-line block ×4, first 2 shown]
	s_clause 0x4
	global_load_dwordx4 v[25:28], v[19:20], off offset:16
	global_load_dwordx4 v[29:32], v[33:34], off offset:-2048
	global_load_dwordx4 v[33:36], v[33:34], off
	global_load_dwordx4 v[37:40], v[37:38], off offset:16
	global_load_dwordx4 v[41:44], v[45:46], off
	s_waitcnt vmcnt(10)
	v_subrev_nc_u32_e32 v7, s18, v7
	s_waitcnt vmcnt(9)
	v_subrev_nc_u32_e32 v20, s18, v47
	;; [unrolled: 2-line block ×4, first 2 shown]
	s_waitcnt vmcnt(6)
	v_lshlrev_b32_e32 v55, 16, v12
	v_lshlrev_b32_e32 v19, 2, v7
	;; [unrolled: 1-line block ×6, first 2 shown]
	v_ashrrev_i32_e32 v20, 31, v19
	v_ashrrev_i32_e32 v48, 31, v47
	;; [unrolled: 1-line block ×4, first 2 shown]
	v_and_b32_e32 v11, 0xffff0000, v11
	v_lshlrev_b64 v[19:20], 1, v[19:20]
	v_lshlrev_b64 v[47:48], 1, v[47:48]
	;; [unrolled: 1-line block ×4, first 2 shown]
	v_and_b32_e32 v12, 0xffff0000, v12
	v_lshlrev_b32_e32 v56, 16, v13
	v_add_co_u32 v19, vcc_lo, s6, v19
	v_add_co_ci_u32_e64 v20, null, s7, v20, vcc_lo
	v_add_co_u32 v47, vcc_lo, s6, v47
	v_add_co_ci_u32_e64 v48, null, s7, v48, vcc_lo
	;; [unrolled: 2-line block ×4, first 2 shown]
	s_clause 0x3
	global_load_dwordx2 v[19:20], v[19:20], off
	global_load_dwordx2 v[53:54], v[47:48], off
	;; [unrolled: 1-line block ×4, first 2 shown]
	global_load_dwordx4 v[45:48], v[45:46], off offset:16
	v_and_b32_e32 v13, 0xffff0000, v13
	v_lshlrev_b32_e32 v57, 16, v14
	v_and_b32_e32 v14, 0xffff0000, v14
	s_waitcnt vmcnt(10)
	v_lshlrev_b32_e32 v58, 16, v15
	v_and_b32_e32 v15, 0xffff0000, v15
	v_lshlrev_b32_e32 v59, 16, v16
	v_and_b32_e32 v16, 0xffff0000, v16
	;; [unrolled: 2-line block ×4, first 2 shown]
	s_waitcnt vmcnt(8)
	v_lshlrev_b32_e32 v62, 16, v29
	v_and_b32_e32 v29, 0xffff0000, v29
	v_lshlrev_b32_e32 v63, 16, v30
	v_and_b32_e32 v30, 0xffff0000, v30
	;; [unrolled: 2-line block ×8, first 2 shown]
	s_waitcnt vmcnt(7)
	v_lshlrev_b32_e32 v70, 16, v33
	v_and_b32_e32 v33, 0xffff0000, v33
	v_lshlrev_b32_e32 v71, 16, v34
	v_and_b32_e32 v34, 0xffff0000, v34
	v_lshlrev_b32_e32 v72, 16, v35
	v_and_b32_e32 v35, 0xffff0000, v35
	v_lshlrev_b32_e32 v73, 16, v36
	v_and_b32_e32 v36, 0xffff0000, v36
	s_waitcnt vmcnt(6)
	v_lshlrev_b32_e32 v74, 16, v37
	v_and_b32_e32 v37, 0xffff0000, v37
	v_lshlrev_b32_e32 v75, 16, v38
	v_and_b32_e32 v38, 0xffff0000, v38
	v_lshlrev_b32_e32 v76, 16, v39
	v_and_b32_e32 v39, 0xffff0000, v39
	v_lshlrev_b32_e32 v77, 16, v40
	v_and_b32_e32 v40, 0xffff0000, v40
	;; [unrolled: 9-line block ×3, first 2 shown]
	v_add_co_u32 v0, vcc_lo, 0x100, v0
	v_add_co_ci_u32_e64 v1, null, 0, v1, vcc_lo
	v_add_co_u32 v9, vcc_lo, 0x400, v9
	v_add_co_ci_u32_e64 v10, null, 0, v10, vcc_lo
	;; [unrolled: 2-line block ×3, first 2 shown]
	v_cmp_ge_i64_e32 vcc_lo, v[0:1], v[2:3]
	s_or_b32 s3, vcc_lo, s3
	s_waitcnt vmcnt(4)
	v_lshlrev_b32_e32 v86, 16, v19
	v_and_b32_e32 v19, 0xffff0000, v19
	s_waitcnt vmcnt(0)
	v_lshlrev_b32_e32 v82, 16, v45
	v_fmac_f32_e32 v8, v7, v86
	v_fmac_f32_e32 v24, v11, v86
	v_fmac_f32_e32 v23, v55, v86
	v_fmac_f32_e32 v22, v12, v86
	v_lshlrev_b32_e32 v7, 16, v20
	v_fmac_f32_e32 v8, v56, v19
	v_fmac_f32_e32 v24, v13, v19
	v_fmac_f32_e32 v23, v57, v19
	v_fmac_f32_e32 v22, v14, v19
	v_and_b32_e32 v11, 0xffff0000, v20
	v_fmac_f32_e32 v8, v58, v7
	v_fmac_f32_e32 v24, v15, v7
	v_fmac_f32_e32 v23, v59, v7
	v_fmac_f32_e32 v22, v16, v7
	v_lshlrev_b32_e32 v7, 16, v53
	v_fmac_f32_e32 v8, v60, v11
	v_fmac_f32_e32 v24, v17, v11
	v_fmac_f32_e32 v23, v61, v11
	v_fmac_f32_e32 v22, v18, v11
	v_and_b32_e32 v11, 0xffff0000, v53
	v_fmac_f32_e32 v8, v62, v7
	v_fmac_f32_e32 v24, v29, v7
	v_fmac_f32_e32 v23, v63, v7
	v_fmac_f32_e32 v22, v30, v7
	v_lshlrev_b32_e32 v7, 16, v54
	v_fmac_f32_e32 v8, v64, v11
	v_fmac_f32_e32 v24, v31, v11
	v_fmac_f32_e32 v23, v65, v11
	v_fmac_f32_e32 v22, v32, v11
	v_and_b32_e32 v11, 0xffff0000, v54
	v_fmac_f32_e32 v8, v66, v7
	v_fmac_f32_e32 v24, v25, v7
	v_fmac_f32_e32 v23, v67, v7
	v_fmac_f32_e32 v22, v26, v7
	v_lshlrev_b32_e32 v7, 16, v49
	v_fmac_f32_e32 v8, v68, v11
	v_fmac_f32_e32 v24, v27, v11
	v_fmac_f32_e32 v23, v69, v11
	v_fmac_f32_e32 v22, v28, v11
	v_and_b32_e32 v11, 0xffff0000, v49
	v_fmac_f32_e32 v8, v70, v7
	v_fmac_f32_e32 v24, v33, v7
	v_fmac_f32_e32 v23, v71, v7
	v_fmac_f32_e32 v22, v34, v7
	v_lshlrev_b32_e32 v7, 16, v50
	v_fmac_f32_e32 v8, v72, v11
	v_fmac_f32_e32 v24, v35, v11
	v_fmac_f32_e32 v23, v73, v11
	v_fmac_f32_e32 v22, v36, v11
	v_and_b32_e32 v11, 0xffff0000, v50
	v_fmac_f32_e32 v8, v74, v7
	v_fmac_f32_e32 v24, v37, v7
	v_fmac_f32_e32 v23, v75, v7
	v_fmac_f32_e32 v22, v38, v7
	v_lshlrev_b32_e32 v7, 16, v51
	v_fmac_f32_e32 v8, v76, v11
	v_fmac_f32_e32 v24, v39, v11
	v_fmac_f32_e32 v23, v77, v11
	v_fmac_f32_e32 v22, v40, v11
	v_and_b32_e32 v11, 0xffff0000, v51
	v_fmac_f32_e32 v8, v78, v7
	v_fmac_f32_e32 v24, v41, v7
	v_fmac_f32_e32 v23, v79, v7
	v_fmac_f32_e32 v22, v42, v7
	v_and_b32_e32 v45, 0xffff0000, v45
	v_lshlrev_b32_e32 v83, 16, v46
	v_and_b32_e32 v46, 0xffff0000, v46
	v_lshlrev_b32_e32 v7, 16, v52
	v_fmac_f32_e32 v8, v80, v11
	v_fmac_f32_e32 v24, v43, v11
	;; [unrolled: 1-line block ×4, first 2 shown]
	v_lshlrev_b32_e32 v84, 16, v47
	v_and_b32_e32 v47, 0xffff0000, v47
	v_lshlrev_b32_e32 v85, 16, v48
	v_and_b32_e32 v48, 0xffff0000, v48
	v_and_b32_e32 v11, 0xffff0000, v52
	v_fmac_f32_e32 v8, v82, v7
	v_fmac_f32_e32 v24, v45, v7
	;; [unrolled: 1-line block ×8, first 2 shown]
	s_andn2_b32 exec_lo, exec_lo, s3
	s_cbranch_execnz .LBB114_33
; %bb.34:
	s_or_b32 exec_lo, exec_lo, s3
.LBB114_35:
	s_or_b32 exec_lo, exec_lo, s0
.LBB114_36:
	s_or_b32 exec_lo, exec_lo, s1
.LBB114_37:
	v_mbcnt_lo_u32_b32 v0, -1, 0
	s_mov_b32 s3, -1
	v_or_b32_e32 v1, 32, v0
	v_xor_b32_e32 v6, 16, v0
	v_xor_b32_e32 v10, 8, v0
	v_cmp_gt_i32_e32 vcc_lo, 32, v1
	v_cndmask_b32_e32 v1, v0, v1, vcc_lo
	v_cmp_gt_i32_e32 vcc_lo, 32, v6
	v_lshlrev_b32_e32 v1, 2, v1
	v_cndmask_b32_e32 v6, v0, v6, vcc_lo
	v_cmp_gt_i32_e32 vcc_lo, 32, v10
	ds_bpermute_b32 v2, v1, v8
	ds_bpermute_b32 v3, v1, v24
	;; [unrolled: 1-line block ×4, first 2 shown]
	v_lshlrev_b32_e32 v6, 2, v6
	v_cndmask_b32_e32 v10, v0, v10, vcc_lo
	v_lshlrev_b32_e32 v10, 2, v10
	s_waitcnt lgkmcnt(3)
	v_add_f32_e32 v2, v8, v2
	s_waitcnt lgkmcnt(2)
	v_add_f32_e32 v3, v24, v3
	;; [unrolled: 2-line block ×4, first 2 shown]
	ds_bpermute_b32 v7, v6, v2
	ds_bpermute_b32 v8, v6, v3
	;; [unrolled: 1-line block ×4, first 2 shown]
	s_waitcnt lgkmcnt(3)
	v_add_f32_e32 v2, v2, v7
	s_waitcnt lgkmcnt(2)
	v_add_f32_e32 v3, v3, v8
	;; [unrolled: 2-line block ×4, first 2 shown]
	ds_bpermute_b32 v6, v10, v2
	ds_bpermute_b32 v7, v10, v3
	;; [unrolled: 1-line block ×4, first 2 shown]
	v_xor_b32_e32 v10, 4, v0
	v_cmp_gt_i32_e32 vcc_lo, 32, v10
	v_cndmask_b32_e32 v10, v0, v10, vcc_lo
	v_lshlrev_b32_e32 v10, 2, v10
	s_waitcnt lgkmcnt(3)
	v_add_f32_e32 v2, v2, v6
	s_waitcnt lgkmcnt(2)
	v_add_f32_e32 v3, v3, v7
	;; [unrolled: 2-line block ×4, first 2 shown]
	ds_bpermute_b32 v6, v10, v2
	ds_bpermute_b32 v7, v10, v3
	;; [unrolled: 1-line block ×4, first 2 shown]
	v_xor_b32_e32 v10, 2, v0
	v_cmp_gt_i32_e32 vcc_lo, 32, v10
	v_cndmask_b32_e32 v10, v0, v10, vcc_lo
	v_lshlrev_b32_e32 v10, 2, v10
	s_waitcnt lgkmcnt(3)
	v_add_f32_e32 v2, v2, v6
	s_waitcnt lgkmcnt(2)
	v_add_f32_e32 v3, v3, v7
	;; [unrolled: 2-line block ×4, first 2 shown]
	ds_bpermute_b32 v1, v10, v2
	ds_bpermute_b32 v7, v10, v3
	ds_bpermute_b32 v8, v10, v5
	ds_bpermute_b32 v9, v10, v6
	v_xor_b32_e32 v10, 1, v0
	v_cmp_gt_i32_e32 vcc_lo, 32, v10
	v_cndmask_b32_e32 v0, v0, v10, vcc_lo
	v_cmp_eq_u32_e32 vcc_lo, 63, v21
	v_lshlrev_b32_e32 v10, 2, v0
	s_waitcnt lgkmcnt(3)
	v_add_f32_e32 v0, v2, v1
	s_waitcnt lgkmcnt(2)
	v_add_f32_e32 v1, v3, v7
	;; [unrolled: 2-line block ×4, first 2 shown]
	ds_bpermute_b32 v5, v10, v0
	ds_bpermute_b32 v6, v10, v1
	;; [unrolled: 1-line block ×4, first 2 shown]
	s_and_b32 exec_lo, exec_lo, vcc_lo
	s_cbranch_execz .LBB114_10
; %bb.38:
	s_load_dwordx2 s[0:1], s[4:5], 0x50
	s_waitcnt lgkmcnt(0)
	v_add_f32_e32 v0, v0, v5
	v_add_f32_e32 v1, v1, v6
	;; [unrolled: 1-line block ×4, first 2 shown]
	v_cmp_eq_f32_e64 s4, s2, 0
	v_mul_f32_e32 v0, s16, v0
	v_mul_f32_e32 v1, s16, v1
	;; [unrolled: 1-line block ×4, first 2 shown]
	v_lshlrev_b32_e32 v4, 2, v4
	s_and_b32 vcc_lo, exec_lo, s4
	s_cbranch_vccz .LBB114_40
; %bb.39:
	v_ashrrev_i32_e32 v5, 31, v4
	s_mov_b32 s3, 0
	v_lshlrev_b64 v[5:6], 2, v[4:5]
	v_add_co_u32 v5, vcc_lo, s0, v5
	v_add_co_ci_u32_e64 v6, null, s1, v6, vcc_lo
	global_store_dwordx4 v[5:6], v[0:3], off
.LBB114_40:
	s_andn2_b32 vcc_lo, exec_lo, s3
	s_cbranch_vccnz .LBB114_10
; %bb.41:
	v_ashrrev_i32_e32 v5, 31, v4
	v_lshlrev_b64 v[4:5], 2, v[4:5]
	v_add_co_u32 v8, vcc_lo, s0, v4
	v_add_co_ci_u32_e64 v9, null, s1, v5, vcc_lo
	global_load_dwordx4 v[4:7], v[8:9], off
	s_waitcnt vmcnt(0)
	v_fmac_f32_e32 v0, s2, v4
	v_fmac_f32_e32 v1, s2, v5
	v_fmac_f32_e32 v2, s2, v6
	v_fmac_f32_e32 v3, s2, v7
	global_store_dwordx4 v[8:9], v[0:3], off
	s_endpgm
	.section	.rodata,"a",@progbits
	.p2align	6, 0x0
	.amdhsa_kernel _ZN9rocsparseL18bsrxmvn_4x4_kernelILj128ELj64Efli18rocsparse_bfloat16S1_fEEvT3_20rocsparse_direction_NS_24const_host_device_scalarIT1_EES2_PKS2_PKT2_SB_S8_PKT4_PKT5_S6_PT6_21rocsparse_index_base_b
		.amdhsa_group_segment_fixed_size 0
		.amdhsa_private_segment_fixed_size 0
		.amdhsa_kernarg_size 96
		.amdhsa_user_sgpr_count 6
		.amdhsa_user_sgpr_private_segment_buffer 1
		.amdhsa_user_sgpr_dispatch_ptr 0
		.amdhsa_user_sgpr_queue_ptr 0
		.amdhsa_user_sgpr_kernarg_segment_ptr 1
		.amdhsa_user_sgpr_dispatch_id 0
		.amdhsa_user_sgpr_flat_scratch_init 0
		.amdhsa_user_sgpr_private_segment_size 0
		.amdhsa_wavefront_size32 1
		.amdhsa_uses_dynamic_stack 0
		.amdhsa_system_sgpr_private_segment_wavefront_offset 0
		.amdhsa_system_sgpr_workgroup_id_x 1
		.amdhsa_system_sgpr_workgroup_id_y 0
		.amdhsa_system_sgpr_workgroup_id_z 0
		.amdhsa_system_sgpr_workgroup_info 0
		.amdhsa_system_vgpr_workitem_id 0
		.amdhsa_next_free_vgpr 93
		.amdhsa_next_free_sgpr 20
		.amdhsa_reserve_vcc 1
		.amdhsa_reserve_flat_scratch 0
		.amdhsa_float_round_mode_32 0
		.amdhsa_float_round_mode_16_64 0
		.amdhsa_float_denorm_mode_32 3
		.amdhsa_float_denorm_mode_16_64 3
		.amdhsa_dx10_clamp 1
		.amdhsa_ieee_mode 1
		.amdhsa_fp16_overflow 0
		.amdhsa_workgroup_processor_mode 1
		.amdhsa_memory_ordered 1
		.amdhsa_forward_progress 1
		.amdhsa_shared_vgpr_count 0
		.amdhsa_exception_fp_ieee_invalid_op 0
		.amdhsa_exception_fp_denorm_src 0
		.amdhsa_exception_fp_ieee_div_zero 0
		.amdhsa_exception_fp_ieee_overflow 0
		.amdhsa_exception_fp_ieee_underflow 0
		.amdhsa_exception_fp_ieee_inexact 0
		.amdhsa_exception_int_div_zero 0
	.end_amdhsa_kernel
	.section	.text._ZN9rocsparseL18bsrxmvn_4x4_kernelILj128ELj64Efli18rocsparse_bfloat16S1_fEEvT3_20rocsparse_direction_NS_24const_host_device_scalarIT1_EES2_PKS2_PKT2_SB_S8_PKT4_PKT5_S6_PT6_21rocsparse_index_base_b,"axG",@progbits,_ZN9rocsparseL18bsrxmvn_4x4_kernelILj128ELj64Efli18rocsparse_bfloat16S1_fEEvT3_20rocsparse_direction_NS_24const_host_device_scalarIT1_EES2_PKS2_PKT2_SB_S8_PKT4_PKT5_S6_PT6_21rocsparse_index_base_b,comdat
.Lfunc_end114:
	.size	_ZN9rocsparseL18bsrxmvn_4x4_kernelILj128ELj64Efli18rocsparse_bfloat16S1_fEEvT3_20rocsparse_direction_NS_24const_host_device_scalarIT1_EES2_PKS2_PKT2_SB_S8_PKT4_PKT5_S6_PT6_21rocsparse_index_base_b, .Lfunc_end114-_ZN9rocsparseL18bsrxmvn_4x4_kernelILj128ELj64Efli18rocsparse_bfloat16S1_fEEvT3_20rocsparse_direction_NS_24const_host_device_scalarIT1_EES2_PKS2_PKT2_SB_S8_PKT4_PKT5_S6_PT6_21rocsparse_index_base_b
                                        ; -- End function
	.set _ZN9rocsparseL18bsrxmvn_4x4_kernelILj128ELj64Efli18rocsparse_bfloat16S1_fEEvT3_20rocsparse_direction_NS_24const_host_device_scalarIT1_EES2_PKS2_PKT2_SB_S8_PKT4_PKT5_S6_PT6_21rocsparse_index_base_b.num_vgpr, 93
	.set _ZN9rocsparseL18bsrxmvn_4x4_kernelILj128ELj64Efli18rocsparse_bfloat16S1_fEEvT3_20rocsparse_direction_NS_24const_host_device_scalarIT1_EES2_PKS2_PKT2_SB_S8_PKT4_PKT5_S6_PT6_21rocsparse_index_base_b.num_agpr, 0
	.set _ZN9rocsparseL18bsrxmvn_4x4_kernelILj128ELj64Efli18rocsparse_bfloat16S1_fEEvT3_20rocsparse_direction_NS_24const_host_device_scalarIT1_EES2_PKS2_PKT2_SB_S8_PKT4_PKT5_S6_PT6_21rocsparse_index_base_b.numbered_sgpr, 20
	.set _ZN9rocsparseL18bsrxmvn_4x4_kernelILj128ELj64Efli18rocsparse_bfloat16S1_fEEvT3_20rocsparse_direction_NS_24const_host_device_scalarIT1_EES2_PKS2_PKT2_SB_S8_PKT4_PKT5_S6_PT6_21rocsparse_index_base_b.num_named_barrier, 0
	.set _ZN9rocsparseL18bsrxmvn_4x4_kernelILj128ELj64Efli18rocsparse_bfloat16S1_fEEvT3_20rocsparse_direction_NS_24const_host_device_scalarIT1_EES2_PKS2_PKT2_SB_S8_PKT4_PKT5_S6_PT6_21rocsparse_index_base_b.private_seg_size, 0
	.set _ZN9rocsparseL18bsrxmvn_4x4_kernelILj128ELj64Efli18rocsparse_bfloat16S1_fEEvT3_20rocsparse_direction_NS_24const_host_device_scalarIT1_EES2_PKS2_PKT2_SB_S8_PKT4_PKT5_S6_PT6_21rocsparse_index_base_b.uses_vcc, 1
	.set _ZN9rocsparseL18bsrxmvn_4x4_kernelILj128ELj64Efli18rocsparse_bfloat16S1_fEEvT3_20rocsparse_direction_NS_24const_host_device_scalarIT1_EES2_PKS2_PKT2_SB_S8_PKT4_PKT5_S6_PT6_21rocsparse_index_base_b.uses_flat_scratch, 0
	.set _ZN9rocsparseL18bsrxmvn_4x4_kernelILj128ELj64Efli18rocsparse_bfloat16S1_fEEvT3_20rocsparse_direction_NS_24const_host_device_scalarIT1_EES2_PKS2_PKT2_SB_S8_PKT4_PKT5_S6_PT6_21rocsparse_index_base_b.has_dyn_sized_stack, 0
	.set _ZN9rocsparseL18bsrxmvn_4x4_kernelILj128ELj64Efli18rocsparse_bfloat16S1_fEEvT3_20rocsparse_direction_NS_24const_host_device_scalarIT1_EES2_PKS2_PKT2_SB_S8_PKT4_PKT5_S6_PT6_21rocsparse_index_base_b.has_recursion, 0
	.set _ZN9rocsparseL18bsrxmvn_4x4_kernelILj128ELj64Efli18rocsparse_bfloat16S1_fEEvT3_20rocsparse_direction_NS_24const_host_device_scalarIT1_EES2_PKS2_PKT2_SB_S8_PKT4_PKT5_S6_PT6_21rocsparse_index_base_b.has_indirect_call, 0
	.section	.AMDGPU.csdata,"",@progbits
; Kernel info:
; codeLenInByte = 5028
; TotalNumSgprs: 22
; NumVgprs: 93
; ScratchSize: 0
; MemoryBound: 0
; FloatMode: 240
; IeeeMode: 1
; LDSByteSize: 0 bytes/workgroup (compile time only)
; SGPRBlocks: 0
; VGPRBlocks: 11
; NumSGPRsForWavesPerEU: 22
; NumVGPRsForWavesPerEU: 93
; Occupancy: 10
; WaveLimiterHint : 1
; COMPUTE_PGM_RSRC2:SCRATCH_EN: 0
; COMPUTE_PGM_RSRC2:USER_SGPR: 6
; COMPUTE_PGM_RSRC2:TRAP_HANDLER: 0
; COMPUTE_PGM_RSRC2:TGID_X_EN: 1
; COMPUTE_PGM_RSRC2:TGID_Y_EN: 0
; COMPUTE_PGM_RSRC2:TGID_Z_EN: 0
; COMPUTE_PGM_RSRC2:TIDIG_COMP_CNT: 0
	.section	.text._ZN9rocsparseL18bsrxmvn_4x4_kernelILj128ELj4Efll18rocsparse_bfloat16S1_fEEvT3_20rocsparse_direction_NS_24const_host_device_scalarIT1_EES2_PKS2_PKT2_SB_S8_PKT4_PKT5_S6_PT6_21rocsparse_index_base_b,"axG",@progbits,_ZN9rocsparseL18bsrxmvn_4x4_kernelILj128ELj4Efll18rocsparse_bfloat16S1_fEEvT3_20rocsparse_direction_NS_24const_host_device_scalarIT1_EES2_PKS2_PKT2_SB_S8_PKT4_PKT5_S6_PT6_21rocsparse_index_base_b,comdat
	.globl	_ZN9rocsparseL18bsrxmvn_4x4_kernelILj128ELj4Efll18rocsparse_bfloat16S1_fEEvT3_20rocsparse_direction_NS_24const_host_device_scalarIT1_EES2_PKS2_PKT2_SB_S8_PKT4_PKT5_S6_PT6_21rocsparse_index_base_b ; -- Begin function _ZN9rocsparseL18bsrxmvn_4x4_kernelILj128ELj4Efll18rocsparse_bfloat16S1_fEEvT3_20rocsparse_direction_NS_24const_host_device_scalarIT1_EES2_PKS2_PKT2_SB_S8_PKT4_PKT5_S6_PT6_21rocsparse_index_base_b
	.p2align	8
	.type	_ZN9rocsparseL18bsrxmvn_4x4_kernelILj128ELj4Efll18rocsparse_bfloat16S1_fEEvT3_20rocsparse_direction_NS_24const_host_device_scalarIT1_EES2_PKS2_PKT2_SB_S8_PKT4_PKT5_S6_PT6_21rocsparse_index_base_b,@function
_ZN9rocsparseL18bsrxmvn_4x4_kernelILj128ELj4Efll18rocsparse_bfloat16S1_fEEvT3_20rocsparse_direction_NS_24const_host_device_scalarIT1_EES2_PKS2_PKT2_SB_S8_PKT4_PKT5_S6_PT6_21rocsparse_index_base_b: ; @_ZN9rocsparseL18bsrxmvn_4x4_kernelILj128ELj4Efll18rocsparse_bfloat16S1_fEEvT3_20rocsparse_direction_NS_24const_host_device_scalarIT1_EES2_PKS2_PKT2_SB_S8_PKT4_PKT5_S6_PT6_21rocsparse_index_base_b
; %bb.0:
	s_clause 0x2
	s_load_dwordx2 s[0:1], s[4:5], 0x60
	s_load_dwordx4 s[16:19], s[4:5], 0x10
	s_load_dwordx2 s[2:3], s[4:5], 0x50
	s_waitcnt lgkmcnt(0)
	s_bitcmp1_b32 s1, 0
	s_cselect_b32 s1, -1, 0
	s_and_b32 vcc_lo, exec_lo, s1
	s_xor_b32 s1, s1, -1
	s_cbranch_vccnz .LBB115_2
; %bb.1:
	s_load_dword s16, s[16:17], 0x0
.LBB115_2:
	s_andn2_b32 vcc_lo, exec_lo, s1
	s_cbranch_vccnz .LBB115_4
; %bb.3:
	s_load_dword s2, s[2:3], 0x0
.LBB115_4:
	s_waitcnt lgkmcnt(0)
	v_cmp_neq_f32_e64 s1, s16, 0
	v_cmp_neq_f32_e64 s3, s2, 1.0
	s_or_b32 s1, s1, s3
	s_mov_b32 s3, 0
	s_andn2_b32 vcc_lo, exec_lo, s1
	s_cbranch_vccnz .LBB115_10
; %bb.5:
	s_load_dwordx2 s[8:9], s[4:5], 0x20
	v_lshrrev_b32_e32 v1, 2, v0
	v_mov_b32_e32 v6, 0
	v_lshl_or_b32 v5, s6, 5, v1
	s_waitcnt lgkmcnt(0)
	s_cmp_lg_u64 s[8:9], 0
	s_cbranch_scc0 .LBB115_11
; %bb.6:
	s_mov_b32 s6, 0
                                        ; implicit-def: $vgpr3_vgpr4
                                        ; implicit-def: $vgpr1_vgpr2
	s_mov_b32 s1, exec_lo
	v_cmpx_gt_i64_e64 s[18:19], v[5:6]
	s_xor_b32 s7, exec_lo, s1
	s_cbranch_execz .LBB115_8
; %bb.7:
	v_lshlrev_b64 v[1:2], 3, v[5:6]
	s_mov_b32 s1, 0
	s_mov_b32 s3, exec_lo
	v_add_co_u32 v1, vcc_lo, s8, v1
	v_add_co_ci_u32_e64 v2, null, s9, v2, vcc_lo
	global_load_dwordx2 v[1:2], v[1:2], off
	s_waitcnt vmcnt(0)
	v_sub_co_u32 v3, vcc_lo, v1, s0
	v_subrev_co_ci_u32_e64 v4, null, 0, v2, vcc_lo
	v_mov_b32_e32 v2, s1
	v_mov_b32_e32 v1, s0
.LBB115_8:
	s_or_b32 exec_lo, exec_lo, s7
	s_and_b32 vcc_lo, exec_lo, s6
	s_cbranch_vccnz .LBB115_12
.LBB115_9:
	s_and_saveexec_b32 s0, s3
	s_cbranch_execnz .LBB115_15
.LBB115_10:
	s_endpgm
.LBB115_11:
                                        ; implicit-def: $vgpr3_vgpr4
                                        ; implicit-def: $vgpr1_vgpr2
	s_cbranch_execz .LBB115_9
.LBB115_12:
	s_load_dwordx2 s[6:7], s[4:5], 0x0
	s_waitcnt lgkmcnt(0)
	v_cmp_gt_i64_e32 vcc_lo, s[6:7], v[5:6]
	s_and_saveexec_b32 s6, vcc_lo
; %bb.13:
	s_mov_b32 s1, 0
	s_or_b32 s3, s3, exec_lo
; %bb.14:
	s_or_b32 exec_lo, exec_lo, s6
	v_mov_b32_e32 v2, s1
	v_mov_b32_e32 v3, v5
	;; [unrolled: 1-line block ×4, first 2 shown]
	s_and_saveexec_b32 s0, s3
	s_cbranch_execz .LBB115_10
.LBB115_15:
	s_load_dwordx8 s[8:15], s[4:5], 0x28
	v_lshlrev_b64 v[5:6], 3, v[3:4]
	v_and_b32_e32 v0, 3, v0
	s_clause 0x1
	s_load_dword s1, s[4:5], 0x8
	s_load_dwordx2 s[6:7], s[4:5], 0x48
	v_mov_b32_e32 v25, 0
	s_waitcnt lgkmcnt(0)
	v_add_co_u32 v7, vcc_lo, s8, v5
	v_add_co_ci_u32_e64 v8, null, s9, v6, vcc_lo
	v_add_co_u32 v5, vcc_lo, s10, v5
	v_add_co_ci_u32_e64 v6, null, s11, v6, vcc_lo
	v_add_co_u32 v9, vcc_lo, v7, 8
	global_load_dwordx2 v[13:14], v[7:8], off
	v_add_co_ci_u32_e64 v10, null, 0, v8, vcc_lo
	s_cmp_eq_u64 s[10:11], 0
	s_cselect_b32 vcc_lo, -1, 0
	s_cmp_eq_u32 s1, 1
	v_cndmask_b32_e32 v6, v6, v10, vcc_lo
	v_cndmask_b32_e32 v5, v5, v9, vcc_lo
	global_load_dwordx2 v[7:8], v[5:6], off
	s_waitcnt vmcnt(1)
	v_sub_co_u32 v5, vcc_lo, v13, v1
	v_sub_co_ci_u32_e64 v6, null, v14, v2, vcc_lo
	v_add_co_u32 v5, vcc_lo, v5, v0
	v_add_co_ci_u32_e64 v6, null, 0, v6, vcc_lo
	v_lshlrev_b64 v[9:10], 5, v[5:6]
	s_waitcnt vmcnt(0)
	v_sub_co_u32 v7, vcc_lo, v7, v1
	v_sub_co_ci_u32_e64 v8, null, v8, v2, vcc_lo
	v_add_co_u32 v9, vcc_lo, s14, v9
	v_cmp_lt_i64_e64 s0, v[5:6], v[7:8]
	v_add_co_ci_u32_e64 v10, null, s15, v10, vcc_lo
	s_cbranch_scc1 .LBB115_27
; %bb.16:
	v_mov_b32_e32 v26, 0
	v_mov_b32_e32 v27, 0
	;; [unrolled: 1-line block ×3, first 2 shown]
	s_and_saveexec_b32 s3, s0
	s_cbranch_execz .LBB115_26
; %bb.17:
	v_or_b32_e32 v11, 4, v0
	v_not_b32_e32 v16, v13
	v_sub_co_u32 v17, s1, v1, v0
	v_not_b32_e32 v15, v14
	v_sub_co_u32 v11, vcc_lo, v11, v1
	v_sub_co_ci_u32_e64 v12, null, 0, v2, vcc_lo
	v_subrev_co_ci_u32_e64 v18, null, 0, v2, s1
	v_add_co_u32 v11, vcc_lo, v11, v13
	v_add_co_ci_u32_e64 v12, null, v12, v14, vcc_lo
	s_mov_b32 s1, exec_lo
	v_cmp_gt_i64_e32 vcc_lo, v[11:12], v[7:8]
	v_cndmask_b32_e32 v20, v8, v12, vcc_lo
	v_cndmask_b32_e32 v11, v7, v11, vcc_lo
	v_add_co_u32 v12, vcc_lo, v17, v16
	v_add_co_ci_u32_e64 v15, null, v18, v15, vcc_lo
	v_mov_b32_e32 v18, v10
	v_add_co_u32 v19, vcc_lo, v12, v11
	v_mov_b32_e32 v12, 0
	v_add_co_ci_u32_e64 v20, null, v15, v20, vcc_lo
	v_mov_b32_e32 v16, v6
	v_and_b32_e32 v11, 12, v19
	v_mov_b32_e32 v27, v12
	v_mov_b32_e32 v26, v12
	;; [unrolled: 1-line block ×5, first 2 shown]
	v_cmpx_ne_u64_e32 12, v[11:12]
	s_cbranch_execz .LBB115_21
; %bb.18:
	v_lshrrev_b32_e32 v11, 2, v19
	v_mov_b32_e32 v18, v10
	v_mov_b32_e32 v16, v6
	;; [unrolled: 1-line block ×4, first 2 shown]
	v_add_nc_u32_e32 v21, 1, v11
	v_lshlrev_b64 v[11:12], 3, v[5:6]
	v_mov_b32_e32 v15, v5
	v_mov_b32_e32 v26, 0
	;; [unrolled: 1-line block ×3, first 2 shown]
	v_and_b32_e32 v23, 3, v21
	v_add_co_u32 v21, vcc_lo, s12, v11
	v_add_co_ci_u32_e64 v22, null, s13, v12, vcc_lo
	v_sub_co_u32 v23, s8, 0, v23
	v_sub_co_ci_u32_e64 v24, null, 0, 0, s8
	v_mov_b32_e32 v12, 0
	s_mov_b32 s8, 0
.LBB115_19:                             ; =>This Inner Loop Header: Depth=1
	global_load_dwordx2 v[32:33], v[21:22], off
	global_load_dwordx4 v[28:31], v[17:18], off
	s_waitcnt vmcnt(1)
	v_sub_co_u32 v32, vcc_lo, v32, v1
	v_sub_co_ci_u32_e64 v33, null, v33, v2, vcc_lo
	s_waitcnt vmcnt(0)
	v_lshlrev_b32_e32 v11, 16, v28
	v_lshlrev_b32_e32 v39, 16, v30
	v_and_b32_e32 v28, 0xffff0000, v28
	v_lshlrev_b64 v[32:33], 3, v[32:33]
	v_and_b32_e32 v30, 0xffff0000, v30
	v_lshlrev_b32_e32 v38, 16, v29
	v_lshlrev_b32_e32 v40, 16, v31
	v_and_b32_e32 v29, 0xffff0000, v29
	v_and_b32_e32 v31, 0xffff0000, v31
	v_add_co_u32 v36, vcc_lo, s6, v32
	v_add_co_ci_u32_e64 v37, null, s7, v33, vcc_lo
	global_load_dwordx4 v[32:35], v[17:18], off offset:16
	global_load_dwordx2 v[36:37], v[36:37], off
	v_add_co_u32 v17, vcc_lo, 0x80, v17
	v_add_co_ci_u32_e64 v18, null, 0, v18, vcc_lo
	v_add_co_u32 v15, vcc_lo, v15, 4
	v_add_co_ci_u32_e64 v16, null, 0, v16, vcc_lo
	v_add_co_u32 v21, vcc_lo, v21, 32
	v_add_co_ci_u32_e64 v22, null, 0, v22, vcc_lo
	v_add_co_u32 v23, vcc_lo, v23, 1
	v_add_co_ci_u32_e64 v24, null, 0, v24, vcc_lo
	v_cmp_eq_u64_e32 vcc_lo, 0, v[23:24]
	s_or_b32 s8, vcc_lo, s8
	s_waitcnt vmcnt(1)
	v_lshlrev_b32_e32 v41, 16, v32
	v_lshlrev_b32_e32 v43, 16, v34
	s_waitcnt vmcnt(0)
	v_lshlrev_b32_e32 v45, 16, v36
	v_and_b32_e32 v32, 0xffff0000, v32
	v_and_b32_e32 v34, 0xffff0000, v34
	;; [unrolled: 1-line block ×3, first 2 shown]
	v_lshlrev_b32_e32 v42, 16, v33
	v_fmac_f32_e32 v12, v11, v45
	v_fmac_f32_e32 v27, v39, v45
	;; [unrolled: 1-line block ×4, first 2 shown]
	v_lshlrev_b32_e32 v44, 16, v35
	v_lshlrev_b32_e32 v11, 16, v37
	v_fmac_f32_e32 v12, v28, v36
	v_fmac_f32_e32 v27, v30, v36
	;; [unrolled: 1-line block ×4, first 2 shown]
	v_and_b32_e32 v33, 0xffff0000, v33
	v_and_b32_e32 v35, 0xffff0000, v35
	;; [unrolled: 1-line block ×3, first 2 shown]
	v_fmac_f32_e32 v12, v38, v11
	v_fmac_f32_e32 v27, v40, v11
	;; [unrolled: 1-line block ×8, first 2 shown]
	s_andn2_b32 exec_lo, exec_lo, s8
	s_cbranch_execnz .LBB115_19
; %bb.20:
	s_or_b32 exec_lo, exec_lo, s8
.LBB115_21:
	s_or_b32 exec_lo, exec_lo, s1
	s_mov_b32 s8, exec_lo
	v_cmpx_lt_u64_e32 11, v[19:20]
	s_cbranch_execz .LBB115_25
; %bb.22:
	v_lshlrev_b64 v[19:20], 3, v[15:16]
	s_mov_b32 s9, 0
	v_add_co_u32 v11, vcc_lo, s12, v19
	v_add_co_ci_u32_e64 v20, null, s13, v20, vcc_lo
	v_add_co_u32 v19, vcc_lo, v11, 64
	v_add_co_ci_u32_e64 v20, null, 0, v20, vcc_lo
.LBB115_23:                             ; =>This Inner Loop Header: Depth=1
	s_clause 0x3
	global_load_dwordx2 v[56:57], v[19:20], off offset:-64
	global_load_dwordx2 v[58:59], v[19:20], off offset:-32
	global_load_dwordx2 v[60:61], v[19:20], off
	global_load_dwordx2 v[62:63], v[19:20], off offset:32
	s_clause 0x7
	global_load_dwordx4 v[21:24], v[17:18], off
	global_load_dwordx4 v[28:31], v[17:18], off offset:16
	global_load_dwordx4 v[32:35], v[17:18], off offset:128
	;; [unrolled: 1-line block ×7, first 2 shown]
	s_waitcnt vmcnt(11)
	v_sub_co_u32 v56, vcc_lo, v56, v1
	v_sub_co_ci_u32_e64 v57, null, v57, v2, vcc_lo
	s_waitcnt vmcnt(10)
	v_sub_co_u32 v58, vcc_lo, v58, v1
	v_sub_co_ci_u32_e64 v59, null, v59, v2, vcc_lo
	v_lshlrev_b64 v[56:57], 3, v[56:57]
	s_waitcnt vmcnt(7)
	v_lshlrev_b32_e32 v11, 16, v21
	v_lshlrev_b32_e32 v65, 16, v23
	v_lshlrev_b64 v[58:59], 3, v[58:59]
	s_waitcnt vmcnt(6)
	v_lshlrev_b32_e32 v67, 16, v28
	v_lshlrev_b32_e32 v69, 16, v30
	v_add_co_u32 v56, vcc_lo, s6, v56
	v_add_co_ci_u32_e64 v57, null, s7, v57, vcc_lo
	v_sub_co_u32 v60, vcc_lo, v60, v1
	v_sub_co_ci_u32_e64 v61, null, v61, v2, vcc_lo
	global_load_dwordx2 v[56:57], v[56:57], off
	v_add_co_u32 v58, vcc_lo, s6, v58
	v_add_co_ci_u32_e64 v59, null, s7, v59, vcc_lo
	v_lshlrev_b64 v[60:61], 3, v[60:61]
	v_sub_co_u32 v62, vcc_lo, v62, v1
	global_load_dwordx2 v[58:59], v[58:59], off
	v_sub_co_ci_u32_e64 v63, null, v63, v2, vcc_lo
	v_add_co_u32 v60, s1, s6, v60
	v_add_co_ci_u32_e64 v61, null, s7, v61, s1
	v_lshlrev_b64 v[62:63], 3, v[62:63]
	v_and_b32_e32 v21, 0xffff0000, v21
	v_and_b32_e32 v23, 0xffff0000, v23
	global_load_dwordx2 v[60:61], v[60:61], off
	v_and_b32_e32 v28, 0xffff0000, v28
	v_and_b32_e32 v30, 0xffff0000, v30
	v_add_co_u32 v62, vcc_lo, s6, v62
	v_add_co_ci_u32_e64 v63, null, s7, v63, vcc_lo
	v_lshlrev_b32_e32 v64, 16, v22
	v_lshlrev_b32_e32 v66, 16, v24
	;; [unrolled: 1-line block ×3, first 2 shown]
	global_load_dwordx2 v[62:63], v[62:63], off
	v_lshlrev_b32_e32 v70, 16, v31
	v_and_b32_e32 v22, 0xffff0000, v22
	v_and_b32_e32 v24, 0xffff0000, v24
	;; [unrolled: 1-line block ×4, first 2 shown]
	s_waitcnt vmcnt(9)
	v_lshlrev_b32_e32 v71, 16, v32
	v_lshlrev_b32_e32 v73, 16, v34
	s_waitcnt vmcnt(8)
	v_lshlrev_b32_e32 v75, 16, v36
	v_lshlrev_b32_e32 v77, 16, v38
	v_and_b32_e32 v32, 0xffff0000, v32
	v_and_b32_e32 v34, 0xffff0000, v34
	;; [unrolled: 1-line block ×4, first 2 shown]
	v_lshlrev_b32_e32 v72, 16, v33
	v_lshlrev_b32_e32 v74, 16, v35
	;; [unrolled: 1-line block ×4, first 2 shown]
	v_and_b32_e32 v33, 0xffff0000, v33
	v_and_b32_e32 v35, 0xffff0000, v35
	v_and_b32_e32 v37, 0xffff0000, v37
	v_and_b32_e32 v39, 0xffff0000, v39
	s_waitcnt vmcnt(7)
	v_lshlrev_b32_e32 v79, 16, v40
	v_lshlrev_b32_e32 v81, 16, v42
	s_waitcnt vmcnt(6)
	v_lshlrev_b32_e32 v83, 16, v44
	v_lshlrev_b32_e32 v85, 16, v46
	v_and_b32_e32 v40, 0xffff0000, v40
	v_and_b32_e32 v42, 0xffff0000, v42
	v_and_b32_e32 v44, 0xffff0000, v44
	v_and_b32_e32 v46, 0xffff0000, v46
	v_lshlrev_b32_e32 v80, 16, v41
	v_lshlrev_b32_e32 v82, 16, v43
	v_lshlrev_b32_e32 v84, 16, v45
	v_lshlrev_b32_e32 v86, 16, v47
	v_and_b32_e32 v41, 0xffff0000, v41
	v_and_b32_e32 v43, 0xffff0000, v43
	;; [unrolled: 1-line block ×4, first 2 shown]
	s_waitcnt vmcnt(5)
	v_lshlrev_b32_e32 v87, 16, v48
	v_lshlrev_b32_e32 v89, 16, v50
	s_waitcnt vmcnt(4)
	v_lshlrev_b32_e32 v91, 16, v52
	v_lshlrev_b32_e32 v93, 16, v54
	v_and_b32_e32 v48, 0xffff0000, v48
	v_and_b32_e32 v50, 0xffff0000, v50
	;; [unrolled: 1-line block ×4, first 2 shown]
	v_add_co_u32 v17, vcc_lo, 0x200, v17
	v_add_co_ci_u32_e64 v18, null, 0, v18, vcc_lo
	v_add_co_u32 v15, vcc_lo, v15, 16
	v_lshlrev_b32_e32 v88, 16, v49
	v_lshlrev_b32_e32 v90, 16, v51
	v_lshlrev_b32_e32 v92, 16, v53
	v_lshlrev_b32_e32 v94, 16, v55
	v_add_co_ci_u32_e64 v16, null, 0, v16, vcc_lo
	v_add_co_u32 v19, vcc_lo, 0x80, v19
	v_and_b32_e32 v49, 0xffff0000, v49
	v_and_b32_e32 v51, 0xffff0000, v51
	;; [unrolled: 1-line block ×4, first 2 shown]
	v_add_co_ci_u32_e64 v20, null, 0, v20, vcc_lo
	v_cmp_ge_i64_e32 vcc_lo, v[15:16], v[7:8]
	s_or_b32 s9, vcc_lo, s9
	s_waitcnt vmcnt(3)
	v_lshlrev_b32_e32 v95, 16, v56
	v_and_b32_e32 v56, 0xffff0000, v56
	v_fmac_f32_e32 v12, v11, v95
	v_fmac_f32_e32 v27, v65, v95
	v_fmac_f32_e32 v26, v67, v95
	v_fmac_f32_e32 v25, v69, v95
	v_lshlrev_b32_e32 v11, 16, v57
	v_fmac_f32_e32 v12, v21, v56
	v_fmac_f32_e32 v27, v23, v56
	v_fmac_f32_e32 v26, v28, v56
	v_fmac_f32_e32 v25, v30, v56
	v_and_b32_e32 v21, 0xffff0000, v57
	v_fmac_f32_e32 v12, v64, v11
	v_fmac_f32_e32 v27, v66, v11
	v_fmac_f32_e32 v26, v68, v11
	v_fmac_f32_e32 v25, v70, v11
	s_waitcnt vmcnt(2)
	v_lshlrev_b32_e32 v11, 16, v58
	v_fmac_f32_e32 v12, v22, v21
	v_fmac_f32_e32 v27, v24, v21
	v_fmac_f32_e32 v26, v29, v21
	v_fmac_f32_e32 v25, v31, v21
	v_and_b32_e32 v21, 0xffff0000, v58
	v_fmac_f32_e32 v12, v71, v11
	v_fmac_f32_e32 v27, v73, v11
	v_fmac_f32_e32 v26, v75, v11
	v_fmac_f32_e32 v25, v77, v11
	v_lshlrev_b32_e32 v11, 16, v59
	v_fmac_f32_e32 v12, v32, v21
	v_fmac_f32_e32 v27, v34, v21
	v_fmac_f32_e32 v26, v36, v21
	v_fmac_f32_e32 v25, v38, v21
	v_and_b32_e32 v21, 0xffff0000, v59
	v_fmac_f32_e32 v12, v72, v11
	v_fmac_f32_e32 v27, v74, v11
	v_fmac_f32_e32 v26, v76, v11
	v_fmac_f32_e32 v25, v78, v11
	s_waitcnt vmcnt(1)
	v_lshlrev_b32_e32 v11, 16, v60
	v_fmac_f32_e32 v12, v33, v21
	v_fmac_f32_e32 v27, v35, v21
	v_fmac_f32_e32 v26, v37, v21
	v_fmac_f32_e32 v25, v39, v21
	;; [unrolled: 21-line block ×3, first 2 shown]
	v_and_b32_e32 v21, 0xffff0000, v62
	v_fmac_f32_e32 v12, v87, v11
	v_fmac_f32_e32 v27, v89, v11
	v_fmac_f32_e32 v26, v91, v11
	v_fmac_f32_e32 v25, v93, v11
	v_lshlrev_b32_e32 v11, 16, v63
	v_fmac_f32_e32 v12, v48, v21
	v_fmac_f32_e32 v27, v50, v21
	;; [unrolled: 1-line block ×4, first 2 shown]
	v_and_b32_e32 v21, 0xffff0000, v63
	v_fmac_f32_e32 v12, v88, v11
	v_fmac_f32_e32 v27, v90, v11
	;; [unrolled: 1-line block ×8, first 2 shown]
	s_andn2_b32 exec_lo, exec_lo, s9
	s_cbranch_execnz .LBB115_23
; %bb.24:
	s_or_b32 exec_lo, exec_lo, s9
.LBB115_25:
	s_or_b32 exec_lo, exec_lo, s8
.LBB115_26:
	s_or_b32 exec_lo, exec_lo, s3
	s_cbranch_execz .LBB115_28
	s_branch .LBB115_39
.LBB115_27:
                                        ; implicit-def: $vgpr25
                                        ; implicit-def: $vgpr26
                                        ; implicit-def: $vgpr27
                                        ; implicit-def: $vgpr12
.LBB115_28:
	v_mov_b32_e32 v25, 0
	v_mov_b32_e32 v26, 0
	v_mov_b32_e32 v27, 0
	v_mov_b32_e32 v12, 0
	s_and_saveexec_b32 s1, s0
	s_cbranch_execz .LBB115_38
; %bb.29:
	v_or_b32_e32 v11, 4, v0
	v_sub_co_u32 v15, s0, v1, v0
	v_subrev_co_ci_u32_e64 v16, null, 0, v2, s0
	v_sub_co_u32 v11, vcc_lo, v11, v1
	v_sub_co_ci_u32_e64 v12, null, 0, v2, vcc_lo
	s_mov_b32 s0, exec_lo
	v_add_co_u32 v11, vcc_lo, v11, v13
	v_add_co_ci_u32_e64 v12, null, v12, v14, vcc_lo
	v_not_b32_e32 v13, v13
	v_not_b32_e32 v14, v14
	v_cmp_gt_i64_e32 vcc_lo, v[11:12], v[7:8]
	v_cndmask_b32_e32 v17, v8, v12, vcc_lo
	v_cndmask_b32_e32 v11, v7, v11, vcc_lo
	v_add_co_u32 v12, vcc_lo, v15, v13
	v_add_co_ci_u32_e64 v14, null, v16, v14, vcc_lo
	v_add_co_u32 v13, vcc_lo, v12, v11
	v_mov_b32_e32 v12, 0
	v_add_co_ci_u32_e64 v14, null, v14, v17, vcc_lo
	v_and_b32_e32 v11, 12, v13
	v_mov_b32_e32 v27, v12
	v_mov_b32_e32 v26, v12
	;; [unrolled: 1-line block ×3, first 2 shown]
	v_cmpx_ne_u64_e32 12, v[11:12]
	s_cbranch_execz .LBB115_33
; %bb.30:
	v_lshrrev_b32_e32 v11, 2, v13
	v_mov_b32_e32 v25, 0
	v_mov_b32_e32 v26, 0
	;; [unrolled: 1-line block ×3, first 2 shown]
	v_add_nc_u32_e32 v15, 1, v11
	v_lshlrev_b64 v[11:12], 3, v[5:6]
	v_and_b32_e32 v17, 3, v15
	v_add_co_u32 v15, vcc_lo, s12, v11
	v_add_co_ci_u32_e64 v16, null, s13, v12, vcc_lo
	v_sub_co_u32 v17, s3, 0, v17
	v_sub_co_ci_u32_e64 v18, null, 0, 0, s3
	v_mov_b32_e32 v12, 0
	s_mov_b32 s3, 0
.LBB115_31:                             ; =>This Inner Loop Header: Depth=1
	global_load_dwordx2 v[23:24], v[15:16], off
	global_load_dwordx4 v[19:22], v[9:10], off
	s_waitcnt vmcnt(1)
	v_sub_co_u32 v23, vcc_lo, v23, v1
	v_sub_co_ci_u32_e64 v24, null, v24, v2, vcc_lo
	s_waitcnt vmcnt(0)
	v_lshlrev_b32_e32 v11, 16, v19
	v_and_b32_e32 v19, 0xffff0000, v19
	v_lshlrev_b32_e32 v32, 16, v20
	v_lshlrev_b64 v[23:24], 3, v[23:24]
	v_and_b32_e32 v20, 0xffff0000, v20
	v_lshlrev_b32_e32 v33, 16, v21
	v_and_b32_e32 v21, 0xffff0000, v21
	v_lshlrev_b32_e32 v34, 16, v22
	v_and_b32_e32 v22, 0xffff0000, v22
	v_add_co_u32 v23, vcc_lo, s6, v23
	v_add_co_ci_u32_e64 v24, null, s7, v24, vcc_lo
	global_load_dwordx2 v[23:24], v[23:24], off
	global_load_dwordx4 v[28:31], v[9:10], off offset:16
	v_add_co_u32 v9, vcc_lo, 0x80, v9
	v_add_co_ci_u32_e64 v10, null, 0, v10, vcc_lo
	v_add_co_u32 v5, vcc_lo, v5, 4
	v_add_co_ci_u32_e64 v6, null, 0, v6, vcc_lo
	;; [unrolled: 2-line block ×4, first 2 shown]
	v_cmp_eq_u64_e32 vcc_lo, 0, v[17:18]
	s_or_b32 s3, vcc_lo, s3
	s_waitcnt vmcnt(1)
	v_lshlrev_b32_e32 v39, 16, v23
	v_and_b32_e32 v23, 0xffff0000, v23
	s_waitcnt vmcnt(0)
	v_lshlrev_b32_e32 v35, 16, v28
	v_and_b32_e32 v28, 0xffff0000, v28
	v_lshlrev_b32_e32 v36, 16, v29
	v_fmac_f32_e32 v12, v11, v39
	v_fmac_f32_e32 v27, v19, v39
	;; [unrolled: 1-line block ×4, first 2 shown]
	v_and_b32_e32 v29, 0xffff0000, v29
	v_lshlrev_b32_e32 v11, 16, v24
	v_fmac_f32_e32 v12, v33, v23
	v_fmac_f32_e32 v27, v21, v23
	;; [unrolled: 1-line block ×4, first 2 shown]
	v_lshlrev_b32_e32 v37, 16, v30
	v_and_b32_e32 v30, 0xffff0000, v30
	v_lshlrev_b32_e32 v38, 16, v31
	v_and_b32_e32 v31, 0xffff0000, v31
	v_and_b32_e32 v19, 0xffff0000, v24
	v_fmac_f32_e32 v12, v35, v11
	v_fmac_f32_e32 v27, v28, v11
	;; [unrolled: 1-line block ×8, first 2 shown]
	s_andn2_b32 exec_lo, exec_lo, s3
	s_cbranch_execnz .LBB115_31
; %bb.32:
	s_or_b32 exec_lo, exec_lo, s3
.LBB115_33:
	s_or_b32 exec_lo, exec_lo, s0
	s_mov_b32 s0, exec_lo
	v_cmpx_lt_u64_e32 11, v[13:14]
	s_cbranch_execz .LBB115_37
; %bb.34:
	v_lshlrev_b64 v[13:14], 3, v[5:6]
	s_mov_b32 s3, 0
	v_add_co_u32 v11, vcc_lo, s12, v13
	v_add_co_ci_u32_e64 v14, null, s13, v14, vcc_lo
	v_add_co_u32 v13, vcc_lo, v11, 64
	v_add_co_ci_u32_e64 v14, null, 0, v14, vcc_lo
.LBB115_35:                             ; =>This Inner Loop Header: Depth=1
	s_clause 0x3
	global_load_dwordx2 v[23:24], v[13:14], off offset:-64
	global_load_dwordx2 v[48:49], v[13:14], off offset:-32
	global_load_dwordx2 v[50:51], v[13:14], off
	global_load_dwordx2 v[52:53], v[13:14], off offset:32
	s_clause 0x6
	global_load_dwordx4 v[15:18], v[9:10], off
	global_load_dwordx4 v[19:22], v[9:10], off offset:16
	global_load_dwordx4 v[28:31], v[9:10], off offset:128
	global_load_dwordx4 v[32:35], v[9:10], off offset:144
	global_load_dwordx4 v[36:39], v[9:10], off offset:256
	global_load_dwordx4 v[40:43], v[9:10], off offset:272
	global_load_dwordx4 v[44:47], v[9:10], off offset:384
	s_waitcnt vmcnt(10)
	v_sub_co_u32 v23, vcc_lo, v23, v1
	v_sub_co_ci_u32_e64 v24, null, v24, v2, vcc_lo
	s_waitcnt vmcnt(9)
	v_sub_co_u32 v48, vcc_lo, v48, v1
	v_sub_co_ci_u32_e64 v49, null, v49, v2, vcc_lo
	;; [unrolled: 3-line block ×3, first 2 shown]
	s_waitcnt vmcnt(7)
	v_sub_co_u32 v52, vcc_lo, v52, v1
	v_lshlrev_b64 v[23:24], 3, v[23:24]
	v_sub_co_ci_u32_e64 v53, null, v53, v2, vcc_lo
	v_lshlrev_b64 v[48:49], 3, v[48:49]
	v_lshlrev_b64 v[50:51], 3, v[50:51]
	s_waitcnt vmcnt(6)
	v_lshlrev_b32_e32 v11, 16, v15
	v_lshlrev_b64 v[52:53], 3, v[52:53]
	v_add_co_u32 v23, vcc_lo, s6, v23
	v_add_co_ci_u32_e64 v24, null, s7, v24, vcc_lo
	v_add_co_u32 v48, vcc_lo, s6, v48
	v_add_co_ci_u32_e64 v49, null, s7, v49, vcc_lo
	;; [unrolled: 2-line block ×4, first 2 shown]
	s_clause 0x3
	global_load_dwordx2 v[23:24], v[23:24], off
	global_load_dwordx2 v[54:55], v[48:49], off
	;; [unrolled: 1-line block ×4, first 2 shown]
	global_load_dwordx4 v[48:51], v[9:10], off offset:400
	v_and_b32_e32 v15, 0xffff0000, v15
	v_lshlrev_b32_e32 v58, 16, v16
	v_and_b32_e32 v16, 0xffff0000, v16
	v_lshlrev_b32_e32 v59, 16, v17
	v_and_b32_e32 v17, 0xffff0000, v17
	v_lshlrev_b32_e32 v60, 16, v18
	v_and_b32_e32 v18, 0xffff0000, v18
	s_waitcnt vmcnt(10)
	v_lshlrev_b32_e32 v61, 16, v19
	v_and_b32_e32 v19, 0xffff0000, v19
	v_lshlrev_b32_e32 v62, 16, v20
	v_and_b32_e32 v20, 0xffff0000, v20
	v_lshlrev_b32_e32 v63, 16, v21
	v_and_b32_e32 v21, 0xffff0000, v21
	v_lshlrev_b32_e32 v64, 16, v22
	v_and_b32_e32 v22, 0xffff0000, v22
	s_waitcnt vmcnt(9)
	v_lshlrev_b32_e32 v65, 16, v28
	;; [unrolled: 9-line block ×6, first 2 shown]
	v_and_b32_e32 v44, 0xffff0000, v44
	v_lshlrev_b32_e32 v82, 16, v45
	v_and_b32_e32 v45, 0xffff0000, v45
	v_lshlrev_b32_e32 v83, 16, v46
	;; [unrolled: 2-line block ×3, first 2 shown]
	v_and_b32_e32 v47, 0xffff0000, v47
	v_add_co_u32 v9, vcc_lo, 0x200, v9
	v_add_co_ci_u32_e64 v10, null, 0, v10, vcc_lo
	v_add_co_u32 v5, vcc_lo, v5, 16
	v_add_co_ci_u32_e64 v6, null, 0, v6, vcc_lo
	;; [unrolled: 2-line block ×3, first 2 shown]
	v_cmp_ge_i64_e32 vcc_lo, v[5:6], v[7:8]
	s_or_b32 s3, vcc_lo, s3
	s_waitcnt vmcnt(4)
	v_lshlrev_b32_e32 v89, 16, v23
	v_and_b32_e32 v23, 0xffff0000, v23
	s_waitcnt vmcnt(0)
	v_lshlrev_b32_e32 v85, 16, v48
	v_fmac_f32_e32 v12, v11, v89
	v_fmac_f32_e32 v27, v15, v89
	v_fmac_f32_e32 v26, v58, v89
	v_fmac_f32_e32 v25, v16, v89
	v_lshlrev_b32_e32 v11, 16, v24
	v_fmac_f32_e32 v12, v59, v23
	v_fmac_f32_e32 v27, v17, v23
	v_fmac_f32_e32 v26, v60, v23
	v_fmac_f32_e32 v25, v18, v23
	v_and_b32_e32 v15, 0xffff0000, v24
	v_fmac_f32_e32 v12, v61, v11
	v_fmac_f32_e32 v27, v19, v11
	v_fmac_f32_e32 v26, v62, v11
	v_fmac_f32_e32 v25, v20, v11
	v_lshlrev_b32_e32 v11, 16, v54
	v_fmac_f32_e32 v12, v63, v15
	v_fmac_f32_e32 v27, v21, v15
	v_fmac_f32_e32 v26, v64, v15
	v_fmac_f32_e32 v25, v22, v15
	v_and_b32_e32 v15, 0xffff0000, v54
	;; [unrolled: 10-line block ×6, first 2 shown]
	v_fmac_f32_e32 v12, v81, v11
	v_fmac_f32_e32 v27, v44, v11
	;; [unrolled: 1-line block ×4, first 2 shown]
	v_and_b32_e32 v48, 0xffff0000, v48
	v_lshlrev_b32_e32 v86, 16, v49
	v_and_b32_e32 v49, 0xffff0000, v49
	v_lshlrev_b32_e32 v11, 16, v53
	v_fmac_f32_e32 v12, v83, v15
	v_fmac_f32_e32 v27, v46, v15
	;; [unrolled: 1-line block ×4, first 2 shown]
	v_lshlrev_b32_e32 v87, 16, v50
	v_and_b32_e32 v50, 0xffff0000, v50
	v_lshlrev_b32_e32 v88, 16, v51
	v_and_b32_e32 v51, 0xffff0000, v51
	v_and_b32_e32 v15, 0xffff0000, v53
	v_fmac_f32_e32 v12, v85, v11
	v_fmac_f32_e32 v27, v48, v11
	;; [unrolled: 1-line block ×8, first 2 shown]
	s_andn2_b32 exec_lo, exec_lo, s3
	s_cbranch_execnz .LBB115_35
; %bb.36:
	s_or_b32 exec_lo, exec_lo, s3
.LBB115_37:
	s_or_b32 exec_lo, exec_lo, s0
.LBB115_38:
	s_or_b32 exec_lo, exec_lo, s1
.LBB115_39:
	v_mbcnt_lo_u32_b32 v1, -1, 0
	s_mov_b32 s3, -1
	v_xor_b32_e32 v2, 2, v1
	v_cmp_gt_i32_e32 vcc_lo, 32, v2
	v_cndmask_b32_e32 v2, v1, v2, vcc_lo
	v_lshlrev_b32_e32 v2, 2, v2
	ds_bpermute_b32 v5, v2, v12
	ds_bpermute_b32 v6, v2, v27
	ds_bpermute_b32 v7, v2, v26
	ds_bpermute_b32 v8, v2, v25
	v_xor_b32_e32 v2, 1, v1
	v_cmp_gt_i32_e32 vcc_lo, 32, v2
	v_cndmask_b32_e32 v1, v1, v2, vcc_lo
	v_cmp_eq_u32_e32 vcc_lo, 3, v0
	v_lshlrev_b32_e32 v10, 2, v1
	s_waitcnt lgkmcnt(3)
	v_add_f32_e32 v1, v12, v5
	s_waitcnt lgkmcnt(2)
	v_add_f32_e32 v2, v27, v6
	;; [unrolled: 2-line block ×4, first 2 shown]
	ds_bpermute_b32 v7, v10, v1
	ds_bpermute_b32 v8, v10, v2
	;; [unrolled: 1-line block ×4, first 2 shown]
	s_and_b32 exec_lo, exec_lo, vcc_lo
	s_cbranch_execz .LBB115_10
; %bb.40:
	s_load_dwordx2 s[0:1], s[4:5], 0x58
	s_waitcnt lgkmcnt(0)
	v_add_f32_e32 v0, v1, v7
	v_add_f32_e32 v1, v2, v8
	;; [unrolled: 1-line block ×4, first 2 shown]
	v_cmp_eq_f32_e64 s4, s2, 0
	v_lshlrev_b64 v[4:5], 4, v[3:4]
	v_mul_f32_e32 v0, s16, v0
	v_mul_f32_e32 v1, s16, v1
	;; [unrolled: 1-line block ×4, first 2 shown]
	s_and_b32 vcc_lo, exec_lo, s4
	s_cbranch_vccz .LBB115_42
; %bb.41:
	v_add_co_u32 v6, vcc_lo, s0, v4
	v_add_co_ci_u32_e64 v7, null, s1, v5, vcc_lo
	s_mov_b32 s3, 0
	global_store_dwordx4 v[6:7], v[0:3], off
.LBB115_42:
	s_andn2_b32 vcc_lo, exec_lo, s3
	s_cbranch_vccnz .LBB115_10
; %bb.43:
	v_add_co_u32 v8, vcc_lo, s0, v4
	v_add_co_ci_u32_e64 v9, null, s1, v5, vcc_lo
	global_load_dwordx4 v[4:7], v[8:9], off
	s_waitcnt vmcnt(0)
	v_fmac_f32_e32 v0, s2, v4
	v_fmac_f32_e32 v1, s2, v5
	;; [unrolled: 1-line block ×4, first 2 shown]
	global_store_dwordx4 v[8:9], v[0:3], off
	s_endpgm
	.section	.rodata,"a",@progbits
	.p2align	6, 0x0
	.amdhsa_kernel _ZN9rocsparseL18bsrxmvn_4x4_kernelILj128ELj4Efll18rocsparse_bfloat16S1_fEEvT3_20rocsparse_direction_NS_24const_host_device_scalarIT1_EES2_PKS2_PKT2_SB_S8_PKT4_PKT5_S6_PT6_21rocsparse_index_base_b
		.amdhsa_group_segment_fixed_size 0
		.amdhsa_private_segment_fixed_size 0
		.amdhsa_kernarg_size 104
		.amdhsa_user_sgpr_count 6
		.amdhsa_user_sgpr_private_segment_buffer 1
		.amdhsa_user_sgpr_dispatch_ptr 0
		.amdhsa_user_sgpr_queue_ptr 0
		.amdhsa_user_sgpr_kernarg_segment_ptr 1
		.amdhsa_user_sgpr_dispatch_id 0
		.amdhsa_user_sgpr_flat_scratch_init 0
		.amdhsa_user_sgpr_private_segment_size 0
		.amdhsa_wavefront_size32 1
		.amdhsa_uses_dynamic_stack 0
		.amdhsa_system_sgpr_private_segment_wavefront_offset 0
		.amdhsa_system_sgpr_workgroup_id_x 1
		.amdhsa_system_sgpr_workgroup_id_y 0
		.amdhsa_system_sgpr_workgroup_id_z 0
		.amdhsa_system_sgpr_workgroup_info 0
		.amdhsa_system_vgpr_workitem_id 0
		.amdhsa_next_free_vgpr 96
		.amdhsa_next_free_sgpr 20
		.amdhsa_reserve_vcc 1
		.amdhsa_reserve_flat_scratch 0
		.amdhsa_float_round_mode_32 0
		.amdhsa_float_round_mode_16_64 0
		.amdhsa_float_denorm_mode_32 3
		.amdhsa_float_denorm_mode_16_64 3
		.amdhsa_dx10_clamp 1
		.amdhsa_ieee_mode 1
		.amdhsa_fp16_overflow 0
		.amdhsa_workgroup_processor_mode 1
		.amdhsa_memory_ordered 1
		.amdhsa_forward_progress 1
		.amdhsa_shared_vgpr_count 0
		.amdhsa_exception_fp_ieee_invalid_op 0
		.amdhsa_exception_fp_denorm_src 0
		.amdhsa_exception_fp_ieee_div_zero 0
		.amdhsa_exception_fp_ieee_overflow 0
		.amdhsa_exception_fp_ieee_underflow 0
		.amdhsa_exception_fp_ieee_inexact 0
		.amdhsa_exception_int_div_zero 0
	.end_amdhsa_kernel
	.section	.text._ZN9rocsparseL18bsrxmvn_4x4_kernelILj128ELj4Efll18rocsparse_bfloat16S1_fEEvT3_20rocsparse_direction_NS_24const_host_device_scalarIT1_EES2_PKS2_PKT2_SB_S8_PKT4_PKT5_S6_PT6_21rocsparse_index_base_b,"axG",@progbits,_ZN9rocsparseL18bsrxmvn_4x4_kernelILj128ELj4Efll18rocsparse_bfloat16S1_fEEvT3_20rocsparse_direction_NS_24const_host_device_scalarIT1_EES2_PKS2_PKT2_SB_S8_PKT4_PKT5_S6_PT6_21rocsparse_index_base_b,comdat
.Lfunc_end115:
	.size	_ZN9rocsparseL18bsrxmvn_4x4_kernelILj128ELj4Efll18rocsparse_bfloat16S1_fEEvT3_20rocsparse_direction_NS_24const_host_device_scalarIT1_EES2_PKS2_PKT2_SB_S8_PKT4_PKT5_S6_PT6_21rocsparse_index_base_b, .Lfunc_end115-_ZN9rocsparseL18bsrxmvn_4x4_kernelILj128ELj4Efll18rocsparse_bfloat16S1_fEEvT3_20rocsparse_direction_NS_24const_host_device_scalarIT1_EES2_PKS2_PKT2_SB_S8_PKT4_PKT5_S6_PT6_21rocsparse_index_base_b
                                        ; -- End function
	.set _ZN9rocsparseL18bsrxmvn_4x4_kernelILj128ELj4Efll18rocsparse_bfloat16S1_fEEvT3_20rocsparse_direction_NS_24const_host_device_scalarIT1_EES2_PKS2_PKT2_SB_S8_PKT4_PKT5_S6_PT6_21rocsparse_index_base_b.num_vgpr, 96
	.set _ZN9rocsparseL18bsrxmvn_4x4_kernelILj128ELj4Efll18rocsparse_bfloat16S1_fEEvT3_20rocsparse_direction_NS_24const_host_device_scalarIT1_EES2_PKS2_PKT2_SB_S8_PKT4_PKT5_S6_PT6_21rocsparse_index_base_b.num_agpr, 0
	.set _ZN9rocsparseL18bsrxmvn_4x4_kernelILj128ELj4Efll18rocsparse_bfloat16S1_fEEvT3_20rocsparse_direction_NS_24const_host_device_scalarIT1_EES2_PKS2_PKT2_SB_S8_PKT4_PKT5_S6_PT6_21rocsparse_index_base_b.numbered_sgpr, 20
	.set _ZN9rocsparseL18bsrxmvn_4x4_kernelILj128ELj4Efll18rocsparse_bfloat16S1_fEEvT3_20rocsparse_direction_NS_24const_host_device_scalarIT1_EES2_PKS2_PKT2_SB_S8_PKT4_PKT5_S6_PT6_21rocsparse_index_base_b.num_named_barrier, 0
	.set _ZN9rocsparseL18bsrxmvn_4x4_kernelILj128ELj4Efll18rocsparse_bfloat16S1_fEEvT3_20rocsparse_direction_NS_24const_host_device_scalarIT1_EES2_PKS2_PKT2_SB_S8_PKT4_PKT5_S6_PT6_21rocsparse_index_base_b.private_seg_size, 0
	.set _ZN9rocsparseL18bsrxmvn_4x4_kernelILj128ELj4Efll18rocsparse_bfloat16S1_fEEvT3_20rocsparse_direction_NS_24const_host_device_scalarIT1_EES2_PKS2_PKT2_SB_S8_PKT4_PKT5_S6_PT6_21rocsparse_index_base_b.uses_vcc, 1
	.set _ZN9rocsparseL18bsrxmvn_4x4_kernelILj128ELj4Efll18rocsparse_bfloat16S1_fEEvT3_20rocsparse_direction_NS_24const_host_device_scalarIT1_EES2_PKS2_PKT2_SB_S8_PKT4_PKT5_S6_PT6_21rocsparse_index_base_b.uses_flat_scratch, 0
	.set _ZN9rocsparseL18bsrxmvn_4x4_kernelILj128ELj4Efll18rocsparse_bfloat16S1_fEEvT3_20rocsparse_direction_NS_24const_host_device_scalarIT1_EES2_PKS2_PKT2_SB_S8_PKT4_PKT5_S6_PT6_21rocsparse_index_base_b.has_dyn_sized_stack, 0
	.set _ZN9rocsparseL18bsrxmvn_4x4_kernelILj128ELj4Efll18rocsparse_bfloat16S1_fEEvT3_20rocsparse_direction_NS_24const_host_device_scalarIT1_EES2_PKS2_PKT2_SB_S8_PKT4_PKT5_S6_PT6_21rocsparse_index_base_b.has_recursion, 0
	.set _ZN9rocsparseL18bsrxmvn_4x4_kernelILj128ELj4Efll18rocsparse_bfloat16S1_fEEvT3_20rocsparse_direction_NS_24const_host_device_scalarIT1_EES2_PKS2_PKT2_SB_S8_PKT4_PKT5_S6_PT6_21rocsparse_index_base_b.has_indirect_call, 0
	.section	.AMDGPU.csdata,"",@progbits
; Kernel info:
; codeLenInByte = 4544
; TotalNumSgprs: 22
; NumVgprs: 96
; ScratchSize: 0
; MemoryBound: 0
; FloatMode: 240
; IeeeMode: 1
; LDSByteSize: 0 bytes/workgroup (compile time only)
; SGPRBlocks: 0
; VGPRBlocks: 11
; NumSGPRsForWavesPerEU: 22
; NumVGPRsForWavesPerEU: 96
; Occupancy: 10
; WaveLimiterHint : 1
; COMPUTE_PGM_RSRC2:SCRATCH_EN: 0
; COMPUTE_PGM_RSRC2:USER_SGPR: 6
; COMPUTE_PGM_RSRC2:TRAP_HANDLER: 0
; COMPUTE_PGM_RSRC2:TGID_X_EN: 1
; COMPUTE_PGM_RSRC2:TGID_Y_EN: 0
; COMPUTE_PGM_RSRC2:TGID_Z_EN: 0
; COMPUTE_PGM_RSRC2:TIDIG_COMP_CNT: 0
	.section	.text._ZN9rocsparseL18bsrxmvn_4x4_kernelILj128ELj8Efll18rocsparse_bfloat16S1_fEEvT3_20rocsparse_direction_NS_24const_host_device_scalarIT1_EES2_PKS2_PKT2_SB_S8_PKT4_PKT5_S6_PT6_21rocsparse_index_base_b,"axG",@progbits,_ZN9rocsparseL18bsrxmvn_4x4_kernelILj128ELj8Efll18rocsparse_bfloat16S1_fEEvT3_20rocsparse_direction_NS_24const_host_device_scalarIT1_EES2_PKS2_PKT2_SB_S8_PKT4_PKT5_S6_PT6_21rocsparse_index_base_b,comdat
	.globl	_ZN9rocsparseL18bsrxmvn_4x4_kernelILj128ELj8Efll18rocsparse_bfloat16S1_fEEvT3_20rocsparse_direction_NS_24const_host_device_scalarIT1_EES2_PKS2_PKT2_SB_S8_PKT4_PKT5_S6_PT6_21rocsparse_index_base_b ; -- Begin function _ZN9rocsparseL18bsrxmvn_4x4_kernelILj128ELj8Efll18rocsparse_bfloat16S1_fEEvT3_20rocsparse_direction_NS_24const_host_device_scalarIT1_EES2_PKS2_PKT2_SB_S8_PKT4_PKT5_S6_PT6_21rocsparse_index_base_b
	.p2align	8
	.type	_ZN9rocsparseL18bsrxmvn_4x4_kernelILj128ELj8Efll18rocsparse_bfloat16S1_fEEvT3_20rocsparse_direction_NS_24const_host_device_scalarIT1_EES2_PKS2_PKT2_SB_S8_PKT4_PKT5_S6_PT6_21rocsparse_index_base_b,@function
_ZN9rocsparseL18bsrxmvn_4x4_kernelILj128ELj8Efll18rocsparse_bfloat16S1_fEEvT3_20rocsparse_direction_NS_24const_host_device_scalarIT1_EES2_PKS2_PKT2_SB_S8_PKT4_PKT5_S6_PT6_21rocsparse_index_base_b: ; @_ZN9rocsparseL18bsrxmvn_4x4_kernelILj128ELj8Efll18rocsparse_bfloat16S1_fEEvT3_20rocsparse_direction_NS_24const_host_device_scalarIT1_EES2_PKS2_PKT2_SB_S8_PKT4_PKT5_S6_PT6_21rocsparse_index_base_b
; %bb.0:
	s_clause 0x2
	s_load_dwordx2 s[0:1], s[4:5], 0x60
	s_load_dwordx4 s[16:19], s[4:5], 0x10
	s_load_dwordx2 s[2:3], s[4:5], 0x50
	s_waitcnt lgkmcnt(0)
	s_bitcmp1_b32 s1, 0
	s_cselect_b32 s1, -1, 0
	s_and_b32 vcc_lo, exec_lo, s1
	s_xor_b32 s1, s1, -1
	s_cbranch_vccnz .LBB116_2
; %bb.1:
	s_load_dword s16, s[16:17], 0x0
.LBB116_2:
	s_andn2_b32 vcc_lo, exec_lo, s1
	s_cbranch_vccnz .LBB116_4
; %bb.3:
	s_load_dword s2, s[2:3], 0x0
.LBB116_4:
	s_waitcnt lgkmcnt(0)
	v_cmp_neq_f32_e64 s1, s16, 0
	v_cmp_neq_f32_e64 s3, s2, 1.0
	s_or_b32 s1, s1, s3
	s_mov_b32 s3, 0
	s_andn2_b32 vcc_lo, exec_lo, s1
	s_cbranch_vccnz .LBB116_10
; %bb.5:
	s_load_dwordx2 s[8:9], s[4:5], 0x20
	v_lshrrev_b32_e32 v1, 3, v0
	v_mov_b32_e32 v6, 0
	v_lshl_or_b32 v5, s6, 4, v1
	s_waitcnt lgkmcnt(0)
	s_cmp_lg_u64 s[8:9], 0
	s_cbranch_scc0 .LBB116_11
; %bb.6:
	s_mov_b32 s6, 0
                                        ; implicit-def: $vgpr3_vgpr4
                                        ; implicit-def: $vgpr1_vgpr2
	s_mov_b32 s1, exec_lo
	v_cmpx_gt_i64_e64 s[18:19], v[5:6]
	s_xor_b32 s7, exec_lo, s1
	s_cbranch_execz .LBB116_8
; %bb.7:
	v_lshlrev_b64 v[1:2], 3, v[5:6]
	s_mov_b32 s1, 0
	s_mov_b32 s3, exec_lo
	v_add_co_u32 v1, vcc_lo, s8, v1
	v_add_co_ci_u32_e64 v2, null, s9, v2, vcc_lo
	global_load_dwordx2 v[1:2], v[1:2], off
	s_waitcnt vmcnt(0)
	v_sub_co_u32 v3, vcc_lo, v1, s0
	v_subrev_co_ci_u32_e64 v4, null, 0, v2, vcc_lo
	v_mov_b32_e32 v2, s1
	v_mov_b32_e32 v1, s0
.LBB116_8:
	s_or_b32 exec_lo, exec_lo, s7
	s_and_b32 vcc_lo, exec_lo, s6
	s_cbranch_vccnz .LBB116_12
.LBB116_9:
	s_and_saveexec_b32 s0, s3
	s_cbranch_execnz .LBB116_15
.LBB116_10:
	s_endpgm
.LBB116_11:
                                        ; implicit-def: $vgpr3_vgpr4
                                        ; implicit-def: $vgpr1_vgpr2
	s_cbranch_execz .LBB116_9
.LBB116_12:
	s_load_dwordx2 s[6:7], s[4:5], 0x0
	s_waitcnt lgkmcnt(0)
	v_cmp_gt_i64_e32 vcc_lo, s[6:7], v[5:6]
	s_and_saveexec_b32 s6, vcc_lo
; %bb.13:
	s_mov_b32 s1, 0
	s_or_b32 s3, s3, exec_lo
; %bb.14:
	s_or_b32 exec_lo, exec_lo, s6
	v_mov_b32_e32 v2, s1
	v_mov_b32_e32 v3, v5
	;; [unrolled: 1-line block ×4, first 2 shown]
	s_and_saveexec_b32 s0, s3
	s_cbranch_execz .LBB116_10
.LBB116_15:
	s_load_dwordx8 s[8:15], s[4:5], 0x28
	v_lshlrev_b64 v[5:6], 3, v[3:4]
	v_and_b32_e32 v0, 7, v0
	s_clause 0x1
	s_load_dword s1, s[4:5], 0x8
	s_load_dwordx2 s[6:7], s[4:5], 0x48
	v_mov_b32_e32 v25, 0
	s_waitcnt lgkmcnt(0)
	v_add_co_u32 v7, vcc_lo, s8, v5
	v_add_co_ci_u32_e64 v8, null, s9, v6, vcc_lo
	v_add_co_u32 v5, vcc_lo, s10, v5
	v_add_co_ci_u32_e64 v6, null, s11, v6, vcc_lo
	v_add_co_u32 v9, vcc_lo, v7, 8
	global_load_dwordx2 v[13:14], v[7:8], off
	v_add_co_ci_u32_e64 v10, null, 0, v8, vcc_lo
	s_cmp_eq_u64 s[10:11], 0
	s_cselect_b32 vcc_lo, -1, 0
	s_cmp_eq_u32 s1, 1
	v_cndmask_b32_e32 v6, v6, v10, vcc_lo
	v_cndmask_b32_e32 v5, v5, v9, vcc_lo
	global_load_dwordx2 v[7:8], v[5:6], off
	s_waitcnt vmcnt(1)
	v_sub_co_u32 v5, vcc_lo, v13, v1
	v_sub_co_ci_u32_e64 v6, null, v14, v2, vcc_lo
	v_add_co_u32 v5, vcc_lo, v5, v0
	v_add_co_ci_u32_e64 v6, null, 0, v6, vcc_lo
	v_lshlrev_b64 v[9:10], 5, v[5:6]
	s_waitcnt vmcnt(0)
	v_sub_co_u32 v7, vcc_lo, v7, v1
	v_sub_co_ci_u32_e64 v8, null, v8, v2, vcc_lo
	v_add_co_u32 v9, vcc_lo, s14, v9
	v_cmp_lt_i64_e64 s0, v[5:6], v[7:8]
	v_add_co_ci_u32_e64 v10, null, s15, v10, vcc_lo
	s_cbranch_scc1 .LBB116_27
; %bb.16:
	v_mov_b32_e32 v26, 0
	v_mov_b32_e32 v27, 0
	v_mov_b32_e32 v12, 0
	s_and_saveexec_b32 s3, s0
	s_cbranch_execz .LBB116_26
; %bb.17:
	v_or_b32_e32 v11, 8, v0
	v_not_b32_e32 v16, v13
	v_sub_co_u32 v17, s1, v1, v0
	v_not_b32_e32 v15, v14
	v_sub_co_u32 v11, vcc_lo, v11, v1
	v_sub_co_ci_u32_e64 v12, null, 0, v2, vcc_lo
	v_subrev_co_ci_u32_e64 v18, null, 0, v2, s1
	v_add_co_u32 v11, vcc_lo, v11, v13
	v_add_co_ci_u32_e64 v12, null, v12, v14, vcc_lo
	s_mov_b32 s1, exec_lo
	v_cmp_gt_i64_e32 vcc_lo, v[11:12], v[7:8]
	v_cndmask_b32_e32 v20, v8, v12, vcc_lo
	v_cndmask_b32_e32 v11, v7, v11, vcc_lo
	v_add_co_u32 v12, vcc_lo, v17, v16
	v_add_co_ci_u32_e64 v15, null, v18, v15, vcc_lo
	v_mov_b32_e32 v18, v10
	v_add_co_u32 v19, vcc_lo, v12, v11
	v_mov_b32_e32 v12, 0
	v_add_co_ci_u32_e64 v20, null, v15, v20, vcc_lo
	v_mov_b32_e32 v16, v6
	v_and_b32_e32 v11, 24, v19
	v_mov_b32_e32 v27, v12
	v_mov_b32_e32 v26, v12
	;; [unrolled: 1-line block ×5, first 2 shown]
	v_cmpx_ne_u64_e32 24, v[11:12]
	s_cbranch_execz .LBB116_21
; %bb.18:
	v_lshrrev_b32_e32 v11, 3, v19
	v_mov_b32_e32 v18, v10
	v_mov_b32_e32 v16, v6
	;; [unrolled: 1-line block ×4, first 2 shown]
	v_add_nc_u32_e32 v21, 1, v11
	v_lshlrev_b64 v[11:12], 3, v[5:6]
	v_mov_b32_e32 v15, v5
	v_mov_b32_e32 v26, 0
	;; [unrolled: 1-line block ×3, first 2 shown]
	v_and_b32_e32 v23, 3, v21
	v_add_co_u32 v21, vcc_lo, s12, v11
	v_add_co_ci_u32_e64 v22, null, s13, v12, vcc_lo
	v_sub_co_u32 v23, s8, 0, v23
	v_sub_co_ci_u32_e64 v24, null, 0, 0, s8
	v_mov_b32_e32 v12, 0
	s_mov_b32 s8, 0
.LBB116_19:                             ; =>This Inner Loop Header: Depth=1
	global_load_dwordx2 v[32:33], v[21:22], off
	global_load_dwordx4 v[28:31], v[17:18], off
	s_waitcnt vmcnt(1)
	v_sub_co_u32 v32, vcc_lo, v32, v1
	v_sub_co_ci_u32_e64 v33, null, v33, v2, vcc_lo
	s_waitcnt vmcnt(0)
	v_lshlrev_b32_e32 v11, 16, v28
	v_lshlrev_b32_e32 v39, 16, v30
	v_and_b32_e32 v28, 0xffff0000, v28
	v_lshlrev_b64 v[32:33], 3, v[32:33]
	v_and_b32_e32 v30, 0xffff0000, v30
	v_lshlrev_b32_e32 v38, 16, v29
	v_lshlrev_b32_e32 v40, 16, v31
	v_and_b32_e32 v29, 0xffff0000, v29
	v_and_b32_e32 v31, 0xffff0000, v31
	v_add_co_u32 v36, vcc_lo, s6, v32
	v_add_co_ci_u32_e64 v37, null, s7, v33, vcc_lo
	global_load_dwordx4 v[32:35], v[17:18], off offset:16
	global_load_dwordx2 v[36:37], v[36:37], off
	v_add_co_u32 v17, vcc_lo, 0x100, v17
	v_add_co_ci_u32_e64 v18, null, 0, v18, vcc_lo
	v_add_co_u32 v15, vcc_lo, v15, 8
	v_add_co_ci_u32_e64 v16, null, 0, v16, vcc_lo
	;; [unrolled: 2-line block ×4, first 2 shown]
	v_cmp_eq_u64_e32 vcc_lo, 0, v[23:24]
	s_or_b32 s8, vcc_lo, s8
	s_waitcnt vmcnt(1)
	v_lshlrev_b32_e32 v41, 16, v32
	v_lshlrev_b32_e32 v43, 16, v34
	s_waitcnt vmcnt(0)
	v_lshlrev_b32_e32 v45, 16, v36
	v_and_b32_e32 v32, 0xffff0000, v32
	v_and_b32_e32 v34, 0xffff0000, v34
	;; [unrolled: 1-line block ×3, first 2 shown]
	v_lshlrev_b32_e32 v42, 16, v33
	v_fmac_f32_e32 v12, v11, v45
	v_fmac_f32_e32 v27, v39, v45
	;; [unrolled: 1-line block ×4, first 2 shown]
	v_lshlrev_b32_e32 v44, 16, v35
	v_lshlrev_b32_e32 v11, 16, v37
	v_fmac_f32_e32 v12, v28, v36
	v_fmac_f32_e32 v27, v30, v36
	;; [unrolled: 1-line block ×4, first 2 shown]
	v_and_b32_e32 v33, 0xffff0000, v33
	v_and_b32_e32 v35, 0xffff0000, v35
	;; [unrolled: 1-line block ×3, first 2 shown]
	v_fmac_f32_e32 v12, v38, v11
	v_fmac_f32_e32 v27, v40, v11
	v_fmac_f32_e32 v26, v42, v11
	v_fmac_f32_e32 v25, v44, v11
	v_fmac_f32_e32 v12, v29, v28
	v_fmac_f32_e32 v27, v31, v28
	v_fmac_f32_e32 v26, v33, v28
	v_fmac_f32_e32 v25, v35, v28
	s_andn2_b32 exec_lo, exec_lo, s8
	s_cbranch_execnz .LBB116_19
; %bb.20:
	s_or_b32 exec_lo, exec_lo, s8
.LBB116_21:
	s_or_b32 exec_lo, exec_lo, s1
	s_mov_b32 s8, exec_lo
	v_cmpx_lt_u64_e32 23, v[19:20]
	s_cbranch_execz .LBB116_25
; %bb.22:
	v_lshlrev_b64 v[19:20], 3, v[15:16]
	s_mov_b32 s9, 0
	v_add_co_u32 v11, vcc_lo, s12, v19
	v_add_co_ci_u32_e64 v20, null, s13, v20, vcc_lo
	v_add_co_u32 v19, vcc_lo, 0x80, v11
	v_add_co_ci_u32_e64 v20, null, 0, v20, vcc_lo
.LBB116_23:                             ; =>This Inner Loop Header: Depth=1
	s_clause 0x3
	global_load_dwordx2 v[56:57], v[19:20], off offset:-128
	global_load_dwordx2 v[58:59], v[19:20], off offset:-64
	global_load_dwordx2 v[60:61], v[19:20], off
	global_load_dwordx2 v[62:63], v[19:20], off offset:64
	s_clause 0x7
	global_load_dwordx4 v[21:24], v[17:18], off
	global_load_dwordx4 v[28:31], v[17:18], off offset:16
	global_load_dwordx4 v[32:35], v[17:18], off offset:256
	;; [unrolled: 1-line block ×7, first 2 shown]
	s_waitcnt vmcnt(11)
	v_sub_co_u32 v56, vcc_lo, v56, v1
	v_sub_co_ci_u32_e64 v57, null, v57, v2, vcc_lo
	s_waitcnt vmcnt(10)
	v_sub_co_u32 v58, vcc_lo, v58, v1
	v_sub_co_ci_u32_e64 v59, null, v59, v2, vcc_lo
	v_lshlrev_b64 v[56:57], 3, v[56:57]
	s_waitcnt vmcnt(7)
	v_lshlrev_b32_e32 v11, 16, v21
	v_lshlrev_b32_e32 v65, 16, v23
	v_lshlrev_b64 v[58:59], 3, v[58:59]
	s_waitcnt vmcnt(6)
	v_lshlrev_b32_e32 v67, 16, v28
	v_lshlrev_b32_e32 v69, 16, v30
	v_add_co_u32 v56, vcc_lo, s6, v56
	v_add_co_ci_u32_e64 v57, null, s7, v57, vcc_lo
	v_sub_co_u32 v60, vcc_lo, v60, v1
	v_sub_co_ci_u32_e64 v61, null, v61, v2, vcc_lo
	global_load_dwordx2 v[56:57], v[56:57], off
	v_add_co_u32 v58, vcc_lo, s6, v58
	v_add_co_ci_u32_e64 v59, null, s7, v59, vcc_lo
	v_lshlrev_b64 v[60:61], 3, v[60:61]
	v_sub_co_u32 v62, vcc_lo, v62, v1
	global_load_dwordx2 v[58:59], v[58:59], off
	v_sub_co_ci_u32_e64 v63, null, v63, v2, vcc_lo
	v_add_co_u32 v60, s1, s6, v60
	v_add_co_ci_u32_e64 v61, null, s7, v61, s1
	v_lshlrev_b64 v[62:63], 3, v[62:63]
	v_and_b32_e32 v21, 0xffff0000, v21
	v_and_b32_e32 v23, 0xffff0000, v23
	global_load_dwordx2 v[60:61], v[60:61], off
	v_and_b32_e32 v28, 0xffff0000, v28
	v_and_b32_e32 v30, 0xffff0000, v30
	v_add_co_u32 v62, vcc_lo, s6, v62
	v_add_co_ci_u32_e64 v63, null, s7, v63, vcc_lo
	v_lshlrev_b32_e32 v64, 16, v22
	v_lshlrev_b32_e32 v66, 16, v24
	v_lshlrev_b32_e32 v68, 16, v29
	global_load_dwordx2 v[62:63], v[62:63], off
	v_lshlrev_b32_e32 v70, 16, v31
	v_and_b32_e32 v22, 0xffff0000, v22
	v_and_b32_e32 v24, 0xffff0000, v24
	;; [unrolled: 1-line block ×4, first 2 shown]
	s_waitcnt vmcnt(9)
	v_lshlrev_b32_e32 v71, 16, v32
	v_lshlrev_b32_e32 v73, 16, v34
	s_waitcnt vmcnt(8)
	v_lshlrev_b32_e32 v75, 16, v36
	v_lshlrev_b32_e32 v77, 16, v38
	v_and_b32_e32 v32, 0xffff0000, v32
	v_and_b32_e32 v34, 0xffff0000, v34
	v_and_b32_e32 v36, 0xffff0000, v36
	v_and_b32_e32 v38, 0xffff0000, v38
	v_lshlrev_b32_e32 v72, 16, v33
	v_lshlrev_b32_e32 v74, 16, v35
	;; [unrolled: 1-line block ×4, first 2 shown]
	v_and_b32_e32 v33, 0xffff0000, v33
	v_and_b32_e32 v35, 0xffff0000, v35
	;; [unrolled: 1-line block ×4, first 2 shown]
	s_waitcnt vmcnt(7)
	v_lshlrev_b32_e32 v79, 16, v40
	v_lshlrev_b32_e32 v81, 16, v42
	s_waitcnt vmcnt(6)
	v_lshlrev_b32_e32 v83, 16, v44
	v_lshlrev_b32_e32 v85, 16, v46
	v_and_b32_e32 v40, 0xffff0000, v40
	v_and_b32_e32 v42, 0xffff0000, v42
	v_and_b32_e32 v44, 0xffff0000, v44
	v_and_b32_e32 v46, 0xffff0000, v46
	v_lshlrev_b32_e32 v80, 16, v41
	v_lshlrev_b32_e32 v82, 16, v43
	;; [unrolled: 1-line block ×4, first 2 shown]
	v_and_b32_e32 v41, 0xffff0000, v41
	v_and_b32_e32 v43, 0xffff0000, v43
	;; [unrolled: 1-line block ×4, first 2 shown]
	s_waitcnt vmcnt(5)
	v_lshlrev_b32_e32 v87, 16, v48
	v_lshlrev_b32_e32 v89, 16, v50
	s_waitcnt vmcnt(4)
	v_lshlrev_b32_e32 v91, 16, v52
	v_lshlrev_b32_e32 v93, 16, v54
	v_and_b32_e32 v48, 0xffff0000, v48
	v_and_b32_e32 v50, 0xffff0000, v50
	;; [unrolled: 1-line block ×4, first 2 shown]
	v_add_co_u32 v17, vcc_lo, 0x400, v17
	v_add_co_ci_u32_e64 v18, null, 0, v18, vcc_lo
	v_add_co_u32 v15, vcc_lo, v15, 32
	v_lshlrev_b32_e32 v88, 16, v49
	v_lshlrev_b32_e32 v90, 16, v51
	;; [unrolled: 1-line block ×4, first 2 shown]
	v_add_co_ci_u32_e64 v16, null, 0, v16, vcc_lo
	v_add_co_u32 v19, vcc_lo, 0x100, v19
	v_and_b32_e32 v49, 0xffff0000, v49
	v_and_b32_e32 v51, 0xffff0000, v51
	;; [unrolled: 1-line block ×4, first 2 shown]
	v_add_co_ci_u32_e64 v20, null, 0, v20, vcc_lo
	v_cmp_ge_i64_e32 vcc_lo, v[15:16], v[7:8]
	s_or_b32 s9, vcc_lo, s9
	s_waitcnt vmcnt(3)
	v_lshlrev_b32_e32 v95, 16, v56
	v_and_b32_e32 v56, 0xffff0000, v56
	v_fmac_f32_e32 v12, v11, v95
	v_fmac_f32_e32 v27, v65, v95
	v_fmac_f32_e32 v26, v67, v95
	v_fmac_f32_e32 v25, v69, v95
	v_lshlrev_b32_e32 v11, 16, v57
	v_fmac_f32_e32 v12, v21, v56
	v_fmac_f32_e32 v27, v23, v56
	v_fmac_f32_e32 v26, v28, v56
	v_fmac_f32_e32 v25, v30, v56
	v_and_b32_e32 v21, 0xffff0000, v57
	v_fmac_f32_e32 v12, v64, v11
	v_fmac_f32_e32 v27, v66, v11
	v_fmac_f32_e32 v26, v68, v11
	v_fmac_f32_e32 v25, v70, v11
	s_waitcnt vmcnt(2)
	v_lshlrev_b32_e32 v11, 16, v58
	v_fmac_f32_e32 v12, v22, v21
	v_fmac_f32_e32 v27, v24, v21
	v_fmac_f32_e32 v26, v29, v21
	v_fmac_f32_e32 v25, v31, v21
	v_and_b32_e32 v21, 0xffff0000, v58
	v_fmac_f32_e32 v12, v71, v11
	v_fmac_f32_e32 v27, v73, v11
	v_fmac_f32_e32 v26, v75, v11
	v_fmac_f32_e32 v25, v77, v11
	v_lshlrev_b32_e32 v11, 16, v59
	v_fmac_f32_e32 v12, v32, v21
	v_fmac_f32_e32 v27, v34, v21
	v_fmac_f32_e32 v26, v36, v21
	v_fmac_f32_e32 v25, v38, v21
	v_and_b32_e32 v21, 0xffff0000, v59
	v_fmac_f32_e32 v12, v72, v11
	v_fmac_f32_e32 v27, v74, v11
	v_fmac_f32_e32 v26, v76, v11
	v_fmac_f32_e32 v25, v78, v11
	s_waitcnt vmcnt(1)
	v_lshlrev_b32_e32 v11, 16, v60
	v_fmac_f32_e32 v12, v33, v21
	v_fmac_f32_e32 v27, v35, v21
	v_fmac_f32_e32 v26, v37, v21
	v_fmac_f32_e32 v25, v39, v21
	;; [unrolled: 21-line block ×3, first 2 shown]
	v_and_b32_e32 v21, 0xffff0000, v62
	v_fmac_f32_e32 v12, v87, v11
	v_fmac_f32_e32 v27, v89, v11
	;; [unrolled: 1-line block ×4, first 2 shown]
	v_lshlrev_b32_e32 v11, 16, v63
	v_fmac_f32_e32 v12, v48, v21
	v_fmac_f32_e32 v27, v50, v21
	;; [unrolled: 1-line block ×4, first 2 shown]
	v_and_b32_e32 v21, 0xffff0000, v63
	v_fmac_f32_e32 v12, v88, v11
	v_fmac_f32_e32 v27, v90, v11
	;; [unrolled: 1-line block ×8, first 2 shown]
	s_andn2_b32 exec_lo, exec_lo, s9
	s_cbranch_execnz .LBB116_23
; %bb.24:
	s_or_b32 exec_lo, exec_lo, s9
.LBB116_25:
	s_or_b32 exec_lo, exec_lo, s8
.LBB116_26:
	s_or_b32 exec_lo, exec_lo, s3
	s_cbranch_execz .LBB116_28
	s_branch .LBB116_39
.LBB116_27:
                                        ; implicit-def: $vgpr25
                                        ; implicit-def: $vgpr26
                                        ; implicit-def: $vgpr27
                                        ; implicit-def: $vgpr12
.LBB116_28:
	v_mov_b32_e32 v25, 0
	v_mov_b32_e32 v26, 0
	;; [unrolled: 1-line block ×4, first 2 shown]
	s_and_saveexec_b32 s1, s0
	s_cbranch_execz .LBB116_38
; %bb.29:
	v_or_b32_e32 v11, 8, v0
	v_sub_co_u32 v15, s0, v1, v0
	v_subrev_co_ci_u32_e64 v16, null, 0, v2, s0
	v_sub_co_u32 v11, vcc_lo, v11, v1
	v_sub_co_ci_u32_e64 v12, null, 0, v2, vcc_lo
	s_mov_b32 s0, exec_lo
	v_add_co_u32 v11, vcc_lo, v11, v13
	v_add_co_ci_u32_e64 v12, null, v12, v14, vcc_lo
	v_not_b32_e32 v13, v13
	v_not_b32_e32 v14, v14
	v_cmp_gt_i64_e32 vcc_lo, v[11:12], v[7:8]
	v_cndmask_b32_e32 v17, v8, v12, vcc_lo
	v_cndmask_b32_e32 v11, v7, v11, vcc_lo
	v_add_co_u32 v12, vcc_lo, v15, v13
	v_add_co_ci_u32_e64 v14, null, v16, v14, vcc_lo
	v_add_co_u32 v13, vcc_lo, v12, v11
	v_mov_b32_e32 v12, 0
	v_add_co_ci_u32_e64 v14, null, v14, v17, vcc_lo
	v_and_b32_e32 v11, 24, v13
	v_mov_b32_e32 v27, v12
	v_mov_b32_e32 v26, v12
	;; [unrolled: 1-line block ×3, first 2 shown]
	v_cmpx_ne_u64_e32 24, v[11:12]
	s_cbranch_execz .LBB116_33
; %bb.30:
	v_lshrrev_b32_e32 v11, 3, v13
	v_mov_b32_e32 v25, 0
	v_mov_b32_e32 v26, 0
	;; [unrolled: 1-line block ×3, first 2 shown]
	v_add_nc_u32_e32 v15, 1, v11
	v_lshlrev_b64 v[11:12], 3, v[5:6]
	v_and_b32_e32 v17, 3, v15
	v_add_co_u32 v15, vcc_lo, s12, v11
	v_add_co_ci_u32_e64 v16, null, s13, v12, vcc_lo
	v_sub_co_u32 v17, s3, 0, v17
	v_sub_co_ci_u32_e64 v18, null, 0, 0, s3
	v_mov_b32_e32 v12, 0
	s_mov_b32 s3, 0
.LBB116_31:                             ; =>This Inner Loop Header: Depth=1
	global_load_dwordx2 v[23:24], v[15:16], off
	global_load_dwordx4 v[19:22], v[9:10], off
	s_waitcnt vmcnt(1)
	v_sub_co_u32 v23, vcc_lo, v23, v1
	v_sub_co_ci_u32_e64 v24, null, v24, v2, vcc_lo
	s_waitcnt vmcnt(0)
	v_lshlrev_b32_e32 v11, 16, v19
	v_and_b32_e32 v19, 0xffff0000, v19
	v_lshlrev_b32_e32 v32, 16, v20
	v_lshlrev_b64 v[23:24], 3, v[23:24]
	v_and_b32_e32 v20, 0xffff0000, v20
	v_lshlrev_b32_e32 v33, 16, v21
	v_and_b32_e32 v21, 0xffff0000, v21
	v_lshlrev_b32_e32 v34, 16, v22
	v_and_b32_e32 v22, 0xffff0000, v22
	v_add_co_u32 v23, vcc_lo, s6, v23
	v_add_co_ci_u32_e64 v24, null, s7, v24, vcc_lo
	global_load_dwordx2 v[23:24], v[23:24], off
	global_load_dwordx4 v[28:31], v[9:10], off offset:16
	v_add_co_u32 v9, vcc_lo, 0x100, v9
	v_add_co_ci_u32_e64 v10, null, 0, v10, vcc_lo
	v_add_co_u32 v5, vcc_lo, v5, 8
	v_add_co_ci_u32_e64 v6, null, 0, v6, vcc_lo
	;; [unrolled: 2-line block ×4, first 2 shown]
	v_cmp_eq_u64_e32 vcc_lo, 0, v[17:18]
	s_or_b32 s3, vcc_lo, s3
	s_waitcnt vmcnt(1)
	v_lshlrev_b32_e32 v39, 16, v23
	v_and_b32_e32 v23, 0xffff0000, v23
	s_waitcnt vmcnt(0)
	v_lshlrev_b32_e32 v35, 16, v28
	v_and_b32_e32 v28, 0xffff0000, v28
	v_lshlrev_b32_e32 v36, 16, v29
	v_fmac_f32_e32 v12, v11, v39
	v_fmac_f32_e32 v27, v19, v39
	;; [unrolled: 1-line block ×4, first 2 shown]
	v_and_b32_e32 v29, 0xffff0000, v29
	v_lshlrev_b32_e32 v11, 16, v24
	v_fmac_f32_e32 v12, v33, v23
	v_fmac_f32_e32 v27, v21, v23
	;; [unrolled: 1-line block ×4, first 2 shown]
	v_lshlrev_b32_e32 v37, 16, v30
	v_and_b32_e32 v30, 0xffff0000, v30
	v_lshlrev_b32_e32 v38, 16, v31
	v_and_b32_e32 v31, 0xffff0000, v31
	v_and_b32_e32 v19, 0xffff0000, v24
	v_fmac_f32_e32 v12, v35, v11
	v_fmac_f32_e32 v27, v28, v11
	;; [unrolled: 1-line block ×8, first 2 shown]
	s_andn2_b32 exec_lo, exec_lo, s3
	s_cbranch_execnz .LBB116_31
; %bb.32:
	s_or_b32 exec_lo, exec_lo, s3
.LBB116_33:
	s_or_b32 exec_lo, exec_lo, s0
	s_mov_b32 s0, exec_lo
	v_cmpx_lt_u64_e32 23, v[13:14]
	s_cbranch_execz .LBB116_37
; %bb.34:
	v_lshlrev_b64 v[13:14], 3, v[5:6]
	s_mov_b32 s3, 0
	v_add_co_u32 v11, vcc_lo, s12, v13
	v_add_co_ci_u32_e64 v14, null, s13, v14, vcc_lo
	v_add_co_u32 v13, vcc_lo, 0x80, v11
	v_add_co_ci_u32_e64 v14, null, 0, v14, vcc_lo
.LBB116_35:                             ; =>This Inner Loop Header: Depth=1
	s_clause 0x3
	global_load_dwordx2 v[23:24], v[13:14], off offset:-128
	global_load_dwordx2 v[48:49], v[13:14], off offset:-64
	global_load_dwordx2 v[50:51], v[13:14], off
	global_load_dwordx2 v[52:53], v[13:14], off offset:64
	s_clause 0x6
	global_load_dwordx4 v[15:18], v[9:10], off
	global_load_dwordx4 v[19:22], v[9:10], off offset:16
	global_load_dwordx4 v[28:31], v[9:10], off offset:256
	;; [unrolled: 1-line block ×6, first 2 shown]
	s_waitcnt vmcnt(10)
	v_sub_co_u32 v23, vcc_lo, v23, v1
	v_sub_co_ci_u32_e64 v24, null, v24, v2, vcc_lo
	s_waitcnt vmcnt(9)
	v_sub_co_u32 v48, vcc_lo, v48, v1
	v_sub_co_ci_u32_e64 v49, null, v49, v2, vcc_lo
	;; [unrolled: 3-line block ×3, first 2 shown]
	s_waitcnt vmcnt(7)
	v_sub_co_u32 v52, vcc_lo, v52, v1
	v_lshlrev_b64 v[23:24], 3, v[23:24]
	v_sub_co_ci_u32_e64 v53, null, v53, v2, vcc_lo
	v_lshlrev_b64 v[48:49], 3, v[48:49]
	v_lshlrev_b64 v[50:51], 3, v[50:51]
	s_waitcnt vmcnt(6)
	v_lshlrev_b32_e32 v11, 16, v15
	v_lshlrev_b64 v[52:53], 3, v[52:53]
	v_add_co_u32 v23, vcc_lo, s6, v23
	v_add_co_ci_u32_e64 v24, null, s7, v24, vcc_lo
	v_add_co_u32 v48, vcc_lo, s6, v48
	v_add_co_ci_u32_e64 v49, null, s7, v49, vcc_lo
	;; [unrolled: 2-line block ×4, first 2 shown]
	s_clause 0x3
	global_load_dwordx2 v[23:24], v[23:24], off
	global_load_dwordx2 v[54:55], v[48:49], off
	;; [unrolled: 1-line block ×4, first 2 shown]
	global_load_dwordx4 v[48:51], v[9:10], off offset:784
	v_and_b32_e32 v15, 0xffff0000, v15
	v_lshlrev_b32_e32 v58, 16, v16
	v_and_b32_e32 v16, 0xffff0000, v16
	v_lshlrev_b32_e32 v59, 16, v17
	v_and_b32_e32 v17, 0xffff0000, v17
	v_lshlrev_b32_e32 v60, 16, v18
	v_and_b32_e32 v18, 0xffff0000, v18
	s_waitcnt vmcnt(10)
	v_lshlrev_b32_e32 v61, 16, v19
	v_and_b32_e32 v19, 0xffff0000, v19
	v_lshlrev_b32_e32 v62, 16, v20
	v_and_b32_e32 v20, 0xffff0000, v20
	v_lshlrev_b32_e32 v63, 16, v21
	v_and_b32_e32 v21, 0xffff0000, v21
	v_lshlrev_b32_e32 v64, 16, v22
	v_and_b32_e32 v22, 0xffff0000, v22
	s_waitcnt vmcnt(9)
	v_lshlrev_b32_e32 v65, 16, v28
	;; [unrolled: 9-line block ×6, first 2 shown]
	v_and_b32_e32 v44, 0xffff0000, v44
	v_lshlrev_b32_e32 v82, 16, v45
	v_and_b32_e32 v45, 0xffff0000, v45
	v_lshlrev_b32_e32 v83, 16, v46
	v_and_b32_e32 v46, 0xffff0000, v46
	v_lshlrev_b32_e32 v84, 16, v47
	v_and_b32_e32 v47, 0xffff0000, v47
	v_add_co_u32 v9, vcc_lo, 0x400, v9
	v_add_co_ci_u32_e64 v10, null, 0, v10, vcc_lo
	v_add_co_u32 v5, vcc_lo, v5, 32
	v_add_co_ci_u32_e64 v6, null, 0, v6, vcc_lo
	;; [unrolled: 2-line block ×3, first 2 shown]
	v_cmp_ge_i64_e32 vcc_lo, v[5:6], v[7:8]
	s_or_b32 s3, vcc_lo, s3
	s_waitcnt vmcnt(4)
	v_lshlrev_b32_e32 v89, 16, v23
	v_and_b32_e32 v23, 0xffff0000, v23
	s_waitcnt vmcnt(0)
	v_lshlrev_b32_e32 v85, 16, v48
	v_fmac_f32_e32 v12, v11, v89
	v_fmac_f32_e32 v27, v15, v89
	v_fmac_f32_e32 v26, v58, v89
	v_fmac_f32_e32 v25, v16, v89
	v_lshlrev_b32_e32 v11, 16, v24
	v_fmac_f32_e32 v12, v59, v23
	v_fmac_f32_e32 v27, v17, v23
	v_fmac_f32_e32 v26, v60, v23
	v_fmac_f32_e32 v25, v18, v23
	v_and_b32_e32 v15, 0xffff0000, v24
	v_fmac_f32_e32 v12, v61, v11
	v_fmac_f32_e32 v27, v19, v11
	v_fmac_f32_e32 v26, v62, v11
	v_fmac_f32_e32 v25, v20, v11
	v_lshlrev_b32_e32 v11, 16, v54
	v_fmac_f32_e32 v12, v63, v15
	v_fmac_f32_e32 v27, v21, v15
	v_fmac_f32_e32 v26, v64, v15
	v_fmac_f32_e32 v25, v22, v15
	v_and_b32_e32 v15, 0xffff0000, v54
	;; [unrolled: 10-line block ×6, first 2 shown]
	v_fmac_f32_e32 v12, v81, v11
	v_fmac_f32_e32 v27, v44, v11
	;; [unrolled: 1-line block ×4, first 2 shown]
	v_and_b32_e32 v48, 0xffff0000, v48
	v_lshlrev_b32_e32 v86, 16, v49
	v_and_b32_e32 v49, 0xffff0000, v49
	v_lshlrev_b32_e32 v11, 16, v53
	v_fmac_f32_e32 v12, v83, v15
	v_fmac_f32_e32 v27, v46, v15
	;; [unrolled: 1-line block ×4, first 2 shown]
	v_lshlrev_b32_e32 v87, 16, v50
	v_and_b32_e32 v50, 0xffff0000, v50
	v_lshlrev_b32_e32 v88, 16, v51
	v_and_b32_e32 v51, 0xffff0000, v51
	v_and_b32_e32 v15, 0xffff0000, v53
	v_fmac_f32_e32 v12, v85, v11
	v_fmac_f32_e32 v27, v48, v11
	;; [unrolled: 1-line block ×8, first 2 shown]
	s_andn2_b32 exec_lo, exec_lo, s3
	s_cbranch_execnz .LBB116_35
; %bb.36:
	s_or_b32 exec_lo, exec_lo, s3
.LBB116_37:
	s_or_b32 exec_lo, exec_lo, s0
.LBB116_38:
	s_or_b32 exec_lo, exec_lo, s1
.LBB116_39:
	v_mbcnt_lo_u32_b32 v1, -1, 0
	s_mov_b32 s3, -1
	v_xor_b32_e32 v2, 4, v1
	v_xor_b32_e32 v8, 2, v1
	v_cmp_gt_i32_e32 vcc_lo, 32, v2
	v_cndmask_b32_e32 v2, v1, v2, vcc_lo
	v_cmp_gt_i32_e32 vcc_lo, 32, v8
	v_lshlrev_b32_e32 v2, 2, v2
	v_cndmask_b32_e32 v8, v1, v8, vcc_lo
	ds_bpermute_b32 v5, v2, v12
	ds_bpermute_b32 v6, v2, v27
	;; [unrolled: 1-line block ×4, first 2 shown]
	v_lshlrev_b32_e32 v8, 2, v8
	s_waitcnt lgkmcnt(3)
	v_add_f32_e32 v5, v12, v5
	s_waitcnt lgkmcnt(2)
	v_add_f32_e32 v6, v27, v6
	;; [unrolled: 2-line block ×4, first 2 shown]
	v_xor_b32_e32 v12, 1, v1
	ds_bpermute_b32 v2, v8, v5
	ds_bpermute_b32 v10, v8, v6
	;; [unrolled: 1-line block ×4, first 2 shown]
	v_cmp_gt_i32_e32 vcc_lo, 32, v12
	v_cndmask_b32_e32 v1, v1, v12, vcc_lo
	v_cmp_eq_u32_e32 vcc_lo, 7, v0
	v_lshlrev_b32_e32 v12, 2, v1
	s_waitcnt lgkmcnt(3)
	v_add_f32_e32 v1, v5, v2
	s_waitcnt lgkmcnt(2)
	v_add_f32_e32 v2, v6, v10
	;; [unrolled: 2-line block ×4, first 2 shown]
	ds_bpermute_b32 v7, v12, v1
	ds_bpermute_b32 v8, v12, v2
	;; [unrolled: 1-line block ×4, first 2 shown]
	s_and_b32 exec_lo, exec_lo, vcc_lo
	s_cbranch_execz .LBB116_10
; %bb.40:
	s_load_dwordx2 s[0:1], s[4:5], 0x58
	s_waitcnt lgkmcnt(0)
	v_add_f32_e32 v0, v1, v7
	v_add_f32_e32 v1, v2, v8
	;; [unrolled: 1-line block ×4, first 2 shown]
	v_cmp_eq_f32_e64 s4, s2, 0
	v_lshlrev_b64 v[4:5], 4, v[3:4]
	v_mul_f32_e32 v0, s16, v0
	v_mul_f32_e32 v1, s16, v1
	v_mul_f32_e32 v2, s16, v2
	v_mul_f32_e32 v3, s16, v6
	s_and_b32 vcc_lo, exec_lo, s4
	s_cbranch_vccz .LBB116_42
; %bb.41:
	v_add_co_u32 v6, vcc_lo, s0, v4
	v_add_co_ci_u32_e64 v7, null, s1, v5, vcc_lo
	s_mov_b32 s3, 0
	global_store_dwordx4 v[6:7], v[0:3], off
.LBB116_42:
	s_andn2_b32 vcc_lo, exec_lo, s3
	s_cbranch_vccnz .LBB116_10
; %bb.43:
	v_add_co_u32 v8, vcc_lo, s0, v4
	v_add_co_ci_u32_e64 v9, null, s1, v5, vcc_lo
	global_load_dwordx4 v[4:7], v[8:9], off
	s_waitcnt vmcnt(0)
	v_fmac_f32_e32 v0, s2, v4
	v_fmac_f32_e32 v1, s2, v5
	v_fmac_f32_e32 v2, s2, v6
	v_fmac_f32_e32 v3, s2, v7
	global_store_dwordx4 v[8:9], v[0:3], off
	s_endpgm
	.section	.rodata,"a",@progbits
	.p2align	6, 0x0
	.amdhsa_kernel _ZN9rocsparseL18bsrxmvn_4x4_kernelILj128ELj8Efll18rocsparse_bfloat16S1_fEEvT3_20rocsparse_direction_NS_24const_host_device_scalarIT1_EES2_PKS2_PKT2_SB_S8_PKT4_PKT5_S6_PT6_21rocsparse_index_base_b
		.amdhsa_group_segment_fixed_size 0
		.amdhsa_private_segment_fixed_size 0
		.amdhsa_kernarg_size 104
		.amdhsa_user_sgpr_count 6
		.amdhsa_user_sgpr_private_segment_buffer 1
		.amdhsa_user_sgpr_dispatch_ptr 0
		.amdhsa_user_sgpr_queue_ptr 0
		.amdhsa_user_sgpr_kernarg_segment_ptr 1
		.amdhsa_user_sgpr_dispatch_id 0
		.amdhsa_user_sgpr_flat_scratch_init 0
		.amdhsa_user_sgpr_private_segment_size 0
		.amdhsa_wavefront_size32 1
		.amdhsa_uses_dynamic_stack 0
		.amdhsa_system_sgpr_private_segment_wavefront_offset 0
		.amdhsa_system_sgpr_workgroup_id_x 1
		.amdhsa_system_sgpr_workgroup_id_y 0
		.amdhsa_system_sgpr_workgroup_id_z 0
		.amdhsa_system_sgpr_workgroup_info 0
		.amdhsa_system_vgpr_workitem_id 0
		.amdhsa_next_free_vgpr 96
		.amdhsa_next_free_sgpr 20
		.amdhsa_reserve_vcc 1
		.amdhsa_reserve_flat_scratch 0
		.amdhsa_float_round_mode_32 0
		.amdhsa_float_round_mode_16_64 0
		.amdhsa_float_denorm_mode_32 3
		.amdhsa_float_denorm_mode_16_64 3
		.amdhsa_dx10_clamp 1
		.amdhsa_ieee_mode 1
		.amdhsa_fp16_overflow 0
		.amdhsa_workgroup_processor_mode 1
		.amdhsa_memory_ordered 1
		.amdhsa_forward_progress 1
		.amdhsa_shared_vgpr_count 0
		.amdhsa_exception_fp_ieee_invalid_op 0
		.amdhsa_exception_fp_denorm_src 0
		.amdhsa_exception_fp_ieee_div_zero 0
		.amdhsa_exception_fp_ieee_overflow 0
		.amdhsa_exception_fp_ieee_underflow 0
		.amdhsa_exception_fp_ieee_inexact 0
		.amdhsa_exception_int_div_zero 0
	.end_amdhsa_kernel
	.section	.text._ZN9rocsparseL18bsrxmvn_4x4_kernelILj128ELj8Efll18rocsparse_bfloat16S1_fEEvT3_20rocsparse_direction_NS_24const_host_device_scalarIT1_EES2_PKS2_PKT2_SB_S8_PKT4_PKT5_S6_PT6_21rocsparse_index_base_b,"axG",@progbits,_ZN9rocsparseL18bsrxmvn_4x4_kernelILj128ELj8Efll18rocsparse_bfloat16S1_fEEvT3_20rocsparse_direction_NS_24const_host_device_scalarIT1_EES2_PKS2_PKT2_SB_S8_PKT4_PKT5_S6_PT6_21rocsparse_index_base_b,comdat
.Lfunc_end116:
	.size	_ZN9rocsparseL18bsrxmvn_4x4_kernelILj128ELj8Efll18rocsparse_bfloat16S1_fEEvT3_20rocsparse_direction_NS_24const_host_device_scalarIT1_EES2_PKS2_PKT2_SB_S8_PKT4_PKT5_S6_PT6_21rocsparse_index_base_b, .Lfunc_end116-_ZN9rocsparseL18bsrxmvn_4x4_kernelILj128ELj8Efll18rocsparse_bfloat16S1_fEEvT3_20rocsparse_direction_NS_24const_host_device_scalarIT1_EES2_PKS2_PKT2_SB_S8_PKT4_PKT5_S6_PT6_21rocsparse_index_base_b
                                        ; -- End function
	.set _ZN9rocsparseL18bsrxmvn_4x4_kernelILj128ELj8Efll18rocsparse_bfloat16S1_fEEvT3_20rocsparse_direction_NS_24const_host_device_scalarIT1_EES2_PKS2_PKT2_SB_S8_PKT4_PKT5_S6_PT6_21rocsparse_index_base_b.num_vgpr, 96
	.set _ZN9rocsparseL18bsrxmvn_4x4_kernelILj128ELj8Efll18rocsparse_bfloat16S1_fEEvT3_20rocsparse_direction_NS_24const_host_device_scalarIT1_EES2_PKS2_PKT2_SB_S8_PKT4_PKT5_S6_PT6_21rocsparse_index_base_b.num_agpr, 0
	.set _ZN9rocsparseL18bsrxmvn_4x4_kernelILj128ELj8Efll18rocsparse_bfloat16S1_fEEvT3_20rocsparse_direction_NS_24const_host_device_scalarIT1_EES2_PKS2_PKT2_SB_S8_PKT4_PKT5_S6_PT6_21rocsparse_index_base_b.numbered_sgpr, 20
	.set _ZN9rocsparseL18bsrxmvn_4x4_kernelILj128ELj8Efll18rocsparse_bfloat16S1_fEEvT3_20rocsparse_direction_NS_24const_host_device_scalarIT1_EES2_PKS2_PKT2_SB_S8_PKT4_PKT5_S6_PT6_21rocsparse_index_base_b.num_named_barrier, 0
	.set _ZN9rocsparseL18bsrxmvn_4x4_kernelILj128ELj8Efll18rocsparse_bfloat16S1_fEEvT3_20rocsparse_direction_NS_24const_host_device_scalarIT1_EES2_PKS2_PKT2_SB_S8_PKT4_PKT5_S6_PT6_21rocsparse_index_base_b.private_seg_size, 0
	.set _ZN9rocsparseL18bsrxmvn_4x4_kernelILj128ELj8Efll18rocsparse_bfloat16S1_fEEvT3_20rocsparse_direction_NS_24const_host_device_scalarIT1_EES2_PKS2_PKT2_SB_S8_PKT4_PKT5_S6_PT6_21rocsparse_index_base_b.uses_vcc, 1
	.set _ZN9rocsparseL18bsrxmvn_4x4_kernelILj128ELj8Efll18rocsparse_bfloat16S1_fEEvT3_20rocsparse_direction_NS_24const_host_device_scalarIT1_EES2_PKS2_PKT2_SB_S8_PKT4_PKT5_S6_PT6_21rocsparse_index_base_b.uses_flat_scratch, 0
	.set _ZN9rocsparseL18bsrxmvn_4x4_kernelILj128ELj8Efll18rocsparse_bfloat16S1_fEEvT3_20rocsparse_direction_NS_24const_host_device_scalarIT1_EES2_PKS2_PKT2_SB_S8_PKT4_PKT5_S6_PT6_21rocsparse_index_base_b.has_dyn_sized_stack, 0
	.set _ZN9rocsparseL18bsrxmvn_4x4_kernelILj128ELj8Efll18rocsparse_bfloat16S1_fEEvT3_20rocsparse_direction_NS_24const_host_device_scalarIT1_EES2_PKS2_PKT2_SB_S8_PKT4_PKT5_S6_PT6_21rocsparse_index_base_b.has_recursion, 0
	.set _ZN9rocsparseL18bsrxmvn_4x4_kernelILj128ELj8Efll18rocsparse_bfloat16S1_fEEvT3_20rocsparse_direction_NS_24const_host_device_scalarIT1_EES2_PKS2_PKT2_SB_S8_PKT4_PKT5_S6_PT6_21rocsparse_index_base_b.has_indirect_call, 0
	.section	.AMDGPU.csdata,"",@progbits
; Kernel info:
; codeLenInByte = 4632
; TotalNumSgprs: 22
; NumVgprs: 96
; ScratchSize: 0
; MemoryBound: 0
; FloatMode: 240
; IeeeMode: 1
; LDSByteSize: 0 bytes/workgroup (compile time only)
; SGPRBlocks: 0
; VGPRBlocks: 11
; NumSGPRsForWavesPerEU: 22
; NumVGPRsForWavesPerEU: 96
; Occupancy: 10
; WaveLimiterHint : 1
; COMPUTE_PGM_RSRC2:SCRATCH_EN: 0
; COMPUTE_PGM_RSRC2:USER_SGPR: 6
; COMPUTE_PGM_RSRC2:TRAP_HANDLER: 0
; COMPUTE_PGM_RSRC2:TGID_X_EN: 1
; COMPUTE_PGM_RSRC2:TGID_Y_EN: 0
; COMPUTE_PGM_RSRC2:TGID_Z_EN: 0
; COMPUTE_PGM_RSRC2:TIDIG_COMP_CNT: 0
	.section	.text._ZN9rocsparseL18bsrxmvn_4x4_kernelILj128ELj16Efll18rocsparse_bfloat16S1_fEEvT3_20rocsparse_direction_NS_24const_host_device_scalarIT1_EES2_PKS2_PKT2_SB_S8_PKT4_PKT5_S6_PT6_21rocsparse_index_base_b,"axG",@progbits,_ZN9rocsparseL18bsrxmvn_4x4_kernelILj128ELj16Efll18rocsparse_bfloat16S1_fEEvT3_20rocsparse_direction_NS_24const_host_device_scalarIT1_EES2_PKS2_PKT2_SB_S8_PKT4_PKT5_S6_PT6_21rocsparse_index_base_b,comdat
	.globl	_ZN9rocsparseL18bsrxmvn_4x4_kernelILj128ELj16Efll18rocsparse_bfloat16S1_fEEvT3_20rocsparse_direction_NS_24const_host_device_scalarIT1_EES2_PKS2_PKT2_SB_S8_PKT4_PKT5_S6_PT6_21rocsparse_index_base_b ; -- Begin function _ZN9rocsparseL18bsrxmvn_4x4_kernelILj128ELj16Efll18rocsparse_bfloat16S1_fEEvT3_20rocsparse_direction_NS_24const_host_device_scalarIT1_EES2_PKS2_PKT2_SB_S8_PKT4_PKT5_S6_PT6_21rocsparse_index_base_b
	.p2align	8
	.type	_ZN9rocsparseL18bsrxmvn_4x4_kernelILj128ELj16Efll18rocsparse_bfloat16S1_fEEvT3_20rocsparse_direction_NS_24const_host_device_scalarIT1_EES2_PKS2_PKT2_SB_S8_PKT4_PKT5_S6_PT6_21rocsparse_index_base_b,@function
_ZN9rocsparseL18bsrxmvn_4x4_kernelILj128ELj16Efll18rocsparse_bfloat16S1_fEEvT3_20rocsparse_direction_NS_24const_host_device_scalarIT1_EES2_PKS2_PKT2_SB_S8_PKT4_PKT5_S6_PT6_21rocsparse_index_base_b: ; @_ZN9rocsparseL18bsrxmvn_4x4_kernelILj128ELj16Efll18rocsparse_bfloat16S1_fEEvT3_20rocsparse_direction_NS_24const_host_device_scalarIT1_EES2_PKS2_PKT2_SB_S8_PKT4_PKT5_S6_PT6_21rocsparse_index_base_b
; %bb.0:
	s_clause 0x2
	s_load_dwordx2 s[0:1], s[4:5], 0x60
	s_load_dwordx4 s[16:19], s[4:5], 0x10
	s_load_dwordx2 s[2:3], s[4:5], 0x50
	s_waitcnt lgkmcnt(0)
	s_bitcmp1_b32 s1, 0
	s_cselect_b32 s1, -1, 0
	s_and_b32 vcc_lo, exec_lo, s1
	s_xor_b32 s1, s1, -1
	s_cbranch_vccnz .LBB117_2
; %bb.1:
	s_load_dword s16, s[16:17], 0x0
.LBB117_2:
	s_andn2_b32 vcc_lo, exec_lo, s1
	s_cbranch_vccnz .LBB117_4
; %bb.3:
	s_load_dword s2, s[2:3], 0x0
.LBB117_4:
	s_waitcnt lgkmcnt(0)
	v_cmp_neq_f32_e64 s1, s16, 0
	v_cmp_neq_f32_e64 s3, s2, 1.0
	s_or_b32 s1, s1, s3
	s_mov_b32 s3, 0
	s_andn2_b32 vcc_lo, exec_lo, s1
	s_cbranch_vccnz .LBB117_10
; %bb.5:
	s_load_dwordx2 s[8:9], s[4:5], 0x20
	v_lshrrev_b32_e32 v1, 4, v0
	v_mov_b32_e32 v6, 0
	v_lshl_or_b32 v5, s6, 3, v1
	s_waitcnt lgkmcnt(0)
	s_cmp_lg_u64 s[8:9], 0
	s_cbranch_scc0 .LBB117_11
; %bb.6:
	s_mov_b32 s6, 0
                                        ; implicit-def: $vgpr3_vgpr4
                                        ; implicit-def: $vgpr1_vgpr2
	s_mov_b32 s1, exec_lo
	v_cmpx_gt_i64_e64 s[18:19], v[5:6]
	s_xor_b32 s7, exec_lo, s1
	s_cbranch_execz .LBB117_8
; %bb.7:
	v_lshlrev_b64 v[1:2], 3, v[5:6]
	s_mov_b32 s1, 0
	s_mov_b32 s3, exec_lo
	v_add_co_u32 v1, vcc_lo, s8, v1
	v_add_co_ci_u32_e64 v2, null, s9, v2, vcc_lo
	global_load_dwordx2 v[1:2], v[1:2], off
	s_waitcnt vmcnt(0)
	v_sub_co_u32 v3, vcc_lo, v1, s0
	v_subrev_co_ci_u32_e64 v4, null, 0, v2, vcc_lo
	v_mov_b32_e32 v2, s1
	v_mov_b32_e32 v1, s0
.LBB117_8:
	s_or_b32 exec_lo, exec_lo, s7
	s_and_b32 vcc_lo, exec_lo, s6
	s_cbranch_vccnz .LBB117_12
.LBB117_9:
	s_and_saveexec_b32 s0, s3
	s_cbranch_execnz .LBB117_15
.LBB117_10:
	s_endpgm
.LBB117_11:
                                        ; implicit-def: $vgpr3_vgpr4
                                        ; implicit-def: $vgpr1_vgpr2
	s_cbranch_execz .LBB117_9
.LBB117_12:
	s_load_dwordx2 s[6:7], s[4:5], 0x0
	s_waitcnt lgkmcnt(0)
	v_cmp_gt_i64_e32 vcc_lo, s[6:7], v[5:6]
	s_and_saveexec_b32 s6, vcc_lo
; %bb.13:
	s_mov_b32 s1, 0
	s_or_b32 s3, s3, exec_lo
; %bb.14:
	s_or_b32 exec_lo, exec_lo, s6
	v_mov_b32_e32 v2, s1
	v_mov_b32_e32 v3, v5
	;; [unrolled: 1-line block ×4, first 2 shown]
	s_and_saveexec_b32 s0, s3
	s_cbranch_execz .LBB117_10
.LBB117_15:
	s_load_dwordx8 s[8:15], s[4:5], 0x28
	v_lshlrev_b64 v[5:6], 3, v[3:4]
	v_and_b32_e32 v0, 15, v0
	s_clause 0x1
	s_load_dword s1, s[4:5], 0x8
	s_load_dwordx2 s[6:7], s[4:5], 0x48
	v_mov_b32_e32 v25, 0
	s_waitcnt lgkmcnt(0)
	v_add_co_u32 v7, vcc_lo, s8, v5
	v_add_co_ci_u32_e64 v8, null, s9, v6, vcc_lo
	v_add_co_u32 v5, vcc_lo, s10, v5
	v_add_co_ci_u32_e64 v6, null, s11, v6, vcc_lo
	v_add_co_u32 v9, vcc_lo, v7, 8
	global_load_dwordx2 v[13:14], v[7:8], off
	v_add_co_ci_u32_e64 v10, null, 0, v8, vcc_lo
	s_cmp_eq_u64 s[10:11], 0
	s_cselect_b32 vcc_lo, -1, 0
	s_cmp_eq_u32 s1, 1
	v_cndmask_b32_e32 v6, v6, v10, vcc_lo
	v_cndmask_b32_e32 v5, v5, v9, vcc_lo
	global_load_dwordx2 v[7:8], v[5:6], off
	s_waitcnt vmcnt(1)
	v_sub_co_u32 v5, vcc_lo, v13, v1
	v_sub_co_ci_u32_e64 v6, null, v14, v2, vcc_lo
	v_add_co_u32 v5, vcc_lo, v5, v0
	v_add_co_ci_u32_e64 v6, null, 0, v6, vcc_lo
	v_lshlrev_b64 v[9:10], 5, v[5:6]
	s_waitcnt vmcnt(0)
	v_sub_co_u32 v7, vcc_lo, v7, v1
	v_sub_co_ci_u32_e64 v8, null, v8, v2, vcc_lo
	v_add_co_u32 v9, vcc_lo, s14, v9
	v_cmp_lt_i64_e64 s0, v[5:6], v[7:8]
	v_add_co_ci_u32_e64 v10, null, s15, v10, vcc_lo
	s_cbranch_scc1 .LBB117_27
; %bb.16:
	v_mov_b32_e32 v26, 0
	v_mov_b32_e32 v27, 0
	;; [unrolled: 1-line block ×3, first 2 shown]
	s_and_saveexec_b32 s3, s0
	s_cbranch_execz .LBB117_26
; %bb.17:
	v_or_b32_e32 v11, 16, v0
	v_not_b32_e32 v16, v13
	v_sub_co_u32 v17, s1, v1, v0
	v_not_b32_e32 v15, v14
	v_sub_co_u32 v11, vcc_lo, v11, v1
	v_sub_co_ci_u32_e64 v12, null, 0, v2, vcc_lo
	v_subrev_co_ci_u32_e64 v18, null, 0, v2, s1
	v_add_co_u32 v11, vcc_lo, v11, v13
	v_add_co_ci_u32_e64 v12, null, v12, v14, vcc_lo
	s_mov_b32 s1, exec_lo
	v_cmp_gt_i64_e32 vcc_lo, v[11:12], v[7:8]
	v_cndmask_b32_e32 v20, v8, v12, vcc_lo
	v_cndmask_b32_e32 v11, v7, v11, vcc_lo
	v_add_co_u32 v12, vcc_lo, v17, v16
	v_add_co_ci_u32_e64 v15, null, v18, v15, vcc_lo
	v_mov_b32_e32 v18, v10
	v_add_co_u32 v19, vcc_lo, v12, v11
	v_mov_b32_e32 v12, 0
	v_add_co_ci_u32_e64 v20, null, v15, v20, vcc_lo
	v_mov_b32_e32 v16, v6
	v_and_b32_e32 v11, 48, v19
	v_mov_b32_e32 v27, v12
	v_mov_b32_e32 v26, v12
	v_mov_b32_e32 v25, v12
	v_mov_b32_e32 v15, v5
	v_mov_b32_e32 v17, v9
	v_cmpx_ne_u64_e32 48, v[11:12]
	s_cbranch_execz .LBB117_21
; %bb.18:
	v_lshrrev_b32_e32 v11, 4, v19
	v_mov_b32_e32 v18, v10
	v_mov_b32_e32 v16, v6
	;; [unrolled: 1-line block ×4, first 2 shown]
	v_add_nc_u32_e32 v21, 1, v11
	v_lshlrev_b64 v[11:12], 3, v[5:6]
	v_mov_b32_e32 v15, v5
	v_mov_b32_e32 v26, 0
	;; [unrolled: 1-line block ×3, first 2 shown]
	v_and_b32_e32 v23, 3, v21
	v_add_co_u32 v21, vcc_lo, s12, v11
	v_add_co_ci_u32_e64 v22, null, s13, v12, vcc_lo
	v_sub_co_u32 v23, s8, 0, v23
	v_sub_co_ci_u32_e64 v24, null, 0, 0, s8
	v_mov_b32_e32 v12, 0
	s_mov_b32 s8, 0
.LBB117_19:                             ; =>This Inner Loop Header: Depth=1
	global_load_dwordx2 v[32:33], v[21:22], off
	global_load_dwordx4 v[28:31], v[17:18], off
	s_waitcnt vmcnt(1)
	v_sub_co_u32 v32, vcc_lo, v32, v1
	v_sub_co_ci_u32_e64 v33, null, v33, v2, vcc_lo
	s_waitcnt vmcnt(0)
	v_lshlrev_b32_e32 v11, 16, v28
	v_lshlrev_b32_e32 v39, 16, v30
	v_and_b32_e32 v28, 0xffff0000, v28
	v_lshlrev_b64 v[32:33], 3, v[32:33]
	v_and_b32_e32 v30, 0xffff0000, v30
	v_lshlrev_b32_e32 v38, 16, v29
	v_lshlrev_b32_e32 v40, 16, v31
	v_and_b32_e32 v29, 0xffff0000, v29
	v_and_b32_e32 v31, 0xffff0000, v31
	v_add_co_u32 v36, vcc_lo, s6, v32
	v_add_co_ci_u32_e64 v37, null, s7, v33, vcc_lo
	global_load_dwordx4 v[32:35], v[17:18], off offset:16
	global_load_dwordx2 v[36:37], v[36:37], off
	v_add_co_u32 v17, vcc_lo, 0x200, v17
	v_add_co_ci_u32_e64 v18, null, 0, v18, vcc_lo
	v_add_co_u32 v15, vcc_lo, v15, 16
	v_add_co_ci_u32_e64 v16, null, 0, v16, vcc_lo
	;; [unrolled: 2-line block ×4, first 2 shown]
	v_cmp_eq_u64_e32 vcc_lo, 0, v[23:24]
	s_or_b32 s8, vcc_lo, s8
	s_waitcnt vmcnt(1)
	v_lshlrev_b32_e32 v41, 16, v32
	v_lshlrev_b32_e32 v43, 16, v34
	s_waitcnt vmcnt(0)
	v_lshlrev_b32_e32 v45, 16, v36
	v_and_b32_e32 v32, 0xffff0000, v32
	v_and_b32_e32 v34, 0xffff0000, v34
	;; [unrolled: 1-line block ×3, first 2 shown]
	v_lshlrev_b32_e32 v42, 16, v33
	v_fmac_f32_e32 v12, v11, v45
	v_fmac_f32_e32 v27, v39, v45
	;; [unrolled: 1-line block ×4, first 2 shown]
	v_lshlrev_b32_e32 v44, 16, v35
	v_lshlrev_b32_e32 v11, 16, v37
	v_fmac_f32_e32 v12, v28, v36
	v_fmac_f32_e32 v27, v30, v36
	;; [unrolled: 1-line block ×4, first 2 shown]
	v_and_b32_e32 v33, 0xffff0000, v33
	v_and_b32_e32 v35, 0xffff0000, v35
	;; [unrolled: 1-line block ×3, first 2 shown]
	v_fmac_f32_e32 v12, v38, v11
	v_fmac_f32_e32 v27, v40, v11
	;; [unrolled: 1-line block ×8, first 2 shown]
	s_andn2_b32 exec_lo, exec_lo, s8
	s_cbranch_execnz .LBB117_19
; %bb.20:
	s_or_b32 exec_lo, exec_lo, s8
.LBB117_21:
	s_or_b32 exec_lo, exec_lo, s1
	s_mov_b32 s8, exec_lo
	v_cmpx_lt_u64_e32 47, v[19:20]
	s_cbranch_execz .LBB117_25
; %bb.22:
	v_lshlrev_b64 v[19:20], 3, v[15:16]
	s_mov_b32 s9, 0
	v_add_co_u32 v11, vcc_lo, s12, v19
	v_add_co_ci_u32_e64 v20, null, s13, v20, vcc_lo
	v_add_co_u32 v19, vcc_lo, 0x100, v11
	v_add_co_ci_u32_e64 v20, null, 0, v20, vcc_lo
.LBB117_23:                             ; =>This Inner Loop Header: Depth=1
	s_clause 0x3
	global_load_dwordx2 v[56:57], v[19:20], off offset:-256
	global_load_dwordx2 v[58:59], v[19:20], off offset:-128
	global_load_dwordx2 v[60:61], v[19:20], off
	global_load_dwordx2 v[62:63], v[19:20], off offset:128
	s_clause 0x7
	global_load_dwordx4 v[21:24], v[17:18], off
	global_load_dwordx4 v[28:31], v[17:18], off offset:16
	global_load_dwordx4 v[32:35], v[17:18], off offset:512
	;; [unrolled: 1-line block ×7, first 2 shown]
	s_waitcnt vmcnt(11)
	v_sub_co_u32 v56, vcc_lo, v56, v1
	v_sub_co_ci_u32_e64 v57, null, v57, v2, vcc_lo
	s_waitcnt vmcnt(10)
	v_sub_co_u32 v58, vcc_lo, v58, v1
	v_sub_co_ci_u32_e64 v59, null, v59, v2, vcc_lo
	v_lshlrev_b64 v[56:57], 3, v[56:57]
	s_waitcnt vmcnt(7)
	v_lshlrev_b32_e32 v11, 16, v21
	v_lshlrev_b32_e32 v65, 16, v23
	v_lshlrev_b64 v[58:59], 3, v[58:59]
	s_waitcnt vmcnt(6)
	v_lshlrev_b32_e32 v67, 16, v28
	v_lshlrev_b32_e32 v69, 16, v30
	v_add_co_u32 v56, vcc_lo, s6, v56
	v_add_co_ci_u32_e64 v57, null, s7, v57, vcc_lo
	v_sub_co_u32 v60, vcc_lo, v60, v1
	v_sub_co_ci_u32_e64 v61, null, v61, v2, vcc_lo
	global_load_dwordx2 v[56:57], v[56:57], off
	v_add_co_u32 v58, vcc_lo, s6, v58
	v_add_co_ci_u32_e64 v59, null, s7, v59, vcc_lo
	v_lshlrev_b64 v[60:61], 3, v[60:61]
	v_sub_co_u32 v62, vcc_lo, v62, v1
	global_load_dwordx2 v[58:59], v[58:59], off
	v_sub_co_ci_u32_e64 v63, null, v63, v2, vcc_lo
	v_add_co_u32 v60, s1, s6, v60
	v_add_co_ci_u32_e64 v61, null, s7, v61, s1
	v_lshlrev_b64 v[62:63], 3, v[62:63]
	v_and_b32_e32 v21, 0xffff0000, v21
	v_and_b32_e32 v23, 0xffff0000, v23
	global_load_dwordx2 v[60:61], v[60:61], off
	v_and_b32_e32 v28, 0xffff0000, v28
	v_and_b32_e32 v30, 0xffff0000, v30
	v_add_co_u32 v62, vcc_lo, s6, v62
	v_add_co_ci_u32_e64 v63, null, s7, v63, vcc_lo
	v_lshlrev_b32_e32 v64, 16, v22
	v_lshlrev_b32_e32 v66, 16, v24
	;; [unrolled: 1-line block ×3, first 2 shown]
	global_load_dwordx2 v[62:63], v[62:63], off
	v_lshlrev_b32_e32 v70, 16, v31
	v_and_b32_e32 v22, 0xffff0000, v22
	v_and_b32_e32 v24, 0xffff0000, v24
	;; [unrolled: 1-line block ×4, first 2 shown]
	s_waitcnt vmcnt(9)
	v_lshlrev_b32_e32 v71, 16, v32
	v_lshlrev_b32_e32 v73, 16, v34
	s_waitcnt vmcnt(8)
	v_lshlrev_b32_e32 v75, 16, v36
	v_lshlrev_b32_e32 v77, 16, v38
	v_and_b32_e32 v32, 0xffff0000, v32
	v_and_b32_e32 v34, 0xffff0000, v34
	;; [unrolled: 1-line block ×4, first 2 shown]
	v_lshlrev_b32_e32 v72, 16, v33
	v_lshlrev_b32_e32 v74, 16, v35
	;; [unrolled: 1-line block ×4, first 2 shown]
	v_and_b32_e32 v33, 0xffff0000, v33
	v_and_b32_e32 v35, 0xffff0000, v35
	;; [unrolled: 1-line block ×4, first 2 shown]
	s_waitcnt vmcnt(7)
	v_lshlrev_b32_e32 v79, 16, v40
	v_lshlrev_b32_e32 v81, 16, v42
	s_waitcnt vmcnt(6)
	v_lshlrev_b32_e32 v83, 16, v44
	v_lshlrev_b32_e32 v85, 16, v46
	v_and_b32_e32 v40, 0xffff0000, v40
	v_and_b32_e32 v42, 0xffff0000, v42
	;; [unrolled: 1-line block ×4, first 2 shown]
	v_lshlrev_b32_e32 v80, 16, v41
	v_lshlrev_b32_e32 v82, 16, v43
	;; [unrolled: 1-line block ×4, first 2 shown]
	v_and_b32_e32 v41, 0xffff0000, v41
	v_and_b32_e32 v43, 0xffff0000, v43
	;; [unrolled: 1-line block ×4, first 2 shown]
	s_waitcnt vmcnt(5)
	v_lshlrev_b32_e32 v87, 16, v48
	v_lshlrev_b32_e32 v89, 16, v50
	s_waitcnt vmcnt(4)
	v_lshlrev_b32_e32 v91, 16, v52
	v_lshlrev_b32_e32 v93, 16, v54
	v_and_b32_e32 v48, 0xffff0000, v48
	v_and_b32_e32 v50, 0xffff0000, v50
	;; [unrolled: 1-line block ×4, first 2 shown]
	v_add_co_u32 v17, vcc_lo, 0x800, v17
	v_add_co_ci_u32_e64 v18, null, 0, v18, vcc_lo
	v_add_co_u32 v15, vcc_lo, v15, 64
	v_lshlrev_b32_e32 v88, 16, v49
	v_lshlrev_b32_e32 v90, 16, v51
	;; [unrolled: 1-line block ×4, first 2 shown]
	v_add_co_ci_u32_e64 v16, null, 0, v16, vcc_lo
	v_add_co_u32 v19, vcc_lo, 0x200, v19
	v_and_b32_e32 v49, 0xffff0000, v49
	v_and_b32_e32 v51, 0xffff0000, v51
	;; [unrolled: 1-line block ×4, first 2 shown]
	v_add_co_ci_u32_e64 v20, null, 0, v20, vcc_lo
	v_cmp_ge_i64_e32 vcc_lo, v[15:16], v[7:8]
	s_or_b32 s9, vcc_lo, s9
	s_waitcnt vmcnt(3)
	v_lshlrev_b32_e32 v95, 16, v56
	v_and_b32_e32 v56, 0xffff0000, v56
	v_fmac_f32_e32 v12, v11, v95
	v_fmac_f32_e32 v27, v65, v95
	v_fmac_f32_e32 v26, v67, v95
	v_fmac_f32_e32 v25, v69, v95
	v_lshlrev_b32_e32 v11, 16, v57
	v_fmac_f32_e32 v12, v21, v56
	v_fmac_f32_e32 v27, v23, v56
	v_fmac_f32_e32 v26, v28, v56
	v_fmac_f32_e32 v25, v30, v56
	v_and_b32_e32 v21, 0xffff0000, v57
	v_fmac_f32_e32 v12, v64, v11
	v_fmac_f32_e32 v27, v66, v11
	v_fmac_f32_e32 v26, v68, v11
	v_fmac_f32_e32 v25, v70, v11
	s_waitcnt vmcnt(2)
	v_lshlrev_b32_e32 v11, 16, v58
	v_fmac_f32_e32 v12, v22, v21
	v_fmac_f32_e32 v27, v24, v21
	v_fmac_f32_e32 v26, v29, v21
	v_fmac_f32_e32 v25, v31, v21
	v_and_b32_e32 v21, 0xffff0000, v58
	v_fmac_f32_e32 v12, v71, v11
	v_fmac_f32_e32 v27, v73, v11
	v_fmac_f32_e32 v26, v75, v11
	v_fmac_f32_e32 v25, v77, v11
	v_lshlrev_b32_e32 v11, 16, v59
	v_fmac_f32_e32 v12, v32, v21
	v_fmac_f32_e32 v27, v34, v21
	v_fmac_f32_e32 v26, v36, v21
	v_fmac_f32_e32 v25, v38, v21
	v_and_b32_e32 v21, 0xffff0000, v59
	v_fmac_f32_e32 v12, v72, v11
	v_fmac_f32_e32 v27, v74, v11
	v_fmac_f32_e32 v26, v76, v11
	v_fmac_f32_e32 v25, v78, v11
	s_waitcnt vmcnt(1)
	v_lshlrev_b32_e32 v11, 16, v60
	v_fmac_f32_e32 v12, v33, v21
	v_fmac_f32_e32 v27, v35, v21
	v_fmac_f32_e32 v26, v37, v21
	v_fmac_f32_e32 v25, v39, v21
	;; [unrolled: 21-line block ×3, first 2 shown]
	v_and_b32_e32 v21, 0xffff0000, v62
	v_fmac_f32_e32 v12, v87, v11
	v_fmac_f32_e32 v27, v89, v11
	;; [unrolled: 1-line block ×4, first 2 shown]
	v_lshlrev_b32_e32 v11, 16, v63
	v_fmac_f32_e32 v12, v48, v21
	v_fmac_f32_e32 v27, v50, v21
	;; [unrolled: 1-line block ×4, first 2 shown]
	v_and_b32_e32 v21, 0xffff0000, v63
	v_fmac_f32_e32 v12, v88, v11
	v_fmac_f32_e32 v27, v90, v11
	;; [unrolled: 1-line block ×8, first 2 shown]
	s_andn2_b32 exec_lo, exec_lo, s9
	s_cbranch_execnz .LBB117_23
; %bb.24:
	s_or_b32 exec_lo, exec_lo, s9
.LBB117_25:
	s_or_b32 exec_lo, exec_lo, s8
.LBB117_26:
	s_or_b32 exec_lo, exec_lo, s3
	s_cbranch_execz .LBB117_28
	s_branch .LBB117_39
.LBB117_27:
                                        ; implicit-def: $vgpr25
                                        ; implicit-def: $vgpr26
                                        ; implicit-def: $vgpr27
                                        ; implicit-def: $vgpr12
.LBB117_28:
	v_mov_b32_e32 v25, 0
	v_mov_b32_e32 v26, 0
	;; [unrolled: 1-line block ×4, first 2 shown]
	s_and_saveexec_b32 s1, s0
	s_cbranch_execz .LBB117_38
; %bb.29:
	v_or_b32_e32 v11, 16, v0
	v_sub_co_u32 v15, s0, v1, v0
	v_subrev_co_ci_u32_e64 v16, null, 0, v2, s0
	v_sub_co_u32 v11, vcc_lo, v11, v1
	v_sub_co_ci_u32_e64 v12, null, 0, v2, vcc_lo
	s_mov_b32 s0, exec_lo
	v_add_co_u32 v11, vcc_lo, v11, v13
	v_add_co_ci_u32_e64 v12, null, v12, v14, vcc_lo
	v_not_b32_e32 v13, v13
	v_not_b32_e32 v14, v14
	v_cmp_gt_i64_e32 vcc_lo, v[11:12], v[7:8]
	v_cndmask_b32_e32 v17, v8, v12, vcc_lo
	v_cndmask_b32_e32 v11, v7, v11, vcc_lo
	v_add_co_u32 v12, vcc_lo, v15, v13
	v_add_co_ci_u32_e64 v14, null, v16, v14, vcc_lo
	v_add_co_u32 v13, vcc_lo, v12, v11
	v_mov_b32_e32 v12, 0
	v_add_co_ci_u32_e64 v14, null, v14, v17, vcc_lo
	v_and_b32_e32 v11, 48, v13
	v_mov_b32_e32 v27, v12
	v_mov_b32_e32 v26, v12
	;; [unrolled: 1-line block ×3, first 2 shown]
	v_cmpx_ne_u64_e32 48, v[11:12]
	s_cbranch_execz .LBB117_33
; %bb.30:
	v_lshrrev_b32_e32 v11, 4, v13
	v_mov_b32_e32 v25, 0
	v_mov_b32_e32 v26, 0
	;; [unrolled: 1-line block ×3, first 2 shown]
	v_add_nc_u32_e32 v15, 1, v11
	v_lshlrev_b64 v[11:12], 3, v[5:6]
	v_and_b32_e32 v17, 3, v15
	v_add_co_u32 v15, vcc_lo, s12, v11
	v_add_co_ci_u32_e64 v16, null, s13, v12, vcc_lo
	v_sub_co_u32 v17, s3, 0, v17
	v_sub_co_ci_u32_e64 v18, null, 0, 0, s3
	v_mov_b32_e32 v12, 0
	s_mov_b32 s3, 0
.LBB117_31:                             ; =>This Inner Loop Header: Depth=1
	global_load_dwordx2 v[23:24], v[15:16], off
	global_load_dwordx4 v[19:22], v[9:10], off
	s_waitcnt vmcnt(1)
	v_sub_co_u32 v23, vcc_lo, v23, v1
	v_sub_co_ci_u32_e64 v24, null, v24, v2, vcc_lo
	s_waitcnt vmcnt(0)
	v_lshlrev_b32_e32 v11, 16, v19
	v_and_b32_e32 v19, 0xffff0000, v19
	v_lshlrev_b32_e32 v32, 16, v20
	v_lshlrev_b64 v[23:24], 3, v[23:24]
	v_and_b32_e32 v20, 0xffff0000, v20
	v_lshlrev_b32_e32 v33, 16, v21
	v_and_b32_e32 v21, 0xffff0000, v21
	v_lshlrev_b32_e32 v34, 16, v22
	v_and_b32_e32 v22, 0xffff0000, v22
	v_add_co_u32 v23, vcc_lo, s6, v23
	v_add_co_ci_u32_e64 v24, null, s7, v24, vcc_lo
	global_load_dwordx2 v[23:24], v[23:24], off
	global_load_dwordx4 v[28:31], v[9:10], off offset:16
	v_add_co_u32 v9, vcc_lo, 0x200, v9
	v_add_co_ci_u32_e64 v10, null, 0, v10, vcc_lo
	v_add_co_u32 v5, vcc_lo, v5, 16
	v_add_co_ci_u32_e64 v6, null, 0, v6, vcc_lo
	;; [unrolled: 2-line block ×4, first 2 shown]
	v_cmp_eq_u64_e32 vcc_lo, 0, v[17:18]
	s_or_b32 s3, vcc_lo, s3
	s_waitcnt vmcnt(1)
	v_lshlrev_b32_e32 v39, 16, v23
	v_and_b32_e32 v23, 0xffff0000, v23
	s_waitcnt vmcnt(0)
	v_lshlrev_b32_e32 v35, 16, v28
	v_and_b32_e32 v28, 0xffff0000, v28
	v_lshlrev_b32_e32 v36, 16, v29
	v_fmac_f32_e32 v12, v11, v39
	v_fmac_f32_e32 v27, v19, v39
	;; [unrolled: 1-line block ×4, first 2 shown]
	v_and_b32_e32 v29, 0xffff0000, v29
	v_lshlrev_b32_e32 v11, 16, v24
	v_fmac_f32_e32 v12, v33, v23
	v_fmac_f32_e32 v27, v21, v23
	;; [unrolled: 1-line block ×4, first 2 shown]
	v_lshlrev_b32_e32 v37, 16, v30
	v_and_b32_e32 v30, 0xffff0000, v30
	v_lshlrev_b32_e32 v38, 16, v31
	v_and_b32_e32 v31, 0xffff0000, v31
	v_and_b32_e32 v19, 0xffff0000, v24
	v_fmac_f32_e32 v12, v35, v11
	v_fmac_f32_e32 v27, v28, v11
	;; [unrolled: 1-line block ×8, first 2 shown]
	s_andn2_b32 exec_lo, exec_lo, s3
	s_cbranch_execnz .LBB117_31
; %bb.32:
	s_or_b32 exec_lo, exec_lo, s3
.LBB117_33:
	s_or_b32 exec_lo, exec_lo, s0
	s_mov_b32 s0, exec_lo
	v_cmpx_lt_u64_e32 47, v[13:14]
	s_cbranch_execz .LBB117_37
; %bb.34:
	v_lshlrev_b64 v[13:14], 3, v[5:6]
	s_mov_b32 s3, 0
	v_add_co_u32 v11, vcc_lo, s12, v13
	v_add_co_ci_u32_e64 v14, null, s13, v14, vcc_lo
	v_add_co_u32 v13, vcc_lo, 0x100, v11
	v_add_co_ci_u32_e64 v14, null, 0, v14, vcc_lo
.LBB117_35:                             ; =>This Inner Loop Header: Depth=1
	s_clause 0x3
	global_load_dwordx2 v[23:24], v[13:14], off offset:-256
	global_load_dwordx2 v[48:49], v[13:14], off offset:-128
	global_load_dwordx2 v[50:51], v[13:14], off
	global_load_dwordx2 v[52:53], v[13:14], off offset:128
	s_clause 0x6
	global_load_dwordx4 v[15:18], v[9:10], off
	global_load_dwordx4 v[19:22], v[9:10], off offset:16
	global_load_dwordx4 v[28:31], v[9:10], off offset:512
	;; [unrolled: 1-line block ×6, first 2 shown]
	s_waitcnt vmcnt(10)
	v_sub_co_u32 v23, vcc_lo, v23, v1
	v_sub_co_ci_u32_e64 v24, null, v24, v2, vcc_lo
	s_waitcnt vmcnt(9)
	v_sub_co_u32 v48, vcc_lo, v48, v1
	v_sub_co_ci_u32_e64 v49, null, v49, v2, vcc_lo
	;; [unrolled: 3-line block ×3, first 2 shown]
	s_waitcnt vmcnt(7)
	v_sub_co_u32 v52, vcc_lo, v52, v1
	v_lshlrev_b64 v[23:24], 3, v[23:24]
	v_sub_co_ci_u32_e64 v53, null, v53, v2, vcc_lo
	v_lshlrev_b64 v[48:49], 3, v[48:49]
	v_lshlrev_b64 v[50:51], 3, v[50:51]
	s_waitcnt vmcnt(6)
	v_lshlrev_b32_e32 v11, 16, v15
	v_lshlrev_b64 v[52:53], 3, v[52:53]
	v_add_co_u32 v23, vcc_lo, s6, v23
	v_add_co_ci_u32_e64 v24, null, s7, v24, vcc_lo
	v_add_co_u32 v48, vcc_lo, s6, v48
	v_add_co_ci_u32_e64 v49, null, s7, v49, vcc_lo
	;; [unrolled: 2-line block ×4, first 2 shown]
	s_clause 0x3
	global_load_dwordx2 v[23:24], v[23:24], off
	global_load_dwordx2 v[54:55], v[48:49], off
	;; [unrolled: 1-line block ×4, first 2 shown]
	global_load_dwordx4 v[48:51], v[9:10], off offset:1552
	v_and_b32_e32 v15, 0xffff0000, v15
	v_lshlrev_b32_e32 v58, 16, v16
	v_and_b32_e32 v16, 0xffff0000, v16
	v_lshlrev_b32_e32 v59, 16, v17
	v_and_b32_e32 v17, 0xffff0000, v17
	v_lshlrev_b32_e32 v60, 16, v18
	v_and_b32_e32 v18, 0xffff0000, v18
	s_waitcnt vmcnt(10)
	v_lshlrev_b32_e32 v61, 16, v19
	v_and_b32_e32 v19, 0xffff0000, v19
	v_lshlrev_b32_e32 v62, 16, v20
	v_and_b32_e32 v20, 0xffff0000, v20
	v_lshlrev_b32_e32 v63, 16, v21
	v_and_b32_e32 v21, 0xffff0000, v21
	v_lshlrev_b32_e32 v64, 16, v22
	v_and_b32_e32 v22, 0xffff0000, v22
	s_waitcnt vmcnt(9)
	v_lshlrev_b32_e32 v65, 16, v28
	;; [unrolled: 9-line block ×6, first 2 shown]
	v_and_b32_e32 v44, 0xffff0000, v44
	v_lshlrev_b32_e32 v82, 16, v45
	v_and_b32_e32 v45, 0xffff0000, v45
	v_lshlrev_b32_e32 v83, 16, v46
	;; [unrolled: 2-line block ×3, first 2 shown]
	v_and_b32_e32 v47, 0xffff0000, v47
	v_add_co_u32 v9, vcc_lo, 0x800, v9
	v_add_co_ci_u32_e64 v10, null, 0, v10, vcc_lo
	v_add_co_u32 v5, vcc_lo, v5, 64
	v_add_co_ci_u32_e64 v6, null, 0, v6, vcc_lo
	;; [unrolled: 2-line block ×3, first 2 shown]
	v_cmp_ge_i64_e32 vcc_lo, v[5:6], v[7:8]
	s_or_b32 s3, vcc_lo, s3
	s_waitcnt vmcnt(4)
	v_lshlrev_b32_e32 v89, 16, v23
	v_and_b32_e32 v23, 0xffff0000, v23
	s_waitcnt vmcnt(0)
	v_lshlrev_b32_e32 v85, 16, v48
	v_fmac_f32_e32 v12, v11, v89
	v_fmac_f32_e32 v27, v15, v89
	v_fmac_f32_e32 v26, v58, v89
	v_fmac_f32_e32 v25, v16, v89
	v_lshlrev_b32_e32 v11, 16, v24
	v_fmac_f32_e32 v12, v59, v23
	v_fmac_f32_e32 v27, v17, v23
	v_fmac_f32_e32 v26, v60, v23
	v_fmac_f32_e32 v25, v18, v23
	v_and_b32_e32 v15, 0xffff0000, v24
	v_fmac_f32_e32 v12, v61, v11
	v_fmac_f32_e32 v27, v19, v11
	v_fmac_f32_e32 v26, v62, v11
	v_fmac_f32_e32 v25, v20, v11
	v_lshlrev_b32_e32 v11, 16, v54
	v_fmac_f32_e32 v12, v63, v15
	v_fmac_f32_e32 v27, v21, v15
	v_fmac_f32_e32 v26, v64, v15
	v_fmac_f32_e32 v25, v22, v15
	v_and_b32_e32 v15, 0xffff0000, v54
	;; [unrolled: 10-line block ×6, first 2 shown]
	v_fmac_f32_e32 v12, v81, v11
	v_fmac_f32_e32 v27, v44, v11
	;; [unrolled: 1-line block ×4, first 2 shown]
	v_and_b32_e32 v48, 0xffff0000, v48
	v_lshlrev_b32_e32 v86, 16, v49
	v_and_b32_e32 v49, 0xffff0000, v49
	v_lshlrev_b32_e32 v11, 16, v53
	v_fmac_f32_e32 v12, v83, v15
	v_fmac_f32_e32 v27, v46, v15
	;; [unrolled: 1-line block ×4, first 2 shown]
	v_lshlrev_b32_e32 v87, 16, v50
	v_and_b32_e32 v50, 0xffff0000, v50
	v_lshlrev_b32_e32 v88, 16, v51
	v_and_b32_e32 v51, 0xffff0000, v51
	v_and_b32_e32 v15, 0xffff0000, v53
	v_fmac_f32_e32 v12, v85, v11
	v_fmac_f32_e32 v27, v48, v11
	;; [unrolled: 1-line block ×8, first 2 shown]
	s_andn2_b32 exec_lo, exec_lo, s3
	s_cbranch_execnz .LBB117_35
; %bb.36:
	s_or_b32 exec_lo, exec_lo, s3
.LBB117_37:
	s_or_b32 exec_lo, exec_lo, s0
.LBB117_38:
	s_or_b32 exec_lo, exec_lo, s1
.LBB117_39:
	v_mbcnt_lo_u32_b32 v1, -1, 0
	s_mov_b32 s3, -1
	v_xor_b32_e32 v2, 8, v1
	v_xor_b32_e32 v8, 4, v1
	v_cmp_gt_i32_e32 vcc_lo, 32, v2
	v_cndmask_b32_e32 v2, v1, v2, vcc_lo
	v_cmp_gt_i32_e32 vcc_lo, 32, v8
	v_lshlrev_b32_e32 v2, 2, v2
	v_cndmask_b32_e32 v8, v1, v8, vcc_lo
	ds_bpermute_b32 v5, v2, v12
	ds_bpermute_b32 v6, v2, v27
	;; [unrolled: 1-line block ×4, first 2 shown]
	v_lshlrev_b32_e32 v8, 2, v8
	s_waitcnt lgkmcnt(3)
	v_add_f32_e32 v5, v12, v5
	s_waitcnt lgkmcnt(2)
	v_add_f32_e32 v6, v27, v6
	;; [unrolled: 2-line block ×4, first 2 shown]
	v_xor_b32_e32 v12, 2, v1
	ds_bpermute_b32 v9, v8, v5
	ds_bpermute_b32 v10, v8, v6
	;; [unrolled: 1-line block ×4, first 2 shown]
	v_cmp_gt_i32_e32 vcc_lo, 32, v12
	v_cndmask_b32_e32 v12, v1, v12, vcc_lo
	v_lshlrev_b32_e32 v12, 2, v12
	s_waitcnt lgkmcnt(3)
	v_add_f32_e32 v5, v5, v9
	s_waitcnt lgkmcnt(2)
	v_add_f32_e32 v6, v6, v10
	;; [unrolled: 2-line block ×4, first 2 shown]
	ds_bpermute_b32 v2, v12, v5
	ds_bpermute_b32 v9, v12, v6
	;; [unrolled: 1-line block ×4, first 2 shown]
	v_xor_b32_e32 v12, 1, v1
	v_cmp_gt_i32_e32 vcc_lo, 32, v12
	v_cndmask_b32_e32 v1, v1, v12, vcc_lo
	v_cmp_eq_u32_e32 vcc_lo, 15, v0
	v_lshlrev_b32_e32 v12, 2, v1
	s_waitcnt lgkmcnt(3)
	v_add_f32_e32 v1, v5, v2
	s_waitcnt lgkmcnt(2)
	v_add_f32_e32 v2, v6, v9
	;; [unrolled: 2-line block ×4, first 2 shown]
	ds_bpermute_b32 v7, v12, v1
	ds_bpermute_b32 v8, v12, v2
	;; [unrolled: 1-line block ×4, first 2 shown]
	s_and_b32 exec_lo, exec_lo, vcc_lo
	s_cbranch_execz .LBB117_10
; %bb.40:
	s_load_dwordx2 s[0:1], s[4:5], 0x58
	s_waitcnt lgkmcnt(0)
	v_add_f32_e32 v0, v1, v7
	v_add_f32_e32 v1, v2, v8
	;; [unrolled: 1-line block ×4, first 2 shown]
	v_cmp_eq_f32_e64 s4, s2, 0
	v_lshlrev_b64 v[4:5], 4, v[3:4]
	v_mul_f32_e32 v0, s16, v0
	v_mul_f32_e32 v1, s16, v1
	;; [unrolled: 1-line block ×4, first 2 shown]
	s_and_b32 vcc_lo, exec_lo, s4
	s_cbranch_vccz .LBB117_42
; %bb.41:
	v_add_co_u32 v6, vcc_lo, s0, v4
	v_add_co_ci_u32_e64 v7, null, s1, v5, vcc_lo
	s_mov_b32 s3, 0
	global_store_dwordx4 v[6:7], v[0:3], off
.LBB117_42:
	s_andn2_b32 vcc_lo, exec_lo, s3
	s_cbranch_vccnz .LBB117_10
; %bb.43:
	v_add_co_u32 v8, vcc_lo, s0, v4
	v_add_co_ci_u32_e64 v9, null, s1, v5, vcc_lo
	global_load_dwordx4 v[4:7], v[8:9], off
	s_waitcnt vmcnt(0)
	v_fmac_f32_e32 v0, s2, v4
	v_fmac_f32_e32 v1, s2, v5
	;; [unrolled: 1-line block ×4, first 2 shown]
	global_store_dwordx4 v[8:9], v[0:3], off
	s_endpgm
	.section	.rodata,"a",@progbits
	.p2align	6, 0x0
	.amdhsa_kernel _ZN9rocsparseL18bsrxmvn_4x4_kernelILj128ELj16Efll18rocsparse_bfloat16S1_fEEvT3_20rocsparse_direction_NS_24const_host_device_scalarIT1_EES2_PKS2_PKT2_SB_S8_PKT4_PKT5_S6_PT6_21rocsparse_index_base_b
		.amdhsa_group_segment_fixed_size 0
		.amdhsa_private_segment_fixed_size 0
		.amdhsa_kernarg_size 104
		.amdhsa_user_sgpr_count 6
		.amdhsa_user_sgpr_private_segment_buffer 1
		.amdhsa_user_sgpr_dispatch_ptr 0
		.amdhsa_user_sgpr_queue_ptr 0
		.amdhsa_user_sgpr_kernarg_segment_ptr 1
		.amdhsa_user_sgpr_dispatch_id 0
		.amdhsa_user_sgpr_flat_scratch_init 0
		.amdhsa_user_sgpr_private_segment_size 0
		.amdhsa_wavefront_size32 1
		.amdhsa_uses_dynamic_stack 0
		.amdhsa_system_sgpr_private_segment_wavefront_offset 0
		.amdhsa_system_sgpr_workgroup_id_x 1
		.amdhsa_system_sgpr_workgroup_id_y 0
		.amdhsa_system_sgpr_workgroup_id_z 0
		.amdhsa_system_sgpr_workgroup_info 0
		.amdhsa_system_vgpr_workitem_id 0
		.amdhsa_next_free_vgpr 96
		.amdhsa_next_free_sgpr 20
		.amdhsa_reserve_vcc 1
		.amdhsa_reserve_flat_scratch 0
		.amdhsa_float_round_mode_32 0
		.amdhsa_float_round_mode_16_64 0
		.amdhsa_float_denorm_mode_32 3
		.amdhsa_float_denorm_mode_16_64 3
		.amdhsa_dx10_clamp 1
		.amdhsa_ieee_mode 1
		.amdhsa_fp16_overflow 0
		.amdhsa_workgroup_processor_mode 1
		.amdhsa_memory_ordered 1
		.amdhsa_forward_progress 1
		.amdhsa_shared_vgpr_count 0
		.amdhsa_exception_fp_ieee_invalid_op 0
		.amdhsa_exception_fp_denorm_src 0
		.amdhsa_exception_fp_ieee_div_zero 0
		.amdhsa_exception_fp_ieee_overflow 0
		.amdhsa_exception_fp_ieee_underflow 0
		.amdhsa_exception_fp_ieee_inexact 0
		.amdhsa_exception_int_div_zero 0
	.end_amdhsa_kernel
	.section	.text._ZN9rocsparseL18bsrxmvn_4x4_kernelILj128ELj16Efll18rocsparse_bfloat16S1_fEEvT3_20rocsparse_direction_NS_24const_host_device_scalarIT1_EES2_PKS2_PKT2_SB_S8_PKT4_PKT5_S6_PT6_21rocsparse_index_base_b,"axG",@progbits,_ZN9rocsparseL18bsrxmvn_4x4_kernelILj128ELj16Efll18rocsparse_bfloat16S1_fEEvT3_20rocsparse_direction_NS_24const_host_device_scalarIT1_EES2_PKS2_PKT2_SB_S8_PKT4_PKT5_S6_PT6_21rocsparse_index_base_b,comdat
.Lfunc_end117:
	.size	_ZN9rocsparseL18bsrxmvn_4x4_kernelILj128ELj16Efll18rocsparse_bfloat16S1_fEEvT3_20rocsparse_direction_NS_24const_host_device_scalarIT1_EES2_PKS2_PKT2_SB_S8_PKT4_PKT5_S6_PT6_21rocsparse_index_base_b, .Lfunc_end117-_ZN9rocsparseL18bsrxmvn_4x4_kernelILj128ELj16Efll18rocsparse_bfloat16S1_fEEvT3_20rocsparse_direction_NS_24const_host_device_scalarIT1_EES2_PKS2_PKT2_SB_S8_PKT4_PKT5_S6_PT6_21rocsparse_index_base_b
                                        ; -- End function
	.set _ZN9rocsparseL18bsrxmvn_4x4_kernelILj128ELj16Efll18rocsparse_bfloat16S1_fEEvT3_20rocsparse_direction_NS_24const_host_device_scalarIT1_EES2_PKS2_PKT2_SB_S8_PKT4_PKT5_S6_PT6_21rocsparse_index_base_b.num_vgpr, 96
	.set _ZN9rocsparseL18bsrxmvn_4x4_kernelILj128ELj16Efll18rocsparse_bfloat16S1_fEEvT3_20rocsparse_direction_NS_24const_host_device_scalarIT1_EES2_PKS2_PKT2_SB_S8_PKT4_PKT5_S6_PT6_21rocsparse_index_base_b.num_agpr, 0
	.set _ZN9rocsparseL18bsrxmvn_4x4_kernelILj128ELj16Efll18rocsparse_bfloat16S1_fEEvT3_20rocsparse_direction_NS_24const_host_device_scalarIT1_EES2_PKS2_PKT2_SB_S8_PKT4_PKT5_S6_PT6_21rocsparse_index_base_b.numbered_sgpr, 20
	.set _ZN9rocsparseL18bsrxmvn_4x4_kernelILj128ELj16Efll18rocsparse_bfloat16S1_fEEvT3_20rocsparse_direction_NS_24const_host_device_scalarIT1_EES2_PKS2_PKT2_SB_S8_PKT4_PKT5_S6_PT6_21rocsparse_index_base_b.num_named_barrier, 0
	.set _ZN9rocsparseL18bsrxmvn_4x4_kernelILj128ELj16Efll18rocsparse_bfloat16S1_fEEvT3_20rocsparse_direction_NS_24const_host_device_scalarIT1_EES2_PKS2_PKT2_SB_S8_PKT4_PKT5_S6_PT6_21rocsparse_index_base_b.private_seg_size, 0
	.set _ZN9rocsparseL18bsrxmvn_4x4_kernelILj128ELj16Efll18rocsparse_bfloat16S1_fEEvT3_20rocsparse_direction_NS_24const_host_device_scalarIT1_EES2_PKS2_PKT2_SB_S8_PKT4_PKT5_S6_PT6_21rocsparse_index_base_b.uses_vcc, 1
	.set _ZN9rocsparseL18bsrxmvn_4x4_kernelILj128ELj16Efll18rocsparse_bfloat16S1_fEEvT3_20rocsparse_direction_NS_24const_host_device_scalarIT1_EES2_PKS2_PKT2_SB_S8_PKT4_PKT5_S6_PT6_21rocsparse_index_base_b.uses_flat_scratch, 0
	.set _ZN9rocsparseL18bsrxmvn_4x4_kernelILj128ELj16Efll18rocsparse_bfloat16S1_fEEvT3_20rocsparse_direction_NS_24const_host_device_scalarIT1_EES2_PKS2_PKT2_SB_S8_PKT4_PKT5_S6_PT6_21rocsparse_index_base_b.has_dyn_sized_stack, 0
	.set _ZN9rocsparseL18bsrxmvn_4x4_kernelILj128ELj16Efll18rocsparse_bfloat16S1_fEEvT3_20rocsparse_direction_NS_24const_host_device_scalarIT1_EES2_PKS2_PKT2_SB_S8_PKT4_PKT5_S6_PT6_21rocsparse_index_base_b.has_recursion, 0
	.set _ZN9rocsparseL18bsrxmvn_4x4_kernelILj128ELj16Efll18rocsparse_bfloat16S1_fEEvT3_20rocsparse_direction_NS_24const_host_device_scalarIT1_EES2_PKS2_PKT2_SB_S8_PKT4_PKT5_S6_PT6_21rocsparse_index_base_b.has_indirect_call, 0
	.section	.AMDGPU.csdata,"",@progbits
; Kernel info:
; codeLenInByte = 4720
; TotalNumSgprs: 22
; NumVgprs: 96
; ScratchSize: 0
; MemoryBound: 0
; FloatMode: 240
; IeeeMode: 1
; LDSByteSize: 0 bytes/workgroup (compile time only)
; SGPRBlocks: 0
; VGPRBlocks: 11
; NumSGPRsForWavesPerEU: 22
; NumVGPRsForWavesPerEU: 96
; Occupancy: 10
; WaveLimiterHint : 1
; COMPUTE_PGM_RSRC2:SCRATCH_EN: 0
; COMPUTE_PGM_RSRC2:USER_SGPR: 6
; COMPUTE_PGM_RSRC2:TRAP_HANDLER: 0
; COMPUTE_PGM_RSRC2:TGID_X_EN: 1
; COMPUTE_PGM_RSRC2:TGID_Y_EN: 0
; COMPUTE_PGM_RSRC2:TGID_Z_EN: 0
; COMPUTE_PGM_RSRC2:TIDIG_COMP_CNT: 0
	.section	.text._ZN9rocsparseL18bsrxmvn_4x4_kernelILj128ELj32Efll18rocsparse_bfloat16S1_fEEvT3_20rocsparse_direction_NS_24const_host_device_scalarIT1_EES2_PKS2_PKT2_SB_S8_PKT4_PKT5_S6_PT6_21rocsparse_index_base_b,"axG",@progbits,_ZN9rocsparseL18bsrxmvn_4x4_kernelILj128ELj32Efll18rocsparse_bfloat16S1_fEEvT3_20rocsparse_direction_NS_24const_host_device_scalarIT1_EES2_PKS2_PKT2_SB_S8_PKT4_PKT5_S6_PT6_21rocsparse_index_base_b,comdat
	.globl	_ZN9rocsparseL18bsrxmvn_4x4_kernelILj128ELj32Efll18rocsparse_bfloat16S1_fEEvT3_20rocsparse_direction_NS_24const_host_device_scalarIT1_EES2_PKS2_PKT2_SB_S8_PKT4_PKT5_S6_PT6_21rocsparse_index_base_b ; -- Begin function _ZN9rocsparseL18bsrxmvn_4x4_kernelILj128ELj32Efll18rocsparse_bfloat16S1_fEEvT3_20rocsparse_direction_NS_24const_host_device_scalarIT1_EES2_PKS2_PKT2_SB_S8_PKT4_PKT5_S6_PT6_21rocsparse_index_base_b
	.p2align	8
	.type	_ZN9rocsparseL18bsrxmvn_4x4_kernelILj128ELj32Efll18rocsparse_bfloat16S1_fEEvT3_20rocsparse_direction_NS_24const_host_device_scalarIT1_EES2_PKS2_PKT2_SB_S8_PKT4_PKT5_S6_PT6_21rocsparse_index_base_b,@function
_ZN9rocsparseL18bsrxmvn_4x4_kernelILj128ELj32Efll18rocsparse_bfloat16S1_fEEvT3_20rocsparse_direction_NS_24const_host_device_scalarIT1_EES2_PKS2_PKT2_SB_S8_PKT4_PKT5_S6_PT6_21rocsparse_index_base_b: ; @_ZN9rocsparseL18bsrxmvn_4x4_kernelILj128ELj32Efll18rocsparse_bfloat16S1_fEEvT3_20rocsparse_direction_NS_24const_host_device_scalarIT1_EES2_PKS2_PKT2_SB_S8_PKT4_PKT5_S6_PT6_21rocsparse_index_base_b
; %bb.0:
	s_clause 0x2
	s_load_dwordx2 s[0:1], s[4:5], 0x60
	s_load_dwordx4 s[16:19], s[4:5], 0x10
	s_load_dwordx2 s[2:3], s[4:5], 0x50
	s_waitcnt lgkmcnt(0)
	s_bitcmp1_b32 s1, 0
	s_cselect_b32 s1, -1, 0
	s_and_b32 vcc_lo, exec_lo, s1
	s_xor_b32 s1, s1, -1
	s_cbranch_vccnz .LBB118_2
; %bb.1:
	s_load_dword s16, s[16:17], 0x0
.LBB118_2:
	s_andn2_b32 vcc_lo, exec_lo, s1
	s_cbranch_vccnz .LBB118_4
; %bb.3:
	s_load_dword s2, s[2:3], 0x0
.LBB118_4:
	s_waitcnt lgkmcnt(0)
	v_cmp_neq_f32_e64 s1, s16, 0
	v_cmp_neq_f32_e64 s3, s2, 1.0
	s_or_b32 s1, s1, s3
	s_mov_b32 s3, 0
	s_andn2_b32 vcc_lo, exec_lo, s1
	s_cbranch_vccnz .LBB118_10
; %bb.5:
	s_load_dwordx2 s[8:9], s[4:5], 0x20
	v_lshrrev_b32_e32 v1, 5, v0
	v_mov_b32_e32 v6, 0
	v_lshl_or_b32 v5, s6, 2, v1
	s_waitcnt lgkmcnt(0)
	s_cmp_lg_u64 s[8:9], 0
	s_cbranch_scc0 .LBB118_11
; %bb.6:
	s_mov_b32 s6, 0
                                        ; implicit-def: $vgpr3_vgpr4
                                        ; implicit-def: $vgpr1_vgpr2
	s_mov_b32 s1, exec_lo
	v_cmpx_gt_i64_e64 s[18:19], v[5:6]
	s_xor_b32 s7, exec_lo, s1
	s_cbranch_execz .LBB118_8
; %bb.7:
	v_lshlrev_b64 v[1:2], 3, v[5:6]
	s_mov_b32 s1, 0
	s_mov_b32 s3, exec_lo
	v_add_co_u32 v1, vcc_lo, s8, v1
	v_add_co_ci_u32_e64 v2, null, s9, v2, vcc_lo
	global_load_dwordx2 v[1:2], v[1:2], off
	s_waitcnt vmcnt(0)
	v_sub_co_u32 v3, vcc_lo, v1, s0
	v_subrev_co_ci_u32_e64 v4, null, 0, v2, vcc_lo
	v_mov_b32_e32 v2, s1
	v_mov_b32_e32 v1, s0
.LBB118_8:
	s_or_b32 exec_lo, exec_lo, s7
	s_and_b32 vcc_lo, exec_lo, s6
	s_cbranch_vccnz .LBB118_12
.LBB118_9:
	s_and_saveexec_b32 s0, s3
	s_cbranch_execnz .LBB118_15
.LBB118_10:
	s_endpgm
.LBB118_11:
                                        ; implicit-def: $vgpr3_vgpr4
                                        ; implicit-def: $vgpr1_vgpr2
	s_cbranch_execz .LBB118_9
.LBB118_12:
	s_load_dwordx2 s[6:7], s[4:5], 0x0
	s_waitcnt lgkmcnt(0)
	v_cmp_gt_i64_e32 vcc_lo, s[6:7], v[5:6]
	s_and_saveexec_b32 s6, vcc_lo
; %bb.13:
	s_mov_b32 s1, 0
	s_or_b32 s3, s3, exec_lo
; %bb.14:
	s_or_b32 exec_lo, exec_lo, s6
	v_mov_b32_e32 v2, s1
	v_mov_b32_e32 v3, v5
	;; [unrolled: 1-line block ×4, first 2 shown]
	s_and_saveexec_b32 s0, s3
	s_cbranch_execz .LBB118_10
.LBB118_15:
	s_load_dwordx8 s[8:15], s[4:5], 0x28
	v_lshlrev_b64 v[5:6], 3, v[3:4]
	v_and_b32_e32 v0, 31, v0
	s_clause 0x1
	s_load_dword s1, s[4:5], 0x8
	s_load_dwordx2 s[6:7], s[4:5], 0x48
	v_mov_b32_e32 v25, 0
	s_waitcnt lgkmcnt(0)
	v_add_co_u32 v7, vcc_lo, s8, v5
	v_add_co_ci_u32_e64 v8, null, s9, v6, vcc_lo
	v_add_co_u32 v5, vcc_lo, s10, v5
	v_add_co_ci_u32_e64 v6, null, s11, v6, vcc_lo
	v_add_co_u32 v9, vcc_lo, v7, 8
	global_load_dwordx2 v[13:14], v[7:8], off
	v_add_co_ci_u32_e64 v10, null, 0, v8, vcc_lo
	s_cmp_eq_u64 s[10:11], 0
	s_cselect_b32 vcc_lo, -1, 0
	s_cmp_eq_u32 s1, 1
	v_cndmask_b32_e32 v6, v6, v10, vcc_lo
	v_cndmask_b32_e32 v5, v5, v9, vcc_lo
	global_load_dwordx2 v[7:8], v[5:6], off
	s_waitcnt vmcnt(1)
	v_sub_co_u32 v5, vcc_lo, v13, v1
	v_sub_co_ci_u32_e64 v6, null, v14, v2, vcc_lo
	v_add_co_u32 v5, vcc_lo, v5, v0
	v_add_co_ci_u32_e64 v6, null, 0, v6, vcc_lo
	v_lshlrev_b64 v[9:10], 5, v[5:6]
	s_waitcnt vmcnt(0)
	v_sub_co_u32 v7, vcc_lo, v7, v1
	v_sub_co_ci_u32_e64 v8, null, v8, v2, vcc_lo
	v_add_co_u32 v9, vcc_lo, s14, v9
	v_cmp_lt_i64_e64 s0, v[5:6], v[7:8]
	v_add_co_ci_u32_e64 v10, null, s15, v10, vcc_lo
	s_cbranch_scc1 .LBB118_27
; %bb.16:
	v_mov_b32_e32 v26, 0
	v_mov_b32_e32 v27, 0
	;; [unrolled: 1-line block ×3, first 2 shown]
	s_and_saveexec_b32 s3, s0
	s_cbranch_execz .LBB118_26
; %bb.17:
	v_or_b32_e32 v11, 32, v0
	v_not_b32_e32 v16, v13
	v_sub_co_u32 v17, s1, v1, v0
	v_not_b32_e32 v15, v14
	v_sub_co_u32 v11, vcc_lo, v11, v1
	v_sub_co_ci_u32_e64 v12, null, 0, v2, vcc_lo
	v_subrev_co_ci_u32_e64 v18, null, 0, v2, s1
	v_add_co_u32 v11, vcc_lo, v11, v13
	v_add_co_ci_u32_e64 v12, null, v12, v14, vcc_lo
	s_mov_b32 s1, exec_lo
	v_cmp_gt_i64_e32 vcc_lo, v[11:12], v[7:8]
	v_cndmask_b32_e32 v20, v8, v12, vcc_lo
	v_cndmask_b32_e32 v11, v7, v11, vcc_lo
	v_add_co_u32 v12, vcc_lo, v17, v16
	v_add_co_ci_u32_e64 v15, null, v18, v15, vcc_lo
	v_mov_b32_e32 v18, v10
	v_add_co_u32 v19, vcc_lo, v12, v11
	v_mov_b32_e32 v12, 0
	v_add_co_ci_u32_e64 v20, null, v15, v20, vcc_lo
	v_mov_b32_e32 v16, v6
	v_and_b32_e32 v11, 0x60, v19
	v_mov_b32_e32 v27, v12
	v_mov_b32_e32 v26, v12
	;; [unrolled: 1-line block ×5, first 2 shown]
	v_cmpx_ne_u64_e32 0x60, v[11:12]
	s_cbranch_execz .LBB118_21
; %bb.18:
	v_lshrrev_b32_e32 v11, 5, v19
	v_mov_b32_e32 v18, v10
	v_mov_b32_e32 v16, v6
	;; [unrolled: 1-line block ×4, first 2 shown]
	v_add_nc_u32_e32 v21, 1, v11
	v_lshlrev_b64 v[11:12], 3, v[5:6]
	v_mov_b32_e32 v15, v5
	v_mov_b32_e32 v26, 0
	v_mov_b32_e32 v27, 0
	v_and_b32_e32 v23, 3, v21
	v_add_co_u32 v21, vcc_lo, s12, v11
	v_add_co_ci_u32_e64 v22, null, s13, v12, vcc_lo
	v_sub_co_u32 v23, s8, 0, v23
	v_sub_co_ci_u32_e64 v24, null, 0, 0, s8
	v_mov_b32_e32 v12, 0
	s_mov_b32 s8, 0
.LBB118_19:                             ; =>This Inner Loop Header: Depth=1
	global_load_dwordx2 v[32:33], v[21:22], off
	global_load_dwordx4 v[28:31], v[17:18], off
	s_waitcnt vmcnt(1)
	v_sub_co_u32 v32, vcc_lo, v32, v1
	v_sub_co_ci_u32_e64 v33, null, v33, v2, vcc_lo
	s_waitcnt vmcnt(0)
	v_lshlrev_b32_e32 v11, 16, v28
	v_lshlrev_b32_e32 v39, 16, v30
	v_and_b32_e32 v28, 0xffff0000, v28
	v_lshlrev_b64 v[32:33], 3, v[32:33]
	v_and_b32_e32 v30, 0xffff0000, v30
	v_lshlrev_b32_e32 v38, 16, v29
	v_lshlrev_b32_e32 v40, 16, v31
	v_and_b32_e32 v29, 0xffff0000, v29
	v_and_b32_e32 v31, 0xffff0000, v31
	v_add_co_u32 v36, vcc_lo, s6, v32
	v_add_co_ci_u32_e64 v37, null, s7, v33, vcc_lo
	global_load_dwordx4 v[32:35], v[17:18], off offset:16
	global_load_dwordx2 v[36:37], v[36:37], off
	v_add_co_u32 v17, vcc_lo, 0x400, v17
	v_add_co_ci_u32_e64 v18, null, 0, v18, vcc_lo
	v_add_co_u32 v15, vcc_lo, v15, 32
	v_add_co_ci_u32_e64 v16, null, 0, v16, vcc_lo
	;; [unrolled: 2-line block ×4, first 2 shown]
	v_cmp_eq_u64_e32 vcc_lo, 0, v[23:24]
	s_or_b32 s8, vcc_lo, s8
	s_waitcnt vmcnt(1)
	v_lshlrev_b32_e32 v41, 16, v32
	v_lshlrev_b32_e32 v43, 16, v34
	s_waitcnt vmcnt(0)
	v_lshlrev_b32_e32 v45, 16, v36
	v_and_b32_e32 v32, 0xffff0000, v32
	v_and_b32_e32 v34, 0xffff0000, v34
	v_and_b32_e32 v36, 0xffff0000, v36
	v_lshlrev_b32_e32 v42, 16, v33
	v_fmac_f32_e32 v12, v11, v45
	v_fmac_f32_e32 v27, v39, v45
	v_fmac_f32_e32 v26, v41, v45
	v_fmac_f32_e32 v25, v43, v45
	v_lshlrev_b32_e32 v44, 16, v35
	v_lshlrev_b32_e32 v11, 16, v37
	v_fmac_f32_e32 v12, v28, v36
	v_fmac_f32_e32 v27, v30, v36
	;; [unrolled: 1-line block ×4, first 2 shown]
	v_and_b32_e32 v33, 0xffff0000, v33
	v_and_b32_e32 v35, 0xffff0000, v35
	;; [unrolled: 1-line block ×3, first 2 shown]
	v_fmac_f32_e32 v12, v38, v11
	v_fmac_f32_e32 v27, v40, v11
	v_fmac_f32_e32 v26, v42, v11
	v_fmac_f32_e32 v25, v44, v11
	v_fmac_f32_e32 v12, v29, v28
	v_fmac_f32_e32 v27, v31, v28
	v_fmac_f32_e32 v26, v33, v28
	v_fmac_f32_e32 v25, v35, v28
	s_andn2_b32 exec_lo, exec_lo, s8
	s_cbranch_execnz .LBB118_19
; %bb.20:
	s_or_b32 exec_lo, exec_lo, s8
.LBB118_21:
	s_or_b32 exec_lo, exec_lo, s1
	s_mov_b32 s8, exec_lo
	v_cmpx_lt_u64_e32 0x5f, v[19:20]
	s_cbranch_execz .LBB118_25
; %bb.22:
	v_lshlrev_b64 v[19:20], 3, v[15:16]
	s_mov_b32 s9, 0
	v_add_co_u32 v11, vcc_lo, s12, v19
	v_add_co_ci_u32_e64 v20, null, s13, v20, vcc_lo
	v_add_co_u32 v19, vcc_lo, 0x200, v11
	v_add_co_ci_u32_e64 v20, null, 0, v20, vcc_lo
.LBB118_23:                             ; =>This Inner Loop Header: Depth=1
	s_clause 0x3
	global_load_dwordx2 v[56:57], v[19:20], off offset:-512
	global_load_dwordx2 v[58:59], v[19:20], off offset:-256
	global_load_dwordx2 v[60:61], v[19:20], off
	global_load_dwordx2 v[62:63], v[19:20], off offset:256
	s_clause 0x3
	global_load_dwordx4 v[21:24], v[17:18], off
	global_load_dwordx4 v[28:31], v[17:18], off offset:16
	global_load_dwordx4 v[32:35], v[17:18], off offset:1024
	global_load_dwordx4 v[36:39], v[17:18], off offset:1040
	v_add_co_u32 v52, vcc_lo, 0x800, v17
	v_add_co_ci_u32_e64 v53, null, 0, v18, vcc_lo
	s_clause 0x3
	global_load_dwordx4 v[40:43], v[52:53], off
	global_load_dwordx4 v[44:47], v[52:53], off offset:16
	global_load_dwordx4 v[48:51], v[52:53], off offset:1024
	;; [unrolled: 1-line block ×3, first 2 shown]
	s_waitcnt vmcnt(11)
	v_sub_co_u32 v56, vcc_lo, v56, v1
	v_sub_co_ci_u32_e64 v57, null, v57, v2, vcc_lo
	s_waitcnt vmcnt(10)
	v_sub_co_u32 v58, vcc_lo, v58, v1
	v_sub_co_ci_u32_e64 v59, null, v59, v2, vcc_lo
	v_lshlrev_b64 v[56:57], 3, v[56:57]
	s_waitcnt vmcnt(7)
	v_lshlrev_b32_e32 v11, 16, v21
	v_lshlrev_b32_e32 v65, 16, v23
	v_lshlrev_b64 v[58:59], 3, v[58:59]
	s_waitcnt vmcnt(6)
	v_lshlrev_b32_e32 v67, 16, v28
	v_lshlrev_b32_e32 v69, 16, v30
	v_add_co_u32 v56, vcc_lo, s6, v56
	v_add_co_ci_u32_e64 v57, null, s7, v57, vcc_lo
	v_sub_co_u32 v60, vcc_lo, v60, v1
	v_sub_co_ci_u32_e64 v61, null, v61, v2, vcc_lo
	global_load_dwordx2 v[56:57], v[56:57], off
	v_add_co_u32 v58, vcc_lo, s6, v58
	v_add_co_ci_u32_e64 v59, null, s7, v59, vcc_lo
	v_lshlrev_b64 v[60:61], 3, v[60:61]
	v_sub_co_u32 v62, vcc_lo, v62, v1
	global_load_dwordx2 v[58:59], v[58:59], off
	v_sub_co_ci_u32_e64 v63, null, v63, v2, vcc_lo
	v_add_co_u32 v60, s1, s6, v60
	v_add_co_ci_u32_e64 v61, null, s7, v61, s1
	v_lshlrev_b64 v[62:63], 3, v[62:63]
	v_and_b32_e32 v21, 0xffff0000, v21
	v_and_b32_e32 v23, 0xffff0000, v23
	global_load_dwordx2 v[60:61], v[60:61], off
	v_and_b32_e32 v28, 0xffff0000, v28
	v_and_b32_e32 v30, 0xffff0000, v30
	v_add_co_u32 v62, vcc_lo, s6, v62
	v_add_co_ci_u32_e64 v63, null, s7, v63, vcc_lo
	v_lshlrev_b32_e32 v64, 16, v22
	v_lshlrev_b32_e32 v66, 16, v24
	;; [unrolled: 1-line block ×3, first 2 shown]
	global_load_dwordx2 v[62:63], v[62:63], off
	v_lshlrev_b32_e32 v70, 16, v31
	v_and_b32_e32 v22, 0xffff0000, v22
	v_and_b32_e32 v24, 0xffff0000, v24
	;; [unrolled: 1-line block ×4, first 2 shown]
	s_waitcnt vmcnt(9)
	v_lshlrev_b32_e32 v71, 16, v32
	v_lshlrev_b32_e32 v73, 16, v34
	s_waitcnt vmcnt(8)
	v_lshlrev_b32_e32 v75, 16, v36
	v_lshlrev_b32_e32 v77, 16, v38
	v_and_b32_e32 v32, 0xffff0000, v32
	v_and_b32_e32 v34, 0xffff0000, v34
	;; [unrolled: 1-line block ×4, first 2 shown]
	v_lshlrev_b32_e32 v72, 16, v33
	v_lshlrev_b32_e32 v74, 16, v35
	;; [unrolled: 1-line block ×4, first 2 shown]
	v_and_b32_e32 v33, 0xffff0000, v33
	v_and_b32_e32 v35, 0xffff0000, v35
	;; [unrolled: 1-line block ×4, first 2 shown]
	s_waitcnt vmcnt(7)
	v_lshlrev_b32_e32 v79, 16, v40
	v_lshlrev_b32_e32 v81, 16, v42
	s_waitcnt vmcnt(6)
	v_lshlrev_b32_e32 v83, 16, v44
	v_lshlrev_b32_e32 v85, 16, v46
	v_and_b32_e32 v40, 0xffff0000, v40
	v_and_b32_e32 v42, 0xffff0000, v42
	v_and_b32_e32 v44, 0xffff0000, v44
	v_and_b32_e32 v46, 0xffff0000, v46
	v_lshlrev_b32_e32 v80, 16, v41
	v_lshlrev_b32_e32 v82, 16, v43
	;; [unrolled: 1-line block ×4, first 2 shown]
	v_and_b32_e32 v41, 0xffff0000, v41
	v_and_b32_e32 v43, 0xffff0000, v43
	;; [unrolled: 1-line block ×4, first 2 shown]
	s_waitcnt vmcnt(5)
	v_lshlrev_b32_e32 v87, 16, v48
	v_lshlrev_b32_e32 v89, 16, v50
	s_waitcnt vmcnt(4)
	v_lshlrev_b32_e32 v91, 16, v52
	v_lshlrev_b32_e32 v93, 16, v54
	v_and_b32_e32 v48, 0xffff0000, v48
	v_and_b32_e32 v50, 0xffff0000, v50
	;; [unrolled: 1-line block ×4, first 2 shown]
	v_add_co_u32 v15, vcc_lo, 0x80, v15
	v_lshlrev_b32_e32 v88, 16, v49
	v_lshlrev_b32_e32 v90, 16, v51
	;; [unrolled: 1-line block ×4, first 2 shown]
	v_add_co_ci_u32_e64 v16, null, 0, v16, vcc_lo
	v_add_co_u32 v19, vcc_lo, 0x400, v19
	v_add_co_ci_u32_e64 v20, null, 0, v20, vcc_lo
	v_add_co_u32 v17, vcc_lo, 0x1000, v17
	v_and_b32_e32 v49, 0xffff0000, v49
	v_and_b32_e32 v51, 0xffff0000, v51
	;; [unrolled: 1-line block ×4, first 2 shown]
	v_add_co_ci_u32_e64 v18, null, 0, v18, vcc_lo
	v_cmp_ge_i64_e32 vcc_lo, v[15:16], v[7:8]
	s_or_b32 s9, vcc_lo, s9
	s_waitcnt vmcnt(3)
	v_lshlrev_b32_e32 v95, 16, v56
	v_and_b32_e32 v56, 0xffff0000, v56
	v_fmac_f32_e32 v12, v11, v95
	v_fmac_f32_e32 v27, v65, v95
	v_fmac_f32_e32 v26, v67, v95
	v_fmac_f32_e32 v25, v69, v95
	v_lshlrev_b32_e32 v11, 16, v57
	v_fmac_f32_e32 v12, v21, v56
	v_fmac_f32_e32 v27, v23, v56
	v_fmac_f32_e32 v26, v28, v56
	v_fmac_f32_e32 v25, v30, v56
	v_and_b32_e32 v21, 0xffff0000, v57
	v_fmac_f32_e32 v12, v64, v11
	v_fmac_f32_e32 v27, v66, v11
	v_fmac_f32_e32 v26, v68, v11
	v_fmac_f32_e32 v25, v70, v11
	s_waitcnt vmcnt(2)
	v_lshlrev_b32_e32 v11, 16, v58
	v_fmac_f32_e32 v12, v22, v21
	v_fmac_f32_e32 v27, v24, v21
	v_fmac_f32_e32 v26, v29, v21
	v_fmac_f32_e32 v25, v31, v21
	v_and_b32_e32 v21, 0xffff0000, v58
	v_fmac_f32_e32 v12, v71, v11
	v_fmac_f32_e32 v27, v73, v11
	v_fmac_f32_e32 v26, v75, v11
	v_fmac_f32_e32 v25, v77, v11
	v_lshlrev_b32_e32 v11, 16, v59
	v_fmac_f32_e32 v12, v32, v21
	v_fmac_f32_e32 v27, v34, v21
	v_fmac_f32_e32 v26, v36, v21
	v_fmac_f32_e32 v25, v38, v21
	v_and_b32_e32 v21, 0xffff0000, v59
	v_fmac_f32_e32 v12, v72, v11
	v_fmac_f32_e32 v27, v74, v11
	v_fmac_f32_e32 v26, v76, v11
	v_fmac_f32_e32 v25, v78, v11
	s_waitcnt vmcnt(1)
	v_lshlrev_b32_e32 v11, 16, v60
	v_fmac_f32_e32 v12, v33, v21
	v_fmac_f32_e32 v27, v35, v21
	v_fmac_f32_e32 v26, v37, v21
	v_fmac_f32_e32 v25, v39, v21
	;; [unrolled: 21-line block ×3, first 2 shown]
	v_and_b32_e32 v21, 0xffff0000, v62
	v_fmac_f32_e32 v12, v87, v11
	v_fmac_f32_e32 v27, v89, v11
	;; [unrolled: 1-line block ×4, first 2 shown]
	v_lshlrev_b32_e32 v11, 16, v63
	v_fmac_f32_e32 v12, v48, v21
	v_fmac_f32_e32 v27, v50, v21
	;; [unrolled: 1-line block ×4, first 2 shown]
	v_and_b32_e32 v21, 0xffff0000, v63
	v_fmac_f32_e32 v12, v88, v11
	v_fmac_f32_e32 v27, v90, v11
	;; [unrolled: 1-line block ×8, first 2 shown]
	s_andn2_b32 exec_lo, exec_lo, s9
	s_cbranch_execnz .LBB118_23
; %bb.24:
	s_or_b32 exec_lo, exec_lo, s9
.LBB118_25:
	s_or_b32 exec_lo, exec_lo, s8
.LBB118_26:
	s_or_b32 exec_lo, exec_lo, s3
	s_cbranch_execz .LBB118_28
	s_branch .LBB118_39
.LBB118_27:
                                        ; implicit-def: $vgpr25
                                        ; implicit-def: $vgpr26
                                        ; implicit-def: $vgpr27
                                        ; implicit-def: $vgpr12
.LBB118_28:
	v_mov_b32_e32 v25, 0
	v_mov_b32_e32 v26, 0
	;; [unrolled: 1-line block ×4, first 2 shown]
	s_and_saveexec_b32 s1, s0
	s_cbranch_execz .LBB118_38
; %bb.29:
	v_or_b32_e32 v11, 32, v0
	v_sub_co_u32 v15, s0, v1, v0
	v_subrev_co_ci_u32_e64 v16, null, 0, v2, s0
	v_sub_co_u32 v11, vcc_lo, v11, v1
	v_sub_co_ci_u32_e64 v12, null, 0, v2, vcc_lo
	s_mov_b32 s0, exec_lo
	v_add_co_u32 v11, vcc_lo, v11, v13
	v_add_co_ci_u32_e64 v12, null, v12, v14, vcc_lo
	v_not_b32_e32 v13, v13
	v_not_b32_e32 v14, v14
	v_cmp_gt_i64_e32 vcc_lo, v[11:12], v[7:8]
	v_cndmask_b32_e32 v17, v8, v12, vcc_lo
	v_cndmask_b32_e32 v11, v7, v11, vcc_lo
	v_add_co_u32 v12, vcc_lo, v15, v13
	v_add_co_ci_u32_e64 v14, null, v16, v14, vcc_lo
	v_add_co_u32 v13, vcc_lo, v12, v11
	v_mov_b32_e32 v12, 0
	v_add_co_ci_u32_e64 v14, null, v14, v17, vcc_lo
	v_and_b32_e32 v11, 0x60, v13
	v_mov_b32_e32 v27, v12
	v_mov_b32_e32 v26, v12
	;; [unrolled: 1-line block ×3, first 2 shown]
	v_cmpx_ne_u64_e32 0x60, v[11:12]
	s_cbranch_execz .LBB118_33
; %bb.30:
	v_lshrrev_b32_e32 v11, 5, v13
	v_mov_b32_e32 v25, 0
	v_mov_b32_e32 v26, 0
	;; [unrolled: 1-line block ×3, first 2 shown]
	v_add_nc_u32_e32 v15, 1, v11
	v_lshlrev_b64 v[11:12], 3, v[5:6]
	v_and_b32_e32 v17, 3, v15
	v_add_co_u32 v15, vcc_lo, s12, v11
	v_add_co_ci_u32_e64 v16, null, s13, v12, vcc_lo
	v_sub_co_u32 v17, s3, 0, v17
	v_sub_co_ci_u32_e64 v18, null, 0, 0, s3
	v_mov_b32_e32 v12, 0
	s_mov_b32 s3, 0
.LBB118_31:                             ; =>This Inner Loop Header: Depth=1
	global_load_dwordx2 v[23:24], v[15:16], off
	global_load_dwordx4 v[19:22], v[9:10], off
	s_waitcnt vmcnt(1)
	v_sub_co_u32 v23, vcc_lo, v23, v1
	v_sub_co_ci_u32_e64 v24, null, v24, v2, vcc_lo
	s_waitcnt vmcnt(0)
	v_lshlrev_b32_e32 v11, 16, v19
	v_and_b32_e32 v19, 0xffff0000, v19
	v_lshlrev_b32_e32 v32, 16, v20
	v_lshlrev_b64 v[23:24], 3, v[23:24]
	v_and_b32_e32 v20, 0xffff0000, v20
	v_lshlrev_b32_e32 v33, 16, v21
	v_and_b32_e32 v21, 0xffff0000, v21
	v_lshlrev_b32_e32 v34, 16, v22
	v_and_b32_e32 v22, 0xffff0000, v22
	v_add_co_u32 v23, vcc_lo, s6, v23
	v_add_co_ci_u32_e64 v24, null, s7, v24, vcc_lo
	global_load_dwordx2 v[23:24], v[23:24], off
	global_load_dwordx4 v[28:31], v[9:10], off offset:16
	v_add_co_u32 v9, vcc_lo, 0x400, v9
	v_add_co_ci_u32_e64 v10, null, 0, v10, vcc_lo
	v_add_co_u32 v5, vcc_lo, v5, 32
	v_add_co_ci_u32_e64 v6, null, 0, v6, vcc_lo
	v_add_co_u32 v15, vcc_lo, 0x100, v15
	v_add_co_ci_u32_e64 v16, null, 0, v16, vcc_lo
	v_add_co_u32 v17, vcc_lo, v17, 1
	v_add_co_ci_u32_e64 v18, null, 0, v18, vcc_lo
	v_cmp_eq_u64_e32 vcc_lo, 0, v[17:18]
	s_or_b32 s3, vcc_lo, s3
	s_waitcnt vmcnt(1)
	v_lshlrev_b32_e32 v39, 16, v23
	v_and_b32_e32 v23, 0xffff0000, v23
	s_waitcnt vmcnt(0)
	v_lshlrev_b32_e32 v35, 16, v28
	v_and_b32_e32 v28, 0xffff0000, v28
	v_lshlrev_b32_e32 v36, 16, v29
	v_fmac_f32_e32 v12, v11, v39
	v_fmac_f32_e32 v27, v19, v39
	;; [unrolled: 1-line block ×4, first 2 shown]
	v_and_b32_e32 v29, 0xffff0000, v29
	v_lshlrev_b32_e32 v11, 16, v24
	v_fmac_f32_e32 v12, v33, v23
	v_fmac_f32_e32 v27, v21, v23
	;; [unrolled: 1-line block ×4, first 2 shown]
	v_lshlrev_b32_e32 v37, 16, v30
	v_and_b32_e32 v30, 0xffff0000, v30
	v_lshlrev_b32_e32 v38, 16, v31
	v_and_b32_e32 v31, 0xffff0000, v31
	v_and_b32_e32 v19, 0xffff0000, v24
	v_fmac_f32_e32 v12, v35, v11
	v_fmac_f32_e32 v27, v28, v11
	;; [unrolled: 1-line block ×8, first 2 shown]
	s_andn2_b32 exec_lo, exec_lo, s3
	s_cbranch_execnz .LBB118_31
; %bb.32:
	s_or_b32 exec_lo, exec_lo, s3
.LBB118_33:
	s_or_b32 exec_lo, exec_lo, s0
	s_mov_b32 s0, exec_lo
	v_cmpx_lt_u64_e32 0x5f, v[13:14]
	s_cbranch_execz .LBB118_37
; %bb.34:
	v_lshlrev_b64 v[13:14], 3, v[5:6]
	s_mov_b32 s3, 0
	v_add_co_u32 v11, vcc_lo, s12, v13
	v_add_co_ci_u32_e64 v14, null, s13, v14, vcc_lo
	v_add_co_u32 v13, vcc_lo, 0x200, v11
	v_add_co_ci_u32_e64 v14, null, 0, v14, vcc_lo
.LBB118_35:                             ; =>This Inner Loop Header: Depth=1
	s_clause 0x3
	global_load_dwordx2 v[23:24], v[13:14], off offset:-512
	global_load_dwordx2 v[48:49], v[13:14], off offset:-256
	global_load_dwordx2 v[50:51], v[13:14], off
	global_load_dwordx2 v[52:53], v[13:14], off offset:256
	global_load_dwordx4 v[15:18], v[9:10], off
	v_add_co_u32 v54, vcc_lo, 0x800, v9
	v_add_co_ci_u32_e64 v55, null, 0, v10, vcc_lo
	s_clause 0x5
	global_load_dwordx4 v[19:22], v[9:10], off offset:16
	global_load_dwordx4 v[28:31], v[9:10], off offset:1024
	;; [unrolled: 1-line block ×3, first 2 shown]
	global_load_dwordx4 v[36:39], v[54:55], off
	global_load_dwordx4 v[40:43], v[54:55], off offset:16
	global_load_dwordx4 v[44:47], v[54:55], off offset:1024
	s_waitcnt vmcnt(10)
	v_sub_co_u32 v23, vcc_lo, v23, v1
	v_sub_co_ci_u32_e64 v24, null, v24, v2, vcc_lo
	s_waitcnt vmcnt(9)
	v_sub_co_u32 v48, vcc_lo, v48, v1
	v_sub_co_ci_u32_e64 v49, null, v49, v2, vcc_lo
	;; [unrolled: 3-line block ×3, first 2 shown]
	s_waitcnt vmcnt(7)
	v_sub_co_u32 v52, vcc_lo, v52, v1
	v_lshlrev_b64 v[23:24], 3, v[23:24]
	v_sub_co_ci_u32_e64 v53, null, v53, v2, vcc_lo
	v_lshlrev_b64 v[48:49], 3, v[48:49]
	v_lshlrev_b64 v[50:51], 3, v[50:51]
	s_waitcnt vmcnt(6)
	v_lshlrev_b32_e32 v11, 16, v15
	v_lshlrev_b64 v[52:53], 3, v[52:53]
	v_add_co_u32 v23, vcc_lo, s6, v23
	v_add_co_ci_u32_e64 v24, null, s7, v24, vcc_lo
	v_add_co_u32 v48, vcc_lo, s6, v48
	v_add_co_ci_u32_e64 v49, null, s7, v49, vcc_lo
	;; [unrolled: 2-line block ×4, first 2 shown]
	s_clause 0x3
	global_load_dwordx2 v[23:24], v[23:24], off
	global_load_dwordx2 v[56:57], v[48:49], off
	;; [unrolled: 1-line block ×4, first 2 shown]
	global_load_dwordx4 v[48:51], v[54:55], off offset:1040
	v_and_b32_e32 v15, 0xffff0000, v15
	v_lshlrev_b32_e32 v54, 16, v16
	v_and_b32_e32 v16, 0xffff0000, v16
	v_lshlrev_b32_e32 v55, 16, v17
	v_and_b32_e32 v17, 0xffff0000, v17
	v_lshlrev_b32_e32 v60, 16, v18
	v_and_b32_e32 v18, 0xffff0000, v18
	s_waitcnt vmcnt(10)
	v_lshlrev_b32_e32 v61, 16, v19
	v_and_b32_e32 v19, 0xffff0000, v19
	v_lshlrev_b32_e32 v62, 16, v20
	v_and_b32_e32 v20, 0xffff0000, v20
	v_lshlrev_b32_e32 v63, 16, v21
	v_and_b32_e32 v21, 0xffff0000, v21
	v_lshlrev_b32_e32 v64, 16, v22
	v_and_b32_e32 v22, 0xffff0000, v22
	s_waitcnt vmcnt(9)
	v_lshlrev_b32_e32 v65, 16, v28
	;; [unrolled: 9-line block ×6, first 2 shown]
	v_and_b32_e32 v44, 0xffff0000, v44
	v_lshlrev_b32_e32 v82, 16, v45
	v_and_b32_e32 v45, 0xffff0000, v45
	v_lshlrev_b32_e32 v83, 16, v46
	;; [unrolled: 2-line block ×3, first 2 shown]
	v_and_b32_e32 v47, 0xffff0000, v47
	v_add_co_u32 v5, vcc_lo, 0x80, v5
	v_add_co_ci_u32_e64 v6, null, 0, v6, vcc_lo
	v_add_co_u32 v13, vcc_lo, 0x400, v13
	v_add_co_ci_u32_e64 v14, null, 0, v14, vcc_lo
	;; [unrolled: 2-line block ×3, first 2 shown]
	v_cmp_ge_i64_e32 vcc_lo, v[5:6], v[7:8]
	s_or_b32 s3, vcc_lo, s3
	s_waitcnt vmcnt(4)
	v_lshlrev_b32_e32 v89, 16, v23
	v_and_b32_e32 v23, 0xffff0000, v23
	s_waitcnt vmcnt(0)
	v_lshlrev_b32_e32 v85, 16, v48
	v_fmac_f32_e32 v12, v11, v89
	v_fmac_f32_e32 v27, v15, v89
	v_fmac_f32_e32 v26, v54, v89
	v_fmac_f32_e32 v25, v16, v89
	v_lshlrev_b32_e32 v11, 16, v24
	v_fmac_f32_e32 v12, v55, v23
	v_fmac_f32_e32 v27, v17, v23
	v_fmac_f32_e32 v26, v60, v23
	v_fmac_f32_e32 v25, v18, v23
	v_and_b32_e32 v15, 0xffff0000, v24
	v_fmac_f32_e32 v12, v61, v11
	v_fmac_f32_e32 v27, v19, v11
	v_fmac_f32_e32 v26, v62, v11
	v_fmac_f32_e32 v25, v20, v11
	v_lshlrev_b32_e32 v11, 16, v56
	v_fmac_f32_e32 v12, v63, v15
	v_fmac_f32_e32 v27, v21, v15
	v_fmac_f32_e32 v26, v64, v15
	v_fmac_f32_e32 v25, v22, v15
	v_and_b32_e32 v15, 0xffff0000, v56
	;; [unrolled: 10-line block ×6, first 2 shown]
	v_fmac_f32_e32 v12, v81, v11
	v_fmac_f32_e32 v27, v44, v11
	;; [unrolled: 1-line block ×4, first 2 shown]
	v_and_b32_e32 v48, 0xffff0000, v48
	v_lshlrev_b32_e32 v86, 16, v49
	v_and_b32_e32 v49, 0xffff0000, v49
	v_lshlrev_b32_e32 v11, 16, v53
	v_fmac_f32_e32 v12, v83, v15
	v_fmac_f32_e32 v27, v46, v15
	;; [unrolled: 1-line block ×4, first 2 shown]
	v_lshlrev_b32_e32 v87, 16, v50
	v_and_b32_e32 v50, 0xffff0000, v50
	v_lshlrev_b32_e32 v88, 16, v51
	v_and_b32_e32 v51, 0xffff0000, v51
	v_and_b32_e32 v15, 0xffff0000, v53
	v_fmac_f32_e32 v12, v85, v11
	v_fmac_f32_e32 v27, v48, v11
	;; [unrolled: 1-line block ×8, first 2 shown]
	s_andn2_b32 exec_lo, exec_lo, s3
	s_cbranch_execnz .LBB118_35
; %bb.36:
	s_or_b32 exec_lo, exec_lo, s3
.LBB118_37:
	s_or_b32 exec_lo, exec_lo, s0
.LBB118_38:
	s_or_b32 exec_lo, exec_lo, s1
.LBB118_39:
	v_mbcnt_lo_u32_b32 v1, -1, 0
	s_mov_b32 s3, -1
	v_xor_b32_e32 v2, 16, v1
	v_xor_b32_e32 v8, 8, v1
	v_cmp_gt_i32_e32 vcc_lo, 32, v2
	v_cndmask_b32_e32 v2, v1, v2, vcc_lo
	v_cmp_gt_i32_e32 vcc_lo, 32, v8
	v_lshlrev_b32_e32 v2, 2, v2
	v_cndmask_b32_e32 v8, v1, v8, vcc_lo
	ds_bpermute_b32 v5, v2, v12
	ds_bpermute_b32 v6, v2, v27
	;; [unrolled: 1-line block ×4, first 2 shown]
	v_lshlrev_b32_e32 v8, 2, v8
	s_waitcnt lgkmcnt(3)
	v_add_f32_e32 v5, v12, v5
	s_waitcnt lgkmcnt(2)
	v_add_f32_e32 v6, v27, v6
	;; [unrolled: 2-line block ×4, first 2 shown]
	v_xor_b32_e32 v12, 4, v1
	ds_bpermute_b32 v9, v8, v5
	ds_bpermute_b32 v10, v8, v6
	;; [unrolled: 1-line block ×4, first 2 shown]
	v_cmp_gt_i32_e32 vcc_lo, 32, v12
	v_cndmask_b32_e32 v12, v1, v12, vcc_lo
	v_lshlrev_b32_e32 v12, 2, v12
	s_waitcnt lgkmcnt(3)
	v_add_f32_e32 v5, v5, v9
	s_waitcnt lgkmcnt(2)
	v_add_f32_e32 v6, v6, v10
	;; [unrolled: 2-line block ×4, first 2 shown]
	ds_bpermute_b32 v8, v12, v5
	ds_bpermute_b32 v9, v12, v6
	;; [unrolled: 1-line block ×4, first 2 shown]
	v_xor_b32_e32 v12, 2, v1
	v_cmp_gt_i32_e32 vcc_lo, 32, v12
	v_cndmask_b32_e32 v12, v1, v12, vcc_lo
	v_lshlrev_b32_e32 v12, 2, v12
	s_waitcnt lgkmcnt(3)
	v_add_f32_e32 v5, v5, v8
	s_waitcnt lgkmcnt(2)
	v_add_f32_e32 v6, v6, v9
	;; [unrolled: 2-line block ×4, first 2 shown]
	ds_bpermute_b32 v2, v12, v5
	ds_bpermute_b32 v9, v12, v6
	;; [unrolled: 1-line block ×4, first 2 shown]
	v_xor_b32_e32 v12, 1, v1
	v_cmp_gt_i32_e32 vcc_lo, 32, v12
	v_cndmask_b32_e32 v1, v1, v12, vcc_lo
	v_cmp_eq_u32_e32 vcc_lo, 31, v0
	v_lshlrev_b32_e32 v12, 2, v1
	s_waitcnt lgkmcnt(3)
	v_add_f32_e32 v1, v5, v2
	s_waitcnt lgkmcnt(2)
	v_add_f32_e32 v2, v6, v9
	;; [unrolled: 2-line block ×4, first 2 shown]
	ds_bpermute_b32 v7, v12, v1
	ds_bpermute_b32 v8, v12, v2
	;; [unrolled: 1-line block ×4, first 2 shown]
	s_and_b32 exec_lo, exec_lo, vcc_lo
	s_cbranch_execz .LBB118_10
; %bb.40:
	s_load_dwordx2 s[0:1], s[4:5], 0x58
	s_waitcnt lgkmcnt(0)
	v_add_f32_e32 v0, v1, v7
	v_add_f32_e32 v1, v2, v8
	v_add_f32_e32 v2, v5, v9
	v_add_f32_e32 v6, v6, v10
	v_cmp_eq_f32_e64 s4, s2, 0
	v_lshlrev_b64 v[4:5], 4, v[3:4]
	v_mul_f32_e32 v0, s16, v0
	v_mul_f32_e32 v1, s16, v1
	;; [unrolled: 1-line block ×4, first 2 shown]
	s_and_b32 vcc_lo, exec_lo, s4
	s_cbranch_vccz .LBB118_42
; %bb.41:
	v_add_co_u32 v6, vcc_lo, s0, v4
	v_add_co_ci_u32_e64 v7, null, s1, v5, vcc_lo
	s_mov_b32 s3, 0
	global_store_dwordx4 v[6:7], v[0:3], off
.LBB118_42:
	s_andn2_b32 vcc_lo, exec_lo, s3
	s_cbranch_vccnz .LBB118_10
; %bb.43:
	v_add_co_u32 v8, vcc_lo, s0, v4
	v_add_co_ci_u32_e64 v9, null, s1, v5, vcc_lo
	global_load_dwordx4 v[4:7], v[8:9], off
	s_waitcnt vmcnt(0)
	v_fmac_f32_e32 v0, s2, v4
	v_fmac_f32_e32 v1, s2, v5
	v_fmac_f32_e32 v2, s2, v6
	v_fmac_f32_e32 v3, s2, v7
	global_store_dwordx4 v[8:9], v[0:3], off
	s_endpgm
	.section	.rodata,"a",@progbits
	.p2align	6, 0x0
	.amdhsa_kernel _ZN9rocsparseL18bsrxmvn_4x4_kernelILj128ELj32Efll18rocsparse_bfloat16S1_fEEvT3_20rocsparse_direction_NS_24const_host_device_scalarIT1_EES2_PKS2_PKT2_SB_S8_PKT4_PKT5_S6_PT6_21rocsparse_index_base_b
		.amdhsa_group_segment_fixed_size 0
		.amdhsa_private_segment_fixed_size 0
		.amdhsa_kernarg_size 104
		.amdhsa_user_sgpr_count 6
		.amdhsa_user_sgpr_private_segment_buffer 1
		.amdhsa_user_sgpr_dispatch_ptr 0
		.amdhsa_user_sgpr_queue_ptr 0
		.amdhsa_user_sgpr_kernarg_segment_ptr 1
		.amdhsa_user_sgpr_dispatch_id 0
		.amdhsa_user_sgpr_flat_scratch_init 0
		.amdhsa_user_sgpr_private_segment_size 0
		.amdhsa_wavefront_size32 1
		.amdhsa_uses_dynamic_stack 0
		.amdhsa_system_sgpr_private_segment_wavefront_offset 0
		.amdhsa_system_sgpr_workgroup_id_x 1
		.amdhsa_system_sgpr_workgroup_id_y 0
		.amdhsa_system_sgpr_workgroup_id_z 0
		.amdhsa_system_sgpr_workgroup_info 0
		.amdhsa_system_vgpr_workitem_id 0
		.amdhsa_next_free_vgpr 96
		.amdhsa_next_free_sgpr 20
		.amdhsa_reserve_vcc 1
		.amdhsa_reserve_flat_scratch 0
		.amdhsa_float_round_mode_32 0
		.amdhsa_float_round_mode_16_64 0
		.amdhsa_float_denorm_mode_32 3
		.amdhsa_float_denorm_mode_16_64 3
		.amdhsa_dx10_clamp 1
		.amdhsa_ieee_mode 1
		.amdhsa_fp16_overflow 0
		.amdhsa_workgroup_processor_mode 1
		.amdhsa_memory_ordered 1
		.amdhsa_forward_progress 1
		.amdhsa_shared_vgpr_count 0
		.amdhsa_exception_fp_ieee_invalid_op 0
		.amdhsa_exception_fp_denorm_src 0
		.amdhsa_exception_fp_ieee_div_zero 0
		.amdhsa_exception_fp_ieee_overflow 0
		.amdhsa_exception_fp_ieee_underflow 0
		.amdhsa_exception_fp_ieee_inexact 0
		.amdhsa_exception_int_div_zero 0
	.end_amdhsa_kernel
	.section	.text._ZN9rocsparseL18bsrxmvn_4x4_kernelILj128ELj32Efll18rocsparse_bfloat16S1_fEEvT3_20rocsparse_direction_NS_24const_host_device_scalarIT1_EES2_PKS2_PKT2_SB_S8_PKT4_PKT5_S6_PT6_21rocsparse_index_base_b,"axG",@progbits,_ZN9rocsparseL18bsrxmvn_4x4_kernelILj128ELj32Efll18rocsparse_bfloat16S1_fEEvT3_20rocsparse_direction_NS_24const_host_device_scalarIT1_EES2_PKS2_PKT2_SB_S8_PKT4_PKT5_S6_PT6_21rocsparse_index_base_b,comdat
.Lfunc_end118:
	.size	_ZN9rocsparseL18bsrxmvn_4x4_kernelILj128ELj32Efll18rocsparse_bfloat16S1_fEEvT3_20rocsparse_direction_NS_24const_host_device_scalarIT1_EES2_PKS2_PKT2_SB_S8_PKT4_PKT5_S6_PT6_21rocsparse_index_base_b, .Lfunc_end118-_ZN9rocsparseL18bsrxmvn_4x4_kernelILj128ELj32Efll18rocsparse_bfloat16S1_fEEvT3_20rocsparse_direction_NS_24const_host_device_scalarIT1_EES2_PKS2_PKT2_SB_S8_PKT4_PKT5_S6_PT6_21rocsparse_index_base_b
                                        ; -- End function
	.set _ZN9rocsparseL18bsrxmvn_4x4_kernelILj128ELj32Efll18rocsparse_bfloat16S1_fEEvT3_20rocsparse_direction_NS_24const_host_device_scalarIT1_EES2_PKS2_PKT2_SB_S8_PKT4_PKT5_S6_PT6_21rocsparse_index_base_b.num_vgpr, 96
	.set _ZN9rocsparseL18bsrxmvn_4x4_kernelILj128ELj32Efll18rocsparse_bfloat16S1_fEEvT3_20rocsparse_direction_NS_24const_host_device_scalarIT1_EES2_PKS2_PKT2_SB_S8_PKT4_PKT5_S6_PT6_21rocsparse_index_base_b.num_agpr, 0
	.set _ZN9rocsparseL18bsrxmvn_4x4_kernelILj128ELj32Efll18rocsparse_bfloat16S1_fEEvT3_20rocsparse_direction_NS_24const_host_device_scalarIT1_EES2_PKS2_PKT2_SB_S8_PKT4_PKT5_S6_PT6_21rocsparse_index_base_b.numbered_sgpr, 20
	.set _ZN9rocsparseL18bsrxmvn_4x4_kernelILj128ELj32Efll18rocsparse_bfloat16S1_fEEvT3_20rocsparse_direction_NS_24const_host_device_scalarIT1_EES2_PKS2_PKT2_SB_S8_PKT4_PKT5_S6_PT6_21rocsparse_index_base_b.num_named_barrier, 0
	.set _ZN9rocsparseL18bsrxmvn_4x4_kernelILj128ELj32Efll18rocsparse_bfloat16S1_fEEvT3_20rocsparse_direction_NS_24const_host_device_scalarIT1_EES2_PKS2_PKT2_SB_S8_PKT4_PKT5_S6_PT6_21rocsparse_index_base_b.private_seg_size, 0
	.set _ZN9rocsparseL18bsrxmvn_4x4_kernelILj128ELj32Efll18rocsparse_bfloat16S1_fEEvT3_20rocsparse_direction_NS_24const_host_device_scalarIT1_EES2_PKS2_PKT2_SB_S8_PKT4_PKT5_S6_PT6_21rocsparse_index_base_b.uses_vcc, 1
	.set _ZN9rocsparseL18bsrxmvn_4x4_kernelILj128ELj32Efll18rocsparse_bfloat16S1_fEEvT3_20rocsparse_direction_NS_24const_host_device_scalarIT1_EES2_PKS2_PKT2_SB_S8_PKT4_PKT5_S6_PT6_21rocsparse_index_base_b.uses_flat_scratch, 0
	.set _ZN9rocsparseL18bsrxmvn_4x4_kernelILj128ELj32Efll18rocsparse_bfloat16S1_fEEvT3_20rocsparse_direction_NS_24const_host_device_scalarIT1_EES2_PKS2_PKT2_SB_S8_PKT4_PKT5_S6_PT6_21rocsparse_index_base_b.has_dyn_sized_stack, 0
	.set _ZN9rocsparseL18bsrxmvn_4x4_kernelILj128ELj32Efll18rocsparse_bfloat16S1_fEEvT3_20rocsparse_direction_NS_24const_host_device_scalarIT1_EES2_PKS2_PKT2_SB_S8_PKT4_PKT5_S6_PT6_21rocsparse_index_base_b.has_recursion, 0
	.set _ZN9rocsparseL18bsrxmvn_4x4_kernelILj128ELj32Efll18rocsparse_bfloat16S1_fEEvT3_20rocsparse_direction_NS_24const_host_device_scalarIT1_EES2_PKS2_PKT2_SB_S8_PKT4_PKT5_S6_PT6_21rocsparse_index_base_b.has_indirect_call, 0
	.section	.AMDGPU.csdata,"",@progbits
; Kernel info:
; codeLenInByte = 4876
; TotalNumSgprs: 22
; NumVgprs: 96
; ScratchSize: 0
; MemoryBound: 0
; FloatMode: 240
; IeeeMode: 1
; LDSByteSize: 0 bytes/workgroup (compile time only)
; SGPRBlocks: 0
; VGPRBlocks: 11
; NumSGPRsForWavesPerEU: 22
; NumVGPRsForWavesPerEU: 96
; Occupancy: 10
; WaveLimiterHint : 1
; COMPUTE_PGM_RSRC2:SCRATCH_EN: 0
; COMPUTE_PGM_RSRC2:USER_SGPR: 6
; COMPUTE_PGM_RSRC2:TRAP_HANDLER: 0
; COMPUTE_PGM_RSRC2:TGID_X_EN: 1
; COMPUTE_PGM_RSRC2:TGID_Y_EN: 0
; COMPUTE_PGM_RSRC2:TGID_Z_EN: 0
; COMPUTE_PGM_RSRC2:TIDIG_COMP_CNT: 0
	.section	.text._ZN9rocsparseL18bsrxmvn_4x4_kernelILj128ELj64Efll18rocsparse_bfloat16S1_fEEvT3_20rocsparse_direction_NS_24const_host_device_scalarIT1_EES2_PKS2_PKT2_SB_S8_PKT4_PKT5_S6_PT6_21rocsparse_index_base_b,"axG",@progbits,_ZN9rocsparseL18bsrxmvn_4x4_kernelILj128ELj64Efll18rocsparse_bfloat16S1_fEEvT3_20rocsparse_direction_NS_24const_host_device_scalarIT1_EES2_PKS2_PKT2_SB_S8_PKT4_PKT5_S6_PT6_21rocsparse_index_base_b,comdat
	.globl	_ZN9rocsparseL18bsrxmvn_4x4_kernelILj128ELj64Efll18rocsparse_bfloat16S1_fEEvT3_20rocsparse_direction_NS_24const_host_device_scalarIT1_EES2_PKS2_PKT2_SB_S8_PKT4_PKT5_S6_PT6_21rocsparse_index_base_b ; -- Begin function _ZN9rocsparseL18bsrxmvn_4x4_kernelILj128ELj64Efll18rocsparse_bfloat16S1_fEEvT3_20rocsparse_direction_NS_24const_host_device_scalarIT1_EES2_PKS2_PKT2_SB_S8_PKT4_PKT5_S6_PT6_21rocsparse_index_base_b
	.p2align	8
	.type	_ZN9rocsparseL18bsrxmvn_4x4_kernelILj128ELj64Efll18rocsparse_bfloat16S1_fEEvT3_20rocsparse_direction_NS_24const_host_device_scalarIT1_EES2_PKS2_PKT2_SB_S8_PKT4_PKT5_S6_PT6_21rocsparse_index_base_b,@function
_ZN9rocsparseL18bsrxmvn_4x4_kernelILj128ELj64Efll18rocsparse_bfloat16S1_fEEvT3_20rocsparse_direction_NS_24const_host_device_scalarIT1_EES2_PKS2_PKT2_SB_S8_PKT4_PKT5_S6_PT6_21rocsparse_index_base_b: ; @_ZN9rocsparseL18bsrxmvn_4x4_kernelILj128ELj64Efll18rocsparse_bfloat16S1_fEEvT3_20rocsparse_direction_NS_24const_host_device_scalarIT1_EES2_PKS2_PKT2_SB_S8_PKT4_PKT5_S6_PT6_21rocsparse_index_base_b
; %bb.0:
	s_clause 0x2
	s_load_dwordx2 s[0:1], s[4:5], 0x60
	s_load_dwordx4 s[16:19], s[4:5], 0x10
	s_load_dwordx2 s[2:3], s[4:5], 0x50
	s_waitcnt lgkmcnt(0)
	s_bitcmp1_b32 s1, 0
	s_cselect_b32 s1, -1, 0
	s_and_b32 vcc_lo, exec_lo, s1
	s_xor_b32 s1, s1, -1
	s_cbranch_vccnz .LBB119_2
; %bb.1:
	s_load_dword s16, s[16:17], 0x0
.LBB119_2:
	s_andn2_b32 vcc_lo, exec_lo, s1
	s_cbranch_vccnz .LBB119_4
; %bb.3:
	s_load_dword s2, s[2:3], 0x0
.LBB119_4:
	s_waitcnt lgkmcnt(0)
	v_cmp_neq_f32_e64 s1, s16, 0
	v_cmp_neq_f32_e64 s3, s2, 1.0
	s_or_b32 s1, s1, s3
	s_mov_b32 s3, 0
	s_andn2_b32 vcc_lo, exec_lo, s1
	s_cbranch_vccnz .LBB119_10
; %bb.5:
	s_load_dwordx2 s[8:9], s[4:5], 0x20
	v_lshrrev_b32_e32 v1, 6, v0
	v_mov_b32_e32 v6, 0
	v_lshl_or_b32 v5, s6, 1, v1
	s_waitcnt lgkmcnt(0)
	s_cmp_lg_u64 s[8:9], 0
	s_cbranch_scc0 .LBB119_11
; %bb.6:
	s_mov_b32 s6, 0
                                        ; implicit-def: $vgpr3_vgpr4
                                        ; implicit-def: $vgpr1_vgpr2
	s_mov_b32 s1, exec_lo
	v_cmpx_gt_i64_e64 s[18:19], v[5:6]
	s_xor_b32 s7, exec_lo, s1
	s_cbranch_execz .LBB119_8
; %bb.7:
	v_lshlrev_b64 v[1:2], 3, v[5:6]
	s_mov_b32 s1, 0
	s_mov_b32 s3, exec_lo
	v_add_co_u32 v1, vcc_lo, s8, v1
	v_add_co_ci_u32_e64 v2, null, s9, v2, vcc_lo
	global_load_dwordx2 v[1:2], v[1:2], off
	s_waitcnt vmcnt(0)
	v_sub_co_u32 v3, vcc_lo, v1, s0
	v_subrev_co_ci_u32_e64 v4, null, 0, v2, vcc_lo
	v_mov_b32_e32 v2, s1
	v_mov_b32_e32 v1, s0
.LBB119_8:
	s_or_b32 exec_lo, exec_lo, s7
	s_and_b32 vcc_lo, exec_lo, s6
	s_cbranch_vccnz .LBB119_12
.LBB119_9:
	s_and_saveexec_b32 s0, s3
	s_cbranch_execnz .LBB119_15
.LBB119_10:
	s_endpgm
.LBB119_11:
                                        ; implicit-def: $vgpr3_vgpr4
                                        ; implicit-def: $vgpr1_vgpr2
	s_cbranch_execz .LBB119_9
.LBB119_12:
	s_load_dwordx2 s[6:7], s[4:5], 0x0
	s_waitcnt lgkmcnt(0)
	v_cmp_gt_i64_e32 vcc_lo, s[6:7], v[5:6]
	s_and_saveexec_b32 s6, vcc_lo
; %bb.13:
	s_mov_b32 s1, 0
	s_or_b32 s3, s3, exec_lo
; %bb.14:
	s_or_b32 exec_lo, exec_lo, s6
	v_mov_b32_e32 v2, s1
	v_mov_b32_e32 v3, v5
	v_mov_b32_e32 v1, s0
	v_mov_b32_e32 v4, v6
	s_and_saveexec_b32 s0, s3
	s_cbranch_execz .LBB119_10
.LBB119_15:
	s_load_dwordx8 s[8:15], s[4:5], 0x28
	v_lshlrev_b64 v[5:6], 3, v[3:4]
	v_and_b32_e32 v0, 63, v0
	s_clause 0x1
	s_load_dword s1, s[4:5], 0x8
	s_load_dwordx2 s[6:7], s[4:5], 0x48
	v_mov_b32_e32 v25, 0
	s_waitcnt lgkmcnt(0)
	v_add_co_u32 v7, vcc_lo, s8, v5
	v_add_co_ci_u32_e64 v8, null, s9, v6, vcc_lo
	v_add_co_u32 v5, vcc_lo, s10, v5
	v_add_co_ci_u32_e64 v6, null, s11, v6, vcc_lo
	v_add_co_u32 v9, vcc_lo, v7, 8
	global_load_dwordx2 v[13:14], v[7:8], off
	v_add_co_ci_u32_e64 v10, null, 0, v8, vcc_lo
	s_cmp_eq_u64 s[10:11], 0
	s_cselect_b32 vcc_lo, -1, 0
	s_cmp_eq_u32 s1, 1
	v_cndmask_b32_e32 v6, v6, v10, vcc_lo
	v_cndmask_b32_e32 v5, v5, v9, vcc_lo
	global_load_dwordx2 v[7:8], v[5:6], off
	s_waitcnt vmcnt(1)
	v_sub_co_u32 v5, vcc_lo, v13, v1
	v_sub_co_ci_u32_e64 v6, null, v14, v2, vcc_lo
	v_add_co_u32 v5, vcc_lo, v5, v0
	v_add_co_ci_u32_e64 v6, null, 0, v6, vcc_lo
	v_lshlrev_b64 v[9:10], 5, v[5:6]
	s_waitcnt vmcnt(0)
	v_sub_co_u32 v7, vcc_lo, v7, v1
	v_sub_co_ci_u32_e64 v8, null, v8, v2, vcc_lo
	v_add_co_u32 v9, vcc_lo, s14, v9
	v_cmp_lt_i64_e64 s0, v[5:6], v[7:8]
	v_add_co_ci_u32_e64 v10, null, s15, v10, vcc_lo
	s_cbranch_scc1 .LBB119_27
; %bb.16:
	v_mov_b32_e32 v26, 0
	v_mov_b32_e32 v27, 0
	;; [unrolled: 1-line block ×3, first 2 shown]
	s_and_saveexec_b32 s3, s0
	s_cbranch_execz .LBB119_26
; %bb.17:
	v_or_b32_e32 v11, 64, v0
	v_not_b32_e32 v16, v13
	v_sub_co_u32 v17, s1, v1, v0
	v_not_b32_e32 v15, v14
	v_sub_co_u32 v11, vcc_lo, v11, v1
	v_sub_co_ci_u32_e64 v12, null, 0, v2, vcc_lo
	v_subrev_co_ci_u32_e64 v18, null, 0, v2, s1
	v_add_co_u32 v11, vcc_lo, v11, v13
	v_add_co_ci_u32_e64 v12, null, v12, v14, vcc_lo
	s_mov_b32 s1, exec_lo
	v_cmp_gt_i64_e32 vcc_lo, v[11:12], v[7:8]
	v_cndmask_b32_e32 v20, v8, v12, vcc_lo
	v_cndmask_b32_e32 v11, v7, v11, vcc_lo
	v_add_co_u32 v12, vcc_lo, v17, v16
	v_add_co_ci_u32_e64 v15, null, v18, v15, vcc_lo
	v_mov_b32_e32 v18, v10
	v_add_co_u32 v19, vcc_lo, v12, v11
	v_mov_b32_e32 v12, 0
	v_add_co_ci_u32_e64 v20, null, v15, v20, vcc_lo
	v_mov_b32_e32 v16, v6
	v_and_b32_e32 v11, 0xc0, v19
	v_mov_b32_e32 v27, v12
	v_mov_b32_e32 v26, v12
	;; [unrolled: 1-line block ×5, first 2 shown]
	v_cmpx_ne_u64_e32 0xc0, v[11:12]
	s_cbranch_execz .LBB119_21
; %bb.18:
	v_lshrrev_b32_e32 v11, 6, v19
	v_mov_b32_e32 v18, v10
	v_mov_b32_e32 v16, v6
	;; [unrolled: 1-line block ×4, first 2 shown]
	v_add_nc_u32_e32 v21, 1, v11
	v_lshlrev_b64 v[11:12], 3, v[5:6]
	v_mov_b32_e32 v15, v5
	v_mov_b32_e32 v26, 0
	;; [unrolled: 1-line block ×3, first 2 shown]
	v_and_b32_e32 v23, 3, v21
	v_add_co_u32 v21, vcc_lo, s12, v11
	v_add_co_ci_u32_e64 v22, null, s13, v12, vcc_lo
	v_sub_co_u32 v23, s8, 0, v23
	v_sub_co_ci_u32_e64 v24, null, 0, 0, s8
	v_mov_b32_e32 v12, 0
	s_mov_b32 s8, 0
.LBB119_19:                             ; =>This Inner Loop Header: Depth=1
	global_load_dwordx2 v[32:33], v[21:22], off
	global_load_dwordx4 v[28:31], v[17:18], off
	s_waitcnt vmcnt(1)
	v_sub_co_u32 v32, vcc_lo, v32, v1
	v_sub_co_ci_u32_e64 v33, null, v33, v2, vcc_lo
	s_waitcnt vmcnt(0)
	v_lshlrev_b32_e32 v11, 16, v28
	v_lshlrev_b32_e32 v39, 16, v30
	v_and_b32_e32 v28, 0xffff0000, v28
	v_lshlrev_b64 v[32:33], 3, v[32:33]
	v_and_b32_e32 v30, 0xffff0000, v30
	v_lshlrev_b32_e32 v38, 16, v29
	v_lshlrev_b32_e32 v40, 16, v31
	v_and_b32_e32 v29, 0xffff0000, v29
	v_and_b32_e32 v31, 0xffff0000, v31
	v_add_co_u32 v36, vcc_lo, s6, v32
	v_add_co_ci_u32_e64 v37, null, s7, v33, vcc_lo
	global_load_dwordx4 v[32:35], v[17:18], off offset:16
	global_load_dwordx2 v[36:37], v[36:37], off
	v_add_co_u32 v17, vcc_lo, 0x800, v17
	v_add_co_ci_u32_e64 v18, null, 0, v18, vcc_lo
	v_add_co_u32 v15, vcc_lo, v15, 64
	v_add_co_ci_u32_e64 v16, null, 0, v16, vcc_lo
	;; [unrolled: 2-line block ×4, first 2 shown]
	v_cmp_eq_u64_e32 vcc_lo, 0, v[23:24]
	s_or_b32 s8, vcc_lo, s8
	s_waitcnt vmcnt(1)
	v_lshlrev_b32_e32 v41, 16, v32
	v_lshlrev_b32_e32 v43, 16, v34
	s_waitcnt vmcnt(0)
	v_lshlrev_b32_e32 v45, 16, v36
	v_and_b32_e32 v32, 0xffff0000, v32
	v_and_b32_e32 v34, 0xffff0000, v34
	;; [unrolled: 1-line block ×3, first 2 shown]
	v_lshlrev_b32_e32 v42, 16, v33
	v_fmac_f32_e32 v12, v11, v45
	v_fmac_f32_e32 v27, v39, v45
	;; [unrolled: 1-line block ×4, first 2 shown]
	v_lshlrev_b32_e32 v44, 16, v35
	v_lshlrev_b32_e32 v11, 16, v37
	v_fmac_f32_e32 v12, v28, v36
	v_fmac_f32_e32 v27, v30, v36
	;; [unrolled: 1-line block ×4, first 2 shown]
	v_and_b32_e32 v33, 0xffff0000, v33
	v_and_b32_e32 v35, 0xffff0000, v35
	;; [unrolled: 1-line block ×3, first 2 shown]
	v_fmac_f32_e32 v12, v38, v11
	v_fmac_f32_e32 v27, v40, v11
	;; [unrolled: 1-line block ×8, first 2 shown]
	s_andn2_b32 exec_lo, exec_lo, s8
	s_cbranch_execnz .LBB119_19
; %bb.20:
	s_or_b32 exec_lo, exec_lo, s8
.LBB119_21:
	s_or_b32 exec_lo, exec_lo, s1
	s_mov_b32 s8, exec_lo
	v_cmpx_lt_u64_e32 0xbf, v[19:20]
	s_cbranch_execz .LBB119_25
; %bb.22:
	v_lshlrev_b64 v[19:20], 3, v[15:16]
	s_mov_b32 s9, 0
	v_add_co_u32 v11, vcc_lo, s12, v19
	v_add_co_ci_u32_e64 v20, null, s13, v20, vcc_lo
	v_add_co_u32 v19, vcc_lo, 0x400, v11
	v_add_co_ci_u32_e64 v20, null, 0, v20, vcc_lo
.LBB119_23:                             ; =>This Inner Loop Header: Depth=1
	s_clause 0x3
	global_load_dwordx2 v[56:57], v[19:20], off offset:-1024
	global_load_dwordx2 v[58:59], v[19:20], off offset:-512
	global_load_dwordx2 v[60:61], v[19:20], off
	global_load_dwordx2 v[62:63], v[19:20], off offset:512
	s_clause 0x1
	global_load_dwordx4 v[21:24], v[17:18], off
	global_load_dwordx4 v[28:31], v[17:18], off offset:16
	v_add_co_u32 v36, vcc_lo, 0x800, v17
	v_add_co_ci_u32_e64 v37, null, 0, v18, vcc_lo
	v_add_co_u32 v40, vcc_lo, v17, 0x1000
	v_add_co_ci_u32_e64 v41, null, 0, v18, vcc_lo
	;; [unrolled: 2-line block ×4, first 2 shown]
	s_clause 0x5
	global_load_dwordx4 v[32:35], v[40:41], off offset:-2048
	global_load_dwordx4 v[36:39], v[36:37], off offset:16
	global_load_dwordx4 v[40:43], v[40:41], off
	global_load_dwordx4 v[44:47], v[44:45], off offset:16
	global_load_dwordx4 v[48:51], v[52:53], off
	global_load_dwordx4 v[52:55], v[52:53], off offset:16
	s_waitcnt vmcnt(11)
	v_sub_co_u32 v56, vcc_lo, v56, v1
	v_sub_co_ci_u32_e64 v57, null, v57, v2, vcc_lo
	s_waitcnt vmcnt(10)
	v_sub_co_u32 v58, vcc_lo, v58, v1
	v_sub_co_ci_u32_e64 v59, null, v59, v2, vcc_lo
	v_lshlrev_b64 v[56:57], 3, v[56:57]
	s_waitcnt vmcnt(7)
	v_lshlrev_b32_e32 v11, 16, v21
	v_lshlrev_b32_e32 v65, 16, v23
	v_lshlrev_b64 v[58:59], 3, v[58:59]
	s_waitcnt vmcnt(6)
	v_lshlrev_b32_e32 v67, 16, v28
	v_lshlrev_b32_e32 v69, 16, v30
	v_add_co_u32 v56, vcc_lo, s6, v56
	v_add_co_ci_u32_e64 v57, null, s7, v57, vcc_lo
	v_sub_co_u32 v60, vcc_lo, v60, v1
	v_sub_co_ci_u32_e64 v61, null, v61, v2, vcc_lo
	global_load_dwordx2 v[56:57], v[56:57], off
	v_add_co_u32 v58, vcc_lo, s6, v58
	v_add_co_ci_u32_e64 v59, null, s7, v59, vcc_lo
	v_lshlrev_b64 v[60:61], 3, v[60:61]
	v_sub_co_u32 v62, vcc_lo, v62, v1
	global_load_dwordx2 v[58:59], v[58:59], off
	v_sub_co_ci_u32_e64 v63, null, v63, v2, vcc_lo
	v_add_co_u32 v60, s1, s6, v60
	v_add_co_ci_u32_e64 v61, null, s7, v61, s1
	v_lshlrev_b64 v[62:63], 3, v[62:63]
	v_and_b32_e32 v21, 0xffff0000, v21
	v_and_b32_e32 v23, 0xffff0000, v23
	global_load_dwordx2 v[60:61], v[60:61], off
	v_and_b32_e32 v28, 0xffff0000, v28
	v_and_b32_e32 v30, 0xffff0000, v30
	v_add_co_u32 v62, vcc_lo, s6, v62
	v_add_co_ci_u32_e64 v63, null, s7, v63, vcc_lo
	v_lshlrev_b32_e32 v64, 16, v22
	v_lshlrev_b32_e32 v66, 16, v24
	;; [unrolled: 1-line block ×3, first 2 shown]
	global_load_dwordx2 v[62:63], v[62:63], off
	v_lshlrev_b32_e32 v70, 16, v31
	v_and_b32_e32 v22, 0xffff0000, v22
	v_and_b32_e32 v24, 0xffff0000, v24
	;; [unrolled: 1-line block ×4, first 2 shown]
	s_waitcnt vmcnt(9)
	v_lshlrev_b32_e32 v71, 16, v32
	v_lshlrev_b32_e32 v73, 16, v34
	s_waitcnt vmcnt(8)
	v_lshlrev_b32_e32 v75, 16, v36
	v_lshlrev_b32_e32 v77, 16, v38
	v_and_b32_e32 v32, 0xffff0000, v32
	v_and_b32_e32 v34, 0xffff0000, v34
	;; [unrolled: 1-line block ×4, first 2 shown]
	v_lshlrev_b32_e32 v72, 16, v33
	v_lshlrev_b32_e32 v74, 16, v35
	;; [unrolled: 1-line block ×4, first 2 shown]
	v_and_b32_e32 v33, 0xffff0000, v33
	v_and_b32_e32 v35, 0xffff0000, v35
	;; [unrolled: 1-line block ×4, first 2 shown]
	s_waitcnt vmcnt(7)
	v_lshlrev_b32_e32 v79, 16, v40
	v_lshlrev_b32_e32 v81, 16, v42
	s_waitcnt vmcnt(6)
	v_lshlrev_b32_e32 v83, 16, v44
	v_lshlrev_b32_e32 v85, 16, v46
	v_and_b32_e32 v40, 0xffff0000, v40
	v_and_b32_e32 v42, 0xffff0000, v42
	;; [unrolled: 1-line block ×4, first 2 shown]
	v_lshlrev_b32_e32 v80, 16, v41
	v_lshlrev_b32_e32 v82, 16, v43
	;; [unrolled: 1-line block ×4, first 2 shown]
	v_and_b32_e32 v41, 0xffff0000, v41
	v_and_b32_e32 v43, 0xffff0000, v43
	;; [unrolled: 1-line block ×4, first 2 shown]
	s_waitcnt vmcnt(5)
	v_lshlrev_b32_e32 v87, 16, v48
	v_lshlrev_b32_e32 v89, 16, v50
	s_waitcnt vmcnt(4)
	v_lshlrev_b32_e32 v91, 16, v52
	v_lshlrev_b32_e32 v93, 16, v54
	v_and_b32_e32 v48, 0xffff0000, v48
	v_and_b32_e32 v50, 0xffff0000, v50
	;; [unrolled: 1-line block ×4, first 2 shown]
	v_add_co_u32 v15, vcc_lo, 0x100, v15
	v_lshlrev_b32_e32 v88, 16, v49
	v_lshlrev_b32_e32 v90, 16, v51
	;; [unrolled: 1-line block ×4, first 2 shown]
	v_add_co_ci_u32_e64 v16, null, 0, v16, vcc_lo
	v_add_co_u32 v19, vcc_lo, 0x800, v19
	v_add_co_ci_u32_e64 v20, null, 0, v20, vcc_lo
	v_add_co_u32 v17, vcc_lo, 0x2000, v17
	v_and_b32_e32 v49, 0xffff0000, v49
	v_and_b32_e32 v51, 0xffff0000, v51
	;; [unrolled: 1-line block ×4, first 2 shown]
	v_add_co_ci_u32_e64 v18, null, 0, v18, vcc_lo
	v_cmp_ge_i64_e32 vcc_lo, v[15:16], v[7:8]
	s_or_b32 s9, vcc_lo, s9
	s_waitcnt vmcnt(3)
	v_lshlrev_b32_e32 v95, 16, v56
	v_and_b32_e32 v56, 0xffff0000, v56
	v_fmac_f32_e32 v12, v11, v95
	v_fmac_f32_e32 v27, v65, v95
	v_fmac_f32_e32 v26, v67, v95
	v_fmac_f32_e32 v25, v69, v95
	v_lshlrev_b32_e32 v11, 16, v57
	v_fmac_f32_e32 v12, v21, v56
	v_fmac_f32_e32 v27, v23, v56
	v_fmac_f32_e32 v26, v28, v56
	v_fmac_f32_e32 v25, v30, v56
	v_and_b32_e32 v21, 0xffff0000, v57
	v_fmac_f32_e32 v12, v64, v11
	v_fmac_f32_e32 v27, v66, v11
	v_fmac_f32_e32 v26, v68, v11
	v_fmac_f32_e32 v25, v70, v11
	s_waitcnt vmcnt(2)
	v_lshlrev_b32_e32 v11, 16, v58
	v_fmac_f32_e32 v12, v22, v21
	v_fmac_f32_e32 v27, v24, v21
	v_fmac_f32_e32 v26, v29, v21
	v_fmac_f32_e32 v25, v31, v21
	v_and_b32_e32 v21, 0xffff0000, v58
	v_fmac_f32_e32 v12, v71, v11
	v_fmac_f32_e32 v27, v73, v11
	v_fmac_f32_e32 v26, v75, v11
	v_fmac_f32_e32 v25, v77, v11
	v_lshlrev_b32_e32 v11, 16, v59
	v_fmac_f32_e32 v12, v32, v21
	v_fmac_f32_e32 v27, v34, v21
	v_fmac_f32_e32 v26, v36, v21
	v_fmac_f32_e32 v25, v38, v21
	v_and_b32_e32 v21, 0xffff0000, v59
	v_fmac_f32_e32 v12, v72, v11
	v_fmac_f32_e32 v27, v74, v11
	v_fmac_f32_e32 v26, v76, v11
	v_fmac_f32_e32 v25, v78, v11
	s_waitcnt vmcnt(1)
	v_lshlrev_b32_e32 v11, 16, v60
	v_fmac_f32_e32 v12, v33, v21
	v_fmac_f32_e32 v27, v35, v21
	v_fmac_f32_e32 v26, v37, v21
	v_fmac_f32_e32 v25, v39, v21
	;; [unrolled: 21-line block ×3, first 2 shown]
	v_and_b32_e32 v21, 0xffff0000, v62
	v_fmac_f32_e32 v12, v87, v11
	v_fmac_f32_e32 v27, v89, v11
	;; [unrolled: 1-line block ×4, first 2 shown]
	v_lshlrev_b32_e32 v11, 16, v63
	v_fmac_f32_e32 v12, v48, v21
	v_fmac_f32_e32 v27, v50, v21
	;; [unrolled: 1-line block ×4, first 2 shown]
	v_and_b32_e32 v21, 0xffff0000, v63
	v_fmac_f32_e32 v12, v88, v11
	v_fmac_f32_e32 v27, v90, v11
	;; [unrolled: 1-line block ×8, first 2 shown]
	s_andn2_b32 exec_lo, exec_lo, s9
	s_cbranch_execnz .LBB119_23
; %bb.24:
	s_or_b32 exec_lo, exec_lo, s9
.LBB119_25:
	s_or_b32 exec_lo, exec_lo, s8
.LBB119_26:
	s_or_b32 exec_lo, exec_lo, s3
	s_cbranch_execz .LBB119_28
	s_branch .LBB119_39
.LBB119_27:
                                        ; implicit-def: $vgpr25
                                        ; implicit-def: $vgpr26
                                        ; implicit-def: $vgpr27
                                        ; implicit-def: $vgpr12
.LBB119_28:
	v_mov_b32_e32 v25, 0
	v_mov_b32_e32 v26, 0
	;; [unrolled: 1-line block ×4, first 2 shown]
	s_and_saveexec_b32 s1, s0
	s_cbranch_execz .LBB119_38
; %bb.29:
	v_or_b32_e32 v11, 64, v0
	v_sub_co_u32 v15, s0, v1, v0
	v_subrev_co_ci_u32_e64 v16, null, 0, v2, s0
	v_sub_co_u32 v11, vcc_lo, v11, v1
	v_sub_co_ci_u32_e64 v12, null, 0, v2, vcc_lo
	s_mov_b32 s0, exec_lo
	v_add_co_u32 v11, vcc_lo, v11, v13
	v_add_co_ci_u32_e64 v12, null, v12, v14, vcc_lo
	v_not_b32_e32 v13, v13
	v_not_b32_e32 v14, v14
	v_cmp_gt_i64_e32 vcc_lo, v[11:12], v[7:8]
	v_cndmask_b32_e32 v17, v8, v12, vcc_lo
	v_cndmask_b32_e32 v11, v7, v11, vcc_lo
	v_add_co_u32 v12, vcc_lo, v15, v13
	v_add_co_ci_u32_e64 v14, null, v16, v14, vcc_lo
	v_add_co_u32 v13, vcc_lo, v12, v11
	v_mov_b32_e32 v12, 0
	v_add_co_ci_u32_e64 v14, null, v14, v17, vcc_lo
	v_and_b32_e32 v11, 0xc0, v13
	v_mov_b32_e32 v27, v12
	v_mov_b32_e32 v26, v12
	;; [unrolled: 1-line block ×3, first 2 shown]
	v_cmpx_ne_u64_e32 0xc0, v[11:12]
	s_cbranch_execz .LBB119_33
; %bb.30:
	v_lshrrev_b32_e32 v11, 6, v13
	v_mov_b32_e32 v25, 0
	v_mov_b32_e32 v26, 0
	;; [unrolled: 1-line block ×3, first 2 shown]
	v_add_nc_u32_e32 v15, 1, v11
	v_lshlrev_b64 v[11:12], 3, v[5:6]
	v_and_b32_e32 v17, 3, v15
	v_add_co_u32 v15, vcc_lo, s12, v11
	v_add_co_ci_u32_e64 v16, null, s13, v12, vcc_lo
	v_sub_co_u32 v17, s3, 0, v17
	v_sub_co_ci_u32_e64 v18, null, 0, 0, s3
	v_mov_b32_e32 v12, 0
	s_mov_b32 s3, 0
.LBB119_31:                             ; =>This Inner Loop Header: Depth=1
	global_load_dwordx2 v[23:24], v[15:16], off
	global_load_dwordx4 v[19:22], v[9:10], off
	s_waitcnt vmcnt(1)
	v_sub_co_u32 v23, vcc_lo, v23, v1
	v_sub_co_ci_u32_e64 v24, null, v24, v2, vcc_lo
	s_waitcnt vmcnt(0)
	v_lshlrev_b32_e32 v11, 16, v19
	v_and_b32_e32 v19, 0xffff0000, v19
	v_lshlrev_b32_e32 v32, 16, v20
	v_lshlrev_b64 v[23:24], 3, v[23:24]
	v_and_b32_e32 v20, 0xffff0000, v20
	v_lshlrev_b32_e32 v33, 16, v21
	v_and_b32_e32 v21, 0xffff0000, v21
	v_lshlrev_b32_e32 v34, 16, v22
	v_and_b32_e32 v22, 0xffff0000, v22
	v_add_co_u32 v23, vcc_lo, s6, v23
	v_add_co_ci_u32_e64 v24, null, s7, v24, vcc_lo
	global_load_dwordx2 v[23:24], v[23:24], off
	global_load_dwordx4 v[28:31], v[9:10], off offset:16
	v_add_co_u32 v9, vcc_lo, 0x800, v9
	v_add_co_ci_u32_e64 v10, null, 0, v10, vcc_lo
	v_add_co_u32 v5, vcc_lo, v5, 64
	v_add_co_ci_u32_e64 v6, null, 0, v6, vcc_lo
	v_add_co_u32 v15, vcc_lo, 0x200, v15
	v_add_co_ci_u32_e64 v16, null, 0, v16, vcc_lo
	v_add_co_u32 v17, vcc_lo, v17, 1
	v_add_co_ci_u32_e64 v18, null, 0, v18, vcc_lo
	v_cmp_eq_u64_e32 vcc_lo, 0, v[17:18]
	s_or_b32 s3, vcc_lo, s3
	s_waitcnt vmcnt(1)
	v_lshlrev_b32_e32 v39, 16, v23
	v_and_b32_e32 v23, 0xffff0000, v23
	s_waitcnt vmcnt(0)
	v_lshlrev_b32_e32 v35, 16, v28
	v_and_b32_e32 v28, 0xffff0000, v28
	v_lshlrev_b32_e32 v36, 16, v29
	v_fmac_f32_e32 v12, v11, v39
	v_fmac_f32_e32 v27, v19, v39
	;; [unrolled: 1-line block ×4, first 2 shown]
	v_and_b32_e32 v29, 0xffff0000, v29
	v_lshlrev_b32_e32 v11, 16, v24
	v_fmac_f32_e32 v12, v33, v23
	v_fmac_f32_e32 v27, v21, v23
	v_fmac_f32_e32 v26, v34, v23
	v_fmac_f32_e32 v25, v22, v23
	v_lshlrev_b32_e32 v37, 16, v30
	v_and_b32_e32 v30, 0xffff0000, v30
	v_lshlrev_b32_e32 v38, 16, v31
	v_and_b32_e32 v31, 0xffff0000, v31
	v_and_b32_e32 v19, 0xffff0000, v24
	v_fmac_f32_e32 v12, v35, v11
	v_fmac_f32_e32 v27, v28, v11
	;; [unrolled: 1-line block ×8, first 2 shown]
	s_andn2_b32 exec_lo, exec_lo, s3
	s_cbranch_execnz .LBB119_31
; %bb.32:
	s_or_b32 exec_lo, exec_lo, s3
.LBB119_33:
	s_or_b32 exec_lo, exec_lo, s0
	s_mov_b32 s0, exec_lo
	v_cmpx_lt_u64_e32 0xbf, v[13:14]
	s_cbranch_execz .LBB119_37
; %bb.34:
	v_lshlrev_b64 v[13:14], 3, v[5:6]
	s_mov_b32 s3, 0
	v_add_co_u32 v11, vcc_lo, s12, v13
	v_add_co_ci_u32_e64 v14, null, s13, v14, vcc_lo
	v_add_co_u32 v13, vcc_lo, 0x400, v11
	v_add_co_ci_u32_e64 v14, null, 0, v14, vcc_lo
.LBB119_35:                             ; =>This Inner Loop Header: Depth=1
	s_clause 0x3
	global_load_dwordx2 v[23:24], v[13:14], off offset:-1024
	global_load_dwordx2 v[48:49], v[13:14], off offset:-512
	global_load_dwordx2 v[50:51], v[13:14], off
	global_load_dwordx2 v[52:53], v[13:14], off offset:512
	s_clause 0x1
	global_load_dwordx4 v[15:18], v[9:10], off
	global_load_dwordx4 v[19:22], v[9:10], off offset:16
	v_add_co_u32 v28, vcc_lo, 0x800, v9
	v_add_co_ci_u32_e64 v29, null, 0, v10, vcc_lo
	v_add_co_u32 v36, vcc_lo, v9, 0x1000
	v_add_co_ci_u32_e64 v37, null, 0, v10, vcc_lo
	;; [unrolled: 2-line block ×4, first 2 shown]
	s_clause 0x4
	global_load_dwordx4 v[28:31], v[28:29], off offset:16
	global_load_dwordx4 v[32:35], v[36:37], off offset:-2048
	global_load_dwordx4 v[36:39], v[36:37], off
	global_load_dwordx4 v[40:43], v[40:41], off offset:16
	global_load_dwordx4 v[44:47], v[54:55], off
	s_waitcnt vmcnt(10)
	v_sub_co_u32 v23, vcc_lo, v23, v1
	v_sub_co_ci_u32_e64 v24, null, v24, v2, vcc_lo
	s_waitcnt vmcnt(9)
	v_sub_co_u32 v48, vcc_lo, v48, v1
	v_sub_co_ci_u32_e64 v49, null, v49, v2, vcc_lo
	;; [unrolled: 3-line block ×3, first 2 shown]
	s_waitcnt vmcnt(7)
	v_sub_co_u32 v52, vcc_lo, v52, v1
	v_lshlrev_b64 v[23:24], 3, v[23:24]
	v_sub_co_ci_u32_e64 v53, null, v53, v2, vcc_lo
	v_lshlrev_b64 v[48:49], 3, v[48:49]
	v_lshlrev_b64 v[50:51], 3, v[50:51]
	s_waitcnt vmcnt(6)
	v_lshlrev_b32_e32 v11, 16, v15
	v_lshlrev_b64 v[52:53], 3, v[52:53]
	v_add_co_u32 v23, vcc_lo, s6, v23
	v_add_co_ci_u32_e64 v24, null, s7, v24, vcc_lo
	v_add_co_u32 v48, vcc_lo, s6, v48
	v_add_co_ci_u32_e64 v49, null, s7, v49, vcc_lo
	;; [unrolled: 2-line block ×4, first 2 shown]
	s_clause 0x3
	global_load_dwordx2 v[23:24], v[23:24], off
	global_load_dwordx2 v[56:57], v[48:49], off
	;; [unrolled: 1-line block ×4, first 2 shown]
	global_load_dwordx4 v[48:51], v[54:55], off offset:16
	v_and_b32_e32 v15, 0xffff0000, v15
	v_lshlrev_b32_e32 v54, 16, v16
	v_and_b32_e32 v16, 0xffff0000, v16
	v_lshlrev_b32_e32 v55, 16, v17
	;; [unrolled: 2-line block ×3, first 2 shown]
	v_and_b32_e32 v18, 0xffff0000, v18
	s_waitcnt vmcnt(10)
	v_lshlrev_b32_e32 v61, 16, v19
	v_and_b32_e32 v19, 0xffff0000, v19
	v_lshlrev_b32_e32 v62, 16, v20
	v_and_b32_e32 v20, 0xffff0000, v20
	v_lshlrev_b32_e32 v63, 16, v21
	v_and_b32_e32 v21, 0xffff0000, v21
	v_lshlrev_b32_e32 v64, 16, v22
	v_and_b32_e32 v22, 0xffff0000, v22
	s_waitcnt vmcnt(8)
	v_lshlrev_b32_e32 v65, 16, v32
	v_and_b32_e32 v32, 0xffff0000, v32
	v_lshlrev_b32_e32 v66, 16, v33
	v_and_b32_e32 v33, 0xffff0000, v33
	;; [unrolled: 2-line block ×8, first 2 shown]
	s_waitcnt vmcnt(7)
	v_lshlrev_b32_e32 v73, 16, v36
	v_and_b32_e32 v36, 0xffff0000, v36
	v_lshlrev_b32_e32 v74, 16, v37
	v_and_b32_e32 v37, 0xffff0000, v37
	v_lshlrev_b32_e32 v75, 16, v38
	v_and_b32_e32 v38, 0xffff0000, v38
	v_lshlrev_b32_e32 v76, 16, v39
	v_and_b32_e32 v39, 0xffff0000, v39
	s_waitcnt vmcnt(6)
	v_lshlrev_b32_e32 v77, 16, v40
	v_and_b32_e32 v40, 0xffff0000, v40
	v_lshlrev_b32_e32 v78, 16, v41
	v_and_b32_e32 v41, 0xffff0000, v41
	v_lshlrev_b32_e32 v79, 16, v42
	v_and_b32_e32 v42, 0xffff0000, v42
	v_lshlrev_b32_e32 v80, 16, v43
	v_and_b32_e32 v43, 0xffff0000, v43
	;; [unrolled: 9-line block ×3, first 2 shown]
	v_add_co_u32 v5, vcc_lo, 0x100, v5
	v_add_co_ci_u32_e64 v6, null, 0, v6, vcc_lo
	v_add_co_u32 v13, vcc_lo, 0x800, v13
	v_add_co_ci_u32_e64 v14, null, 0, v14, vcc_lo
	v_add_co_u32 v9, vcc_lo, 0x2000, v9
	v_add_co_ci_u32_e64 v10, null, 0, v10, vcc_lo
	v_cmp_ge_i64_e32 vcc_lo, v[5:6], v[7:8]
	s_or_b32 s3, vcc_lo, s3
	s_waitcnt vmcnt(4)
	v_lshlrev_b32_e32 v89, 16, v23
	v_and_b32_e32 v23, 0xffff0000, v23
	s_waitcnt vmcnt(0)
	v_lshlrev_b32_e32 v85, 16, v48
	v_fmac_f32_e32 v12, v11, v89
	v_fmac_f32_e32 v27, v15, v89
	v_fmac_f32_e32 v26, v54, v89
	v_fmac_f32_e32 v25, v16, v89
	v_lshlrev_b32_e32 v11, 16, v24
	v_fmac_f32_e32 v12, v55, v23
	v_fmac_f32_e32 v27, v17, v23
	v_fmac_f32_e32 v26, v60, v23
	v_fmac_f32_e32 v25, v18, v23
	v_and_b32_e32 v15, 0xffff0000, v24
	v_fmac_f32_e32 v12, v61, v11
	v_fmac_f32_e32 v27, v19, v11
	v_fmac_f32_e32 v26, v62, v11
	v_fmac_f32_e32 v25, v20, v11
	v_lshlrev_b32_e32 v11, 16, v56
	v_fmac_f32_e32 v12, v63, v15
	v_fmac_f32_e32 v27, v21, v15
	v_fmac_f32_e32 v26, v64, v15
	v_fmac_f32_e32 v25, v22, v15
	v_and_b32_e32 v15, 0xffff0000, v56
	;; [unrolled: 10-line block ×6, first 2 shown]
	v_fmac_f32_e32 v12, v81, v11
	v_fmac_f32_e32 v27, v44, v11
	;; [unrolled: 1-line block ×4, first 2 shown]
	v_and_b32_e32 v48, 0xffff0000, v48
	v_lshlrev_b32_e32 v86, 16, v49
	v_and_b32_e32 v49, 0xffff0000, v49
	v_lshlrev_b32_e32 v11, 16, v53
	v_fmac_f32_e32 v12, v83, v15
	v_fmac_f32_e32 v27, v46, v15
	;; [unrolled: 1-line block ×4, first 2 shown]
	v_lshlrev_b32_e32 v87, 16, v50
	v_and_b32_e32 v50, 0xffff0000, v50
	v_lshlrev_b32_e32 v88, 16, v51
	v_and_b32_e32 v51, 0xffff0000, v51
	v_and_b32_e32 v15, 0xffff0000, v53
	v_fmac_f32_e32 v12, v85, v11
	v_fmac_f32_e32 v27, v48, v11
	;; [unrolled: 1-line block ×8, first 2 shown]
	s_andn2_b32 exec_lo, exec_lo, s3
	s_cbranch_execnz .LBB119_35
; %bb.36:
	s_or_b32 exec_lo, exec_lo, s3
.LBB119_37:
	s_or_b32 exec_lo, exec_lo, s0
.LBB119_38:
	s_or_b32 exec_lo, exec_lo, s1
.LBB119_39:
	v_mbcnt_lo_u32_b32 v1, -1, 0
	s_mov_b32 s3, -1
	v_or_b32_e32 v2, 32, v1
	v_xor_b32_e32 v8, 16, v1
	v_cmp_gt_i32_e32 vcc_lo, 32, v2
	v_cndmask_b32_e32 v2, v1, v2, vcc_lo
	v_cmp_gt_i32_e32 vcc_lo, 32, v8
	v_lshlrev_b32_e32 v2, 2, v2
	v_cndmask_b32_e32 v8, v1, v8, vcc_lo
	ds_bpermute_b32 v5, v2, v12
	ds_bpermute_b32 v6, v2, v27
	;; [unrolled: 1-line block ×4, first 2 shown]
	v_lshlrev_b32_e32 v8, 2, v8
	s_waitcnt lgkmcnt(3)
	v_add_f32_e32 v5, v12, v5
	s_waitcnt lgkmcnt(2)
	v_add_f32_e32 v6, v27, v6
	;; [unrolled: 2-line block ×4, first 2 shown]
	v_xor_b32_e32 v12, 8, v1
	ds_bpermute_b32 v9, v8, v5
	ds_bpermute_b32 v10, v8, v6
	;; [unrolled: 1-line block ×4, first 2 shown]
	v_cmp_gt_i32_e32 vcc_lo, 32, v12
	v_cndmask_b32_e32 v12, v1, v12, vcc_lo
	v_lshlrev_b32_e32 v12, 2, v12
	s_waitcnt lgkmcnt(3)
	v_add_f32_e32 v5, v5, v9
	s_waitcnt lgkmcnt(2)
	v_add_f32_e32 v6, v6, v10
	s_waitcnt lgkmcnt(1)
	v_add_f32_e32 v7, v7, v11
	s_waitcnt lgkmcnt(0)
	v_add_f32_e32 v2, v2, v8
	ds_bpermute_b32 v8, v12, v5
	ds_bpermute_b32 v9, v12, v6
	ds_bpermute_b32 v10, v12, v7
	ds_bpermute_b32 v11, v12, v2
	v_xor_b32_e32 v12, 4, v1
	v_cmp_gt_i32_e32 vcc_lo, 32, v12
	v_cndmask_b32_e32 v12, v1, v12, vcc_lo
	v_lshlrev_b32_e32 v12, 2, v12
	s_waitcnt lgkmcnt(3)
	v_add_f32_e32 v5, v5, v8
	s_waitcnt lgkmcnt(2)
	v_add_f32_e32 v6, v6, v9
	s_waitcnt lgkmcnt(1)
	v_add_f32_e32 v7, v7, v10
	s_waitcnt lgkmcnt(0)
	v_add_f32_e32 v2, v2, v11
	ds_bpermute_b32 v8, v12, v5
	ds_bpermute_b32 v9, v12, v6
	ds_bpermute_b32 v10, v12, v7
	ds_bpermute_b32 v11, v12, v2
	v_xor_b32_e32 v12, 2, v1
	;; [unrolled: 16-line block ×3, first 2 shown]
	v_cmp_gt_i32_e32 vcc_lo, 32, v12
	v_cndmask_b32_e32 v1, v1, v12, vcc_lo
	v_cmp_eq_u32_e32 vcc_lo, 63, v0
	v_lshlrev_b32_e32 v12, 2, v1
	s_waitcnt lgkmcnt(3)
	v_add_f32_e32 v1, v5, v2
	s_waitcnt lgkmcnt(2)
	v_add_f32_e32 v2, v6, v9
	;; [unrolled: 2-line block ×4, first 2 shown]
	ds_bpermute_b32 v7, v12, v1
	ds_bpermute_b32 v8, v12, v2
	;; [unrolled: 1-line block ×4, first 2 shown]
	s_and_b32 exec_lo, exec_lo, vcc_lo
	s_cbranch_execz .LBB119_10
; %bb.40:
	s_load_dwordx2 s[0:1], s[4:5], 0x58
	s_waitcnt lgkmcnt(0)
	v_add_f32_e32 v0, v1, v7
	v_add_f32_e32 v1, v2, v8
	;; [unrolled: 1-line block ×4, first 2 shown]
	v_cmp_eq_f32_e64 s4, s2, 0
	v_lshlrev_b64 v[4:5], 4, v[3:4]
	v_mul_f32_e32 v0, s16, v0
	v_mul_f32_e32 v1, s16, v1
	;; [unrolled: 1-line block ×4, first 2 shown]
	s_and_b32 vcc_lo, exec_lo, s4
	s_cbranch_vccz .LBB119_42
; %bb.41:
	v_add_co_u32 v6, vcc_lo, s0, v4
	v_add_co_ci_u32_e64 v7, null, s1, v5, vcc_lo
	s_mov_b32 s3, 0
	global_store_dwordx4 v[6:7], v[0:3], off
.LBB119_42:
	s_andn2_b32 vcc_lo, exec_lo, s3
	s_cbranch_vccnz .LBB119_10
; %bb.43:
	v_add_co_u32 v8, vcc_lo, s0, v4
	v_add_co_ci_u32_e64 v9, null, s1, v5, vcc_lo
	global_load_dwordx4 v[4:7], v[8:9], off
	s_waitcnt vmcnt(0)
	v_fmac_f32_e32 v0, s2, v4
	v_fmac_f32_e32 v1, s2, v5
	;; [unrolled: 1-line block ×4, first 2 shown]
	global_store_dwordx4 v[8:9], v[0:3], off
	s_endpgm
	.section	.rodata,"a",@progbits
	.p2align	6, 0x0
	.amdhsa_kernel _ZN9rocsparseL18bsrxmvn_4x4_kernelILj128ELj64Efll18rocsparse_bfloat16S1_fEEvT3_20rocsparse_direction_NS_24const_host_device_scalarIT1_EES2_PKS2_PKT2_SB_S8_PKT4_PKT5_S6_PT6_21rocsparse_index_base_b
		.amdhsa_group_segment_fixed_size 0
		.amdhsa_private_segment_fixed_size 0
		.amdhsa_kernarg_size 104
		.amdhsa_user_sgpr_count 6
		.amdhsa_user_sgpr_private_segment_buffer 1
		.amdhsa_user_sgpr_dispatch_ptr 0
		.amdhsa_user_sgpr_queue_ptr 0
		.amdhsa_user_sgpr_kernarg_segment_ptr 1
		.amdhsa_user_sgpr_dispatch_id 0
		.amdhsa_user_sgpr_flat_scratch_init 0
		.amdhsa_user_sgpr_private_segment_size 0
		.amdhsa_wavefront_size32 1
		.amdhsa_uses_dynamic_stack 0
		.amdhsa_system_sgpr_private_segment_wavefront_offset 0
		.amdhsa_system_sgpr_workgroup_id_x 1
		.amdhsa_system_sgpr_workgroup_id_y 0
		.amdhsa_system_sgpr_workgroup_id_z 0
		.amdhsa_system_sgpr_workgroup_info 0
		.amdhsa_system_vgpr_workitem_id 0
		.amdhsa_next_free_vgpr 96
		.amdhsa_next_free_sgpr 20
		.amdhsa_reserve_vcc 1
		.amdhsa_reserve_flat_scratch 0
		.amdhsa_float_round_mode_32 0
		.amdhsa_float_round_mode_16_64 0
		.amdhsa_float_denorm_mode_32 3
		.amdhsa_float_denorm_mode_16_64 3
		.amdhsa_dx10_clamp 1
		.amdhsa_ieee_mode 1
		.amdhsa_fp16_overflow 0
		.amdhsa_workgroup_processor_mode 1
		.amdhsa_memory_ordered 1
		.amdhsa_forward_progress 1
		.amdhsa_shared_vgpr_count 0
		.amdhsa_exception_fp_ieee_invalid_op 0
		.amdhsa_exception_fp_denorm_src 0
		.amdhsa_exception_fp_ieee_div_zero 0
		.amdhsa_exception_fp_ieee_overflow 0
		.amdhsa_exception_fp_ieee_underflow 0
		.amdhsa_exception_fp_ieee_inexact 0
		.amdhsa_exception_int_div_zero 0
	.end_amdhsa_kernel
	.section	.text._ZN9rocsparseL18bsrxmvn_4x4_kernelILj128ELj64Efll18rocsparse_bfloat16S1_fEEvT3_20rocsparse_direction_NS_24const_host_device_scalarIT1_EES2_PKS2_PKT2_SB_S8_PKT4_PKT5_S6_PT6_21rocsparse_index_base_b,"axG",@progbits,_ZN9rocsparseL18bsrxmvn_4x4_kernelILj128ELj64Efll18rocsparse_bfloat16S1_fEEvT3_20rocsparse_direction_NS_24const_host_device_scalarIT1_EES2_PKS2_PKT2_SB_S8_PKT4_PKT5_S6_PT6_21rocsparse_index_base_b,comdat
.Lfunc_end119:
	.size	_ZN9rocsparseL18bsrxmvn_4x4_kernelILj128ELj64Efll18rocsparse_bfloat16S1_fEEvT3_20rocsparse_direction_NS_24const_host_device_scalarIT1_EES2_PKS2_PKT2_SB_S8_PKT4_PKT5_S6_PT6_21rocsparse_index_base_b, .Lfunc_end119-_ZN9rocsparseL18bsrxmvn_4x4_kernelILj128ELj64Efll18rocsparse_bfloat16S1_fEEvT3_20rocsparse_direction_NS_24const_host_device_scalarIT1_EES2_PKS2_PKT2_SB_S8_PKT4_PKT5_S6_PT6_21rocsparse_index_base_b
                                        ; -- End function
	.set _ZN9rocsparseL18bsrxmvn_4x4_kernelILj128ELj64Efll18rocsparse_bfloat16S1_fEEvT3_20rocsparse_direction_NS_24const_host_device_scalarIT1_EES2_PKS2_PKT2_SB_S8_PKT4_PKT5_S6_PT6_21rocsparse_index_base_b.num_vgpr, 96
	.set _ZN9rocsparseL18bsrxmvn_4x4_kernelILj128ELj64Efll18rocsparse_bfloat16S1_fEEvT3_20rocsparse_direction_NS_24const_host_device_scalarIT1_EES2_PKS2_PKT2_SB_S8_PKT4_PKT5_S6_PT6_21rocsparse_index_base_b.num_agpr, 0
	.set _ZN9rocsparseL18bsrxmvn_4x4_kernelILj128ELj64Efll18rocsparse_bfloat16S1_fEEvT3_20rocsparse_direction_NS_24const_host_device_scalarIT1_EES2_PKS2_PKT2_SB_S8_PKT4_PKT5_S6_PT6_21rocsparse_index_base_b.numbered_sgpr, 20
	.set _ZN9rocsparseL18bsrxmvn_4x4_kernelILj128ELj64Efll18rocsparse_bfloat16S1_fEEvT3_20rocsparse_direction_NS_24const_host_device_scalarIT1_EES2_PKS2_PKT2_SB_S8_PKT4_PKT5_S6_PT6_21rocsparse_index_base_b.num_named_barrier, 0
	.set _ZN9rocsparseL18bsrxmvn_4x4_kernelILj128ELj64Efll18rocsparse_bfloat16S1_fEEvT3_20rocsparse_direction_NS_24const_host_device_scalarIT1_EES2_PKS2_PKT2_SB_S8_PKT4_PKT5_S6_PT6_21rocsparse_index_base_b.private_seg_size, 0
	.set _ZN9rocsparseL18bsrxmvn_4x4_kernelILj128ELj64Efll18rocsparse_bfloat16S1_fEEvT3_20rocsparse_direction_NS_24const_host_device_scalarIT1_EES2_PKS2_PKT2_SB_S8_PKT4_PKT5_S6_PT6_21rocsparse_index_base_b.uses_vcc, 1
	.set _ZN9rocsparseL18bsrxmvn_4x4_kernelILj128ELj64Efll18rocsparse_bfloat16S1_fEEvT3_20rocsparse_direction_NS_24const_host_device_scalarIT1_EES2_PKS2_PKT2_SB_S8_PKT4_PKT5_S6_PT6_21rocsparse_index_base_b.uses_flat_scratch, 0
	.set _ZN9rocsparseL18bsrxmvn_4x4_kernelILj128ELj64Efll18rocsparse_bfloat16S1_fEEvT3_20rocsparse_direction_NS_24const_host_device_scalarIT1_EES2_PKS2_PKT2_SB_S8_PKT4_PKT5_S6_PT6_21rocsparse_index_base_b.has_dyn_sized_stack, 0
	.set _ZN9rocsparseL18bsrxmvn_4x4_kernelILj128ELj64Efll18rocsparse_bfloat16S1_fEEvT3_20rocsparse_direction_NS_24const_host_device_scalarIT1_EES2_PKS2_PKT2_SB_S8_PKT4_PKT5_S6_PT6_21rocsparse_index_base_b.has_recursion, 0
	.set _ZN9rocsparseL18bsrxmvn_4x4_kernelILj128ELj64Efll18rocsparse_bfloat16S1_fEEvT3_20rocsparse_direction_NS_24const_host_device_scalarIT1_EES2_PKS2_PKT2_SB_S8_PKT4_PKT5_S6_PT6_21rocsparse_index_base_b.has_indirect_call, 0
	.section	.AMDGPU.csdata,"",@progbits
; Kernel info:
; codeLenInByte = 5076
; TotalNumSgprs: 22
; NumVgprs: 96
; ScratchSize: 0
; MemoryBound: 0
; FloatMode: 240
; IeeeMode: 1
; LDSByteSize: 0 bytes/workgroup (compile time only)
; SGPRBlocks: 0
; VGPRBlocks: 11
; NumSGPRsForWavesPerEU: 22
; NumVGPRsForWavesPerEU: 96
; Occupancy: 10
; WaveLimiterHint : 1
; COMPUTE_PGM_RSRC2:SCRATCH_EN: 0
; COMPUTE_PGM_RSRC2:USER_SGPR: 6
; COMPUTE_PGM_RSRC2:TRAP_HANDLER: 0
; COMPUTE_PGM_RSRC2:TGID_X_EN: 1
; COMPUTE_PGM_RSRC2:TGID_Y_EN: 0
; COMPUTE_PGM_RSRC2:TGID_Z_EN: 0
; COMPUTE_PGM_RSRC2:TIDIG_COMP_CNT: 0
	.section	.text._ZN9rocsparseL18bsrxmvn_4x4_kernelILj128ELj4E21rocsparse_complex_numIfEiifS2_S2_EEvT3_20rocsparse_direction_NS_24const_host_device_scalarIT1_EES3_PKS3_PKT2_SC_S9_PKT4_PKT5_S7_PT6_21rocsparse_index_base_b,"axG",@progbits,_ZN9rocsparseL18bsrxmvn_4x4_kernelILj128ELj4E21rocsparse_complex_numIfEiifS2_S2_EEvT3_20rocsparse_direction_NS_24const_host_device_scalarIT1_EES3_PKS3_PKT2_SC_S9_PKT4_PKT5_S7_PT6_21rocsparse_index_base_b,comdat
	.globl	_ZN9rocsparseL18bsrxmvn_4x4_kernelILj128ELj4E21rocsparse_complex_numIfEiifS2_S2_EEvT3_20rocsparse_direction_NS_24const_host_device_scalarIT1_EES3_PKS3_PKT2_SC_S9_PKT4_PKT5_S7_PT6_21rocsparse_index_base_b ; -- Begin function _ZN9rocsparseL18bsrxmvn_4x4_kernelILj128ELj4E21rocsparse_complex_numIfEiifS2_S2_EEvT3_20rocsparse_direction_NS_24const_host_device_scalarIT1_EES3_PKS3_PKT2_SC_S9_PKT4_PKT5_S7_PT6_21rocsparse_index_base_b
	.p2align	8
	.type	_ZN9rocsparseL18bsrxmvn_4x4_kernelILj128ELj4E21rocsparse_complex_numIfEiifS2_S2_EEvT3_20rocsparse_direction_NS_24const_host_device_scalarIT1_EES3_PKS3_PKT2_SC_S9_PKT4_PKT5_S7_PT6_21rocsparse_index_base_b,@function
_ZN9rocsparseL18bsrxmvn_4x4_kernelILj128ELj4E21rocsparse_complex_numIfEiifS2_S2_EEvT3_20rocsparse_direction_NS_24const_host_device_scalarIT1_EES3_PKS3_PKT2_SC_S9_PKT4_PKT5_S7_PT6_21rocsparse_index_base_b: ; @_ZN9rocsparseL18bsrxmvn_4x4_kernelILj128ELj4E21rocsparse_complex_numIfEiifS2_S2_EEvT3_20rocsparse_direction_NS_24const_host_device_scalarIT1_EES3_PKS3_PKT2_SC_S9_PKT4_PKT5_S7_PT6_21rocsparse_index_base_b
; %bb.0:
	s_clause 0x2
	s_load_dwordx2 s[2:3], s[4:5], 0x58
	s_load_dwordx2 s[0:1], s[4:5], 0x8
	s_load_dwordx2 s[8:9], s[4:5], 0x48
	s_add_u32 s7, s4, 8
	s_addc_u32 s10, s5, 0
	s_add_u32 s11, s4, 0x48
	s_addc_u32 s12, s5, 0
	s_waitcnt lgkmcnt(0)
	s_bitcmp1_b32 s3, 0
	s_cselect_b32 s0, s7, s0
	s_cselect_b32 s1, s10, s1
	v_mov_b32_e32 v1, s0
	v_mov_b32_e32 v2, s1
	s_cselect_b32 s0, s11, s8
	s_cselect_b32 s1, s12, s9
	flat_load_dwordx2 v[62:63], v[1:2]
	v_mov_b32_e32 v1, s0
	v_mov_b32_e32 v2, s1
	flat_load_dwordx2 v[60:61], v[1:2]
	s_waitcnt vmcnt(1) lgkmcnt(1)
	v_cmp_eq_f32_e32 vcc_lo, 0, v62
	v_cmp_eq_f32_e64 s0, 0, v63
	s_and_b32 s3, vcc_lo, s0
	s_mov_b32 s0, -1
	s_and_saveexec_b32 s1, s3
	s_cbranch_execz .LBB120_2
; %bb.1:
	s_waitcnt vmcnt(0) lgkmcnt(0)
	v_cmp_neq_f32_e32 vcc_lo, 1.0, v60
	v_cmp_neq_f32_e64 s0, 0, v61
	s_or_b32 s0, vcc_lo, s0
	s_orn2_b32 s0, s0, exec_lo
.LBB120_2:
	s_or_b32 exec_lo, exec_lo, s1
	s_and_saveexec_b32 s1, s0
	s_cbranch_execz .LBB120_8
; %bb.3:
	s_clause 0x1
	s_load_dwordx2 s[8:9], s[4:5], 0x18
	s_load_dwordx2 s[0:1], s[4:5], 0x0
	v_lshrrev_b32_e32 v1, 2, v0
	v_lshl_or_b32 v64, s6, 5, v1
	s_waitcnt lgkmcnt(0)
	s_cmp_lg_u64 s[8:9], 0
	s_cbranch_scc0 .LBB120_9
; %bb.4:
	s_load_dword s3, s[4:5], 0x10
	s_mov_b32 s6, 0
                                        ; implicit-def: $vgpr1
	s_waitcnt lgkmcnt(0)
	v_cmp_gt_i32_e32 vcc_lo, s3, v64
	s_mov_b32 s3, 0
	s_and_saveexec_b32 s7, vcc_lo
	s_xor_b32 s7, exec_lo, s7
	s_cbranch_execz .LBB120_6
; %bb.5:
	v_ashrrev_i32_e32 v65, 31, v64
	s_mov_b32 s3, exec_lo
	v_lshlrev_b64 v[1:2], 2, v[64:65]
	v_add_co_u32 v1, vcc_lo, s8, v1
	v_add_co_ci_u32_e64 v2, null, s9, v2, vcc_lo
	global_load_dword v1, v[1:2], off
	s_waitcnt vmcnt(0)
	v_subrev_nc_u32_e32 v1, s2, v1
.LBB120_6:
	s_or_b32 exec_lo, exec_lo, s7
	s_and_b32 vcc_lo, exec_lo, s6
	s_cbranch_vccz .LBB120_10
.LBB120_7:
	v_cmp_gt_i32_e32 vcc_lo, s0, v64
	s_andn2_b32 s0, s3, exec_lo
	s_and_b32 s3, vcc_lo, exec_lo
	s_or_b32 s3, s0, s3
	s_and_b32 exec_lo, exec_lo, s3
	s_cbranch_execnz .LBB120_11
.LBB120_8:
	s_endpgm
.LBB120_9:
	s_mov_b32 s3, 0
                                        ; implicit-def: $vgpr1
	s_cbranch_execnz .LBB120_7
.LBB120_10:
	v_mov_b32_e32 v64, v1
	s_and_b32 exec_lo, exec_lo, s3
	s_cbranch_execz .LBB120_8
.LBB120_11:
	s_load_dwordx8 s[8:15], s[4:5], 0x20
	v_ashrrev_i32_e32 v65, 31, v64
	v_and_b32_e32 v73, 3, v0
	s_load_dwordx2 s[6:7], s[4:5], 0x40
	v_lshlrev_b64 v[1:2], 2, v[64:65]
	s_waitcnt lgkmcnt(0)
	v_add_co_u32 v3, vcc_lo, s8, v1
	v_add_co_ci_u32_e64 v4, null, s9, v2, vcc_lo
	v_add_co_u32 v1, vcc_lo, s10, v1
	v_add_co_ci_u32_e64 v2, null, s11, v2, vcc_lo
	global_load_dword v83, v[3:4], off
	v_add_co_u32 v3, vcc_lo, v3, 4
	v_add_co_ci_u32_e64 v4, null, 0, v4, vcc_lo
	s_cmp_eq_u64 s[10:11], 0
	s_cselect_b32 vcc_lo, -1, 0
	s_cmp_eq_u32 s1, 1
	v_cndmask_b32_e32 v2, v2, v4, vcc_lo
	v_cndmask_b32_e32 v1, v1, v3, vcc_lo
	global_load_dword v2, v[1:2], off
	s_waitcnt vmcnt(1)
	v_subrev_nc_u32_e32 v0, s2, v83
	v_add_nc_u32_e32 v65, v0, v73
	v_ashrrev_i32_e32 v66, 31, v65
	s_waitcnt vmcnt(0)
	v_subrev_nc_u32_e32 v75, s2, v2
	v_lshlrev_b64 v[0:1], 6, v[65:66]
	v_cmp_lt_i32_e64 s0, v65, v75
	v_add_co_u32 v67, vcc_lo, s14, v0
	v_add_co_ci_u32_e64 v68, null, s15, v1, vcc_lo
	s_cbranch_scc1 .LBB120_23
; %bb.12:
	v_mov_b32_e32 v74, 0
	v_mov_b32_e32 v77, 0
	;; [unrolled: 1-line block ×8, first 2 shown]
	s_and_saveexec_b32 s1, s0
	s_cbranch_execz .LBB120_22
; %bb.13:
	v_add_nc_u32_e32 v0, v83, v73
	v_not_b32_e32 v1, v83
	v_mov_b32_e32 v70, v68
	v_mov_b32_e32 v76, 0
	;; [unrolled: 1-line block ×3, first 2 shown]
	v_subrev_nc_u32_e32 v0, s2, v0
	v_mov_b32_e32 v81, 0
	v_mov_b32_e32 v80, 0
	;; [unrolled: 1-line block ×4, first 2 shown]
	v_add_nc_u32_e32 v0, 4, v0
	v_mov_b32_e32 v77, 0
	v_mov_b32_e32 v74, 0
	;; [unrolled: 1-line block ×4, first 2 shown]
	v_max_i32_e32 v0, v0, v75
	s_mov_b32 s3, exec_lo
	v_add3_u32 v0, s2, v0, v1
	v_sub_nc_u32_e32 v0, v0, v73
	v_and_b32_e32 v1, 12, v0
	v_cmpx_ne_u32_e32 12, v1
	s_cbranch_execz .LBB120_17
; %bb.14:
	v_lshrrev_b32_e32 v1, 2, v0
	v_mov_b32_e32 v70, v68
	v_mov_b32_e32 v74, 0
	;; [unrolled: 1-line block ×4, first 2 shown]
	v_add_nc_u32_e32 v1, 1, v1
	v_mov_b32_e32 v77, 0
	v_mov_b32_e32 v78, 0
	;; [unrolled: 1-line block ×4, first 2 shown]
	v_and_b32_e32 v1, 3, v1
	v_mov_b32_e32 v81, 0
	v_mov_b32_e32 v82, 0
	;; [unrolled: 1-line block ×3, first 2 shown]
	s_mov_b32 s8, 0
	v_sub_nc_u32_e32 v1, 0, v1
.LBB120_15:                             ; =>This Inner Loop Header: Depth=1
	v_ashrrev_i32_e32 v72, 31, v71
	v_add_co_u32 v1, s9, v1, 1
	s_or_b32 s8, s9, s8
	v_lshlrev_b64 v[2:3], 2, v[71:72]
	v_add_nc_u32_e32 v71, 4, v71
	v_add_co_u32 v2, vcc_lo, s12, v2
	v_add_co_ci_u32_e64 v3, null, s13, v3, vcc_lo
	global_load_dword v18, v[2:3], off
	s_clause 0x3
	global_load_dwordx4 v[2:5], v[69:70], off offset:48
	global_load_dwordx4 v[6:9], v[69:70], off offset:32
	;; [unrolled: 1-line block ×3, first 2 shown]
	global_load_dwordx4 v[14:17], v[69:70], off
	s_waitcnt vmcnt(4)
	v_subrev_nc_u32_e32 v18, s2, v18
	v_lshlrev_b32_e32 v18, 2, v18
	v_ashrrev_i32_e32 v19, 31, v18
	v_lshlrev_b64 v[18:19], 3, v[18:19]
	v_add_co_u32 v22, vcc_lo, s6, v18
	v_add_co_ci_u32_e64 v23, null, s7, v19, vcc_lo
	v_add_co_u32 v69, vcc_lo, 0x100, v69
	v_add_co_ci_u32_e64 v70, null, 0, v70, vcc_lo
	s_clause 0x1
	global_load_dwordx4 v[18:21], v[22:23], off
	global_load_dwordx4 v[22:25], v[22:23], off offset:16
	s_waitcnt vmcnt(1)
	v_fmac_f32_e32 v77, v14, v18
	v_fmac_f32_e32 v74, 0, v18
	;; [unrolled: 1-line block ×32, first 2 shown]
	s_waitcnt vmcnt(0)
	v_fmac_f32_e32 v77, v16, v22
	v_fmac_f32_e32 v74, 0, v22
	;; [unrolled: 1-line block ×32, first 2 shown]
	s_andn2_b32 exec_lo, exec_lo, s8
	s_cbranch_execnz .LBB120_15
; %bb.16:
	s_or_b32 exec_lo, exec_lo, s8
.LBB120_17:
	s_or_b32 exec_lo, exec_lo, s3
	s_mov_b32 s3, exec_lo
	v_cmpx_lt_u32_e32 11, v0
	s_cbranch_execz .LBB120_21
; %bb.18:
	s_mov_b32 s8, 0
.LBB120_19:                             ; =>This Inner Loop Header: Depth=1
	v_ashrrev_i32_e32 v72, 31, v71
	s_clause 0xf
	global_load_dwordx4 v[0:3], v[69:70], off offset:48
	global_load_dwordx4 v[32:35], v[69:70], off offset:32
	;; [unrolled: 1-line block ×3, first 2 shown]
	global_load_dwordx4 v[44:47], v[69:70], off
	global_load_dwordx4 v[4:7], v[69:70], off offset:304
	global_load_dwordx4 v[8:11], v[69:70], off offset:288
	;; [unrolled: 1-line block ×12, first 2 shown]
	v_lshlrev_b64 v[88:89], 2, v[71:72]
	v_add_nc_u32_e32 v71, 16, v71
	v_add_co_u32 v88, vcc_lo, s12, v88
	v_add_co_ci_u32_e64 v89, null, s13, v89, vcc_lo
	s_clause 0x3
	global_load_dword v66, v[88:89], off
	global_load_dword v72, v[88:89], off offset:16
	global_load_dword v90, v[88:89], off offset:32
	;; [unrolled: 1-line block ×3, first 2 shown]
	s_waitcnt vmcnt(3)
	v_subrev_nc_u32_e32 v66, s2, v66
	s_waitcnt vmcnt(2)
	v_subrev_nc_u32_e32 v72, s2, v72
	;; [unrolled: 2-line block ×4, first 2 shown]
	v_lshlrev_b32_e32 v88, 2, v66
	v_lshlrev_b32_e32 v90, 2, v72
	;; [unrolled: 1-line block ×4, first 2 shown]
	v_ashrrev_i32_e32 v89, 31, v88
	v_ashrrev_i32_e32 v91, 31, v90
	;; [unrolled: 1-line block ×4, first 2 shown]
	v_lshlrev_b64 v[88:89], 3, v[88:89]
	v_lshlrev_b64 v[90:91], 3, v[90:91]
	v_lshlrev_b64 v[92:93], 3, v[92:93]
	v_lshlrev_b64 v[94:95], 3, v[94:95]
	v_add_co_u32 v96, vcc_lo, s6, v88
	v_add_co_ci_u32_e64 v97, null, s7, v89, vcc_lo
	v_add_co_u32 v98, vcc_lo, s6, v90
	v_add_co_ci_u32_e64 v99, null, s7, v91, vcc_lo
	;; [unrolled: 2-line block ×4, first 2 shown]
	s_clause 0x1
	global_load_dwordx4 v[88:91], v[96:97], off
	global_load_dwordx4 v[92:95], v[96:97], off offset:16
	v_add_co_u32 v69, vcc_lo, 0x400, v69
	v_add_co_ci_u32_e64 v70, null, 0, v70, vcc_lo
	v_cmp_ge_i32_e32 vcc_lo, v71, v75
	s_or_b32 s8, vcc_lo, s8
	s_waitcnt vmcnt(1)
	v_fmac_f32_e32 v77, v44, v88
	v_fmac_f32_e32 v74, 0, v88
	;; [unrolled: 1-line block ×32, first 2 shown]
	global_load_dwordx4 v[88:91], v[98:99], off
	s_waitcnt vmcnt(1)
	v_fmac_f32_e32 v74, 0, v92
	v_fmac_f32_e32 v77, v46, v92
	;; [unrolled: 1-line block ×16, first 2 shown]
	global_load_dwordx4 v[44:47], v[98:99], off offset:16
	v_fmac_f32_e32 v78, v43, v95
	s_clause 0x1
	global_load_dwordx4 v[40:43], v[100:101], off
	global_load_dwordx4 v[96:99], v[100:101], off offset:16
	v_fmac_f32_e32 v81, 0x80000000, v93
	v_fmac_f32_e32 v80, 0, v94
	;; [unrolled: 1-line block ×7, first 2 shown]
	global_load_dwordx4 v[32:35], v[102:103], off
	v_fmac_f32_e32 v82, v2, v93
	v_fmac_f32_e32 v76, 0x80000000, v93
	;; [unrolled: 1-line block ×7, first 2 shown]
	global_load_dwordx4 v[0:3], v[102:103], off offset:16
	v_fmac_f32_e32 v76, 0x80000000, v95
	s_waitcnt vmcnt(5)
	v_fmac_f32_e32 v77, v16, v88
	v_fmac_f32_e32 v74, 0, v88
	v_fmac_f32_e32 v79, v12, v88
	v_fmac_f32_e32 v78, 0, v88
	v_fmac_f32_e32 v81, v8, v88
	v_fmac_f32_e32 v80, 0, v88
	v_fmac_f32_e32 v76, v4, v88
	v_fmac_f32_e32 v82, 0, v88
	v_fmac_f32_e32 v77, 0x80000000, v89
	v_fmac_f32_e32 v74, v16, v89
	v_fmac_f32_e32 v79, 0x80000000, v89
	v_fmac_f32_e32 v78, v12, v89
	v_fmac_f32_e32 v81, 0x80000000, v89
	v_fmac_f32_e32 v80, v8, v89
	v_fmac_f32_e32 v76, 0x80000000, v89
	v_fmac_f32_e32 v82, v4, v89
	v_fmac_f32_e32 v77, v17, v90
	v_fmac_f32_e32 v74, 0, v90
	v_fmac_f32_e32 v79, v13, v90
	v_fmac_f32_e32 v78, 0, v90
	v_fmac_f32_e32 v81, v9, v90
	v_fmac_f32_e32 v80, 0, v90
	v_fmac_f32_e32 v76, v5, v90
	v_fmac_f32_e32 v82, 0, v90
	v_fmac_f32_e32 v77, 0x80000000, v91
	v_fmac_f32_e32 v74, v17, v91
	v_fmac_f32_e32 v79, 0x80000000, v91
	v_fmac_f32_e32 v78, v13, v91
	v_fmac_f32_e32 v81, 0x80000000, v91
	v_fmac_f32_e32 v80, v9, v91
	v_fmac_f32_e32 v76, 0x80000000, v91
	v_fmac_f32_e32 v82, v5, v91
	s_waitcnt vmcnt(4)
	v_fmac_f32_e32 v74, 0, v44
	v_fmac_f32_e32 v77, v18, v44
	v_fmac_f32_e32 v78, 0, v44
	v_fmac_f32_e32 v79, v14, v44
	v_fmac_f32_e32 v80, 0, v44
	v_fmac_f32_e32 v81, v10, v44
	v_fmac_f32_e32 v76, v6, v44
	v_fmac_f32_e32 v82, 0, v44
	v_fmac_f32_e32 v74, v18, v45
	v_fmac_f32_e32 v77, 0x80000000, v45
	v_fmac_f32_e32 v78, v14, v45
	v_fmac_f32_e32 v79, 0x80000000, v45
	v_fmac_f32_e32 v80, v10, v45
	v_fmac_f32_e32 v81, 0x80000000, v45
	v_fmac_f32_e32 v76, 0x80000000, v45
	v_fmac_f32_e32 v82, v6, v45
	v_fmac_f32_e32 v74, 0, v46
	v_fmac_f32_e32 v77, v19, v46
	v_fmac_f32_e32 v78, 0, v46
	v_fmac_f32_e32 v79, v15, v46
	v_fmac_f32_e32 v80, 0, v46
	v_fmac_f32_e32 v81, v11, v46
	v_fmac_f32_e32 v76, v7, v46
	v_fmac_f32_e32 v82, 0, v46
	v_fmac_f32_e32 v74, v19, v47
	v_fmac_f32_e32 v78, v15, v47
	v_fmac_f32_e32 v80, v11, v47
	v_fmac_f32_e32 v77, 0x80000000, v47
	v_fmac_f32_e32 v79, 0x80000000, v47
	v_fmac_f32_e32 v81, 0x80000000, v47
	v_fmac_f32_e32 v76, 0x80000000, v47
	;; [unrolled: 33-line block ×6, first 2 shown]
	v_fmac_f32_e32 v82, v51, v3
	s_andn2_b32 exec_lo, exec_lo, s8
	s_cbranch_execnz .LBB120_19
; %bb.20:
	s_or_b32 exec_lo, exec_lo, s8
.LBB120_21:
	s_or_b32 exec_lo, exec_lo, s3
.LBB120_22:
	s_or_b32 exec_lo, exec_lo, s1
	s_cbranch_execz .LBB120_24
	s_branch .LBB120_35
.LBB120_23:
                                        ; implicit-def: $vgpr74
                                        ; implicit-def: $vgpr77
                                        ; implicit-def: $vgpr78
                                        ; implicit-def: $vgpr79
                                        ; implicit-def: $vgpr80
                                        ; implicit-def: $vgpr81
                                        ; implicit-def: $vgpr82
                                        ; implicit-def: $vgpr76
.LBB120_24:
	v_mov_b32_e32 v74, 0
	v_mov_b32_e32 v77, 0
	;; [unrolled: 1-line block ×8, first 2 shown]
	s_and_saveexec_b32 s1, s0
	s_cbranch_execz .LBB120_34
; %bb.25:
	v_add_nc_u32_e32 v0, v83, v73
	v_not_b32_e32 v1, v83
	v_mov_b32_e32 v76, 0
	v_mov_b32_e32 v82, 0
	;; [unrolled: 1-line block ×3, first 2 shown]
	v_subrev_nc_u32_e32 v0, s2, v0
	v_mov_b32_e32 v80, 0
	v_mov_b32_e32 v79, 0
	;; [unrolled: 1-line block ×4, first 2 shown]
	v_add_nc_u32_e32 v0, 4, v0
	v_mov_b32_e32 v74, 0
	s_mov_b32 s0, exec_lo
	v_max_i32_e32 v0, v0, v75
	v_add3_u32 v0, s2, v0, v1
	v_sub_nc_u32_e32 v0, v0, v73
	v_and_b32_e32 v1, 12, v0
	v_cmpx_ne_u32_e32 12, v1
	s_cbranch_execz .LBB120_29
; %bb.26:
	v_lshrrev_b32_e32 v1, 2, v0
	v_mov_b32_e32 v74, 0
	v_mov_b32_e32 v77, 0
	;; [unrolled: 1-line block ×4, first 2 shown]
	v_add_nc_u32_e32 v1, 1, v1
	v_mov_b32_e32 v80, 0
	v_mov_b32_e32 v81, 0
	;; [unrolled: 1-line block ×4, first 2 shown]
	v_and_b32_e32 v1, 3, v1
	s_mov_b32 s3, 0
	v_sub_nc_u32_e32 v1, 0, v1
.LBB120_27:                             ; =>This Inner Loop Header: Depth=1
	v_ashrrev_i32_e32 v66, 31, v65
	v_add_co_u32 v1, s8, v1, 1
	s_or_b32 s3, s8, s3
	v_lshlrev_b64 v[2:3], 2, v[65:66]
	v_add_nc_u32_e32 v65, 4, v65
	v_add_co_u32 v2, vcc_lo, s12, v2
	v_add_co_ci_u32_e64 v3, null, s13, v3, vcc_lo
	global_load_dword v10, v[2:3], off
	s_clause 0x1
	global_load_dwordx4 v[2:5], v[67:68], off offset:16
	global_load_dwordx4 v[6:9], v[67:68], off
	s_waitcnt vmcnt(2)
	v_subrev_nc_u32_e32 v10, s2, v10
	v_lshlrev_b32_e32 v10, 2, v10
	v_ashrrev_i32_e32 v11, 31, v10
	v_lshlrev_b64 v[10:11], 3, v[10:11]
	v_add_co_u32 v14, vcc_lo, s6, v10
	v_add_co_ci_u32_e64 v15, null, s7, v11, vcc_lo
	s_clause 0x1
	global_load_dwordx4 v[10:13], v[14:15], off
	global_load_dwordx4 v[14:17], v[14:15], off offset:16
	s_clause 0x1
	global_load_dwordx4 v[18:21], v[67:68], off offset:32
	global_load_dwordx4 v[22:25], v[67:68], off offset:48
	v_add_co_u32 v67, vcc_lo, 0x100, v67
	v_add_co_ci_u32_e64 v68, null, 0, v68, vcc_lo
	s_waitcnt vmcnt(3)
	v_fmac_f32_e32 v77, v6, v10
	v_fmac_f32_e32 v74, 0, v10
	;; [unrolled: 1-line block ×32, first 2 shown]
	s_waitcnt vmcnt(1)
	v_fmac_f32_e32 v77, v18, v14
	v_fmac_f32_e32 v74, 0, v14
	;; [unrolled: 1-line block ×16, first 2 shown]
	s_waitcnt vmcnt(0)
	v_fmac_f32_e32 v77, v22, v16
	v_fmac_f32_e32 v74, 0, v16
	;; [unrolled: 1-line block ×16, first 2 shown]
	s_andn2_b32 exec_lo, exec_lo, s3
	s_cbranch_execnz .LBB120_27
; %bb.28:
	s_or_b32 exec_lo, exec_lo, s3
.LBB120_29:
	s_or_b32 exec_lo, exec_lo, s0
	s_mov_b32 s0, exec_lo
	v_cmpx_lt_u32_e32 11, v0
	s_cbranch_execz .LBB120_33
; %bb.30:
	s_mov_b32 s3, 0
.LBB120_31:                             ; =>This Inner Loop Header: Depth=1
	v_ashrrev_i32_e32 v66, 31, v65
	s_clause 0xb
	global_load_dwordx4 v[8:11], v[67:68], off offset:48
	global_load_dwordx4 v[16:19], v[67:68], off offset:32
	;; [unrolled: 1-line block ×3, first 2 shown]
	global_load_dwordx4 v[32:35], v[67:68], off
	global_load_dwordx4 v[0:3], v[67:68], off offset:304
	global_load_dwordx4 v[4:7], v[67:68], off offset:288
	;; [unrolled: 1-line block ×8, first 2 shown]
	v_lshlrev_b64 v[48:49], 2, v[65:66]
	v_add_nc_u32_e32 v65, 16, v65
	v_add_co_u32 v48, vcc_lo, s12, v48
	v_add_co_ci_u32_e64 v49, null, s13, v49, vcc_lo
	s_clause 0x3
	global_load_dword v50, v[48:49], off
	global_load_dword v51, v[48:49], off offset:16
	global_load_dword v52, v[48:49], off offset:32
	;; [unrolled: 1-line block ×3, first 2 shown]
	s_waitcnt vmcnt(3)
	v_subrev_nc_u32_e32 v49, s2, v50
	s_waitcnt vmcnt(2)
	v_subrev_nc_u32_e32 v50, s2, v51
	;; [unrolled: 2-line block ×4, first 2 shown]
	v_lshlrev_b32_e32 v48, 2, v49
	v_lshlrev_b32_e32 v50, 2, v50
	;; [unrolled: 1-line block ×4, first 2 shown]
	v_ashrrev_i32_e32 v49, 31, v48
	v_ashrrev_i32_e32 v51, 31, v50
	v_ashrrev_i32_e32 v53, 31, v52
	v_ashrrev_i32_e32 v55, 31, v54
	v_lshlrev_b64 v[48:49], 3, v[48:49]
	v_lshlrev_b64 v[50:51], 3, v[50:51]
	;; [unrolled: 1-line block ×4, first 2 shown]
	v_add_co_u32 v56, vcc_lo, s6, v48
	v_add_co_ci_u32_e64 v57, null, s7, v49, vcc_lo
	v_add_co_u32 v58, vcc_lo, s6, v50
	v_add_co_ci_u32_e64 v59, null, s7, v51, vcc_lo
	v_add_co_u32 v69, vcc_lo, s6, v52
	v_add_co_ci_u32_e64 v70, null, s7, v53, vcc_lo
	v_add_co_u32 v71, vcc_lo, s6, v54
	v_add_co_ci_u32_e64 v72, null, s7, v55, vcc_lo
	s_clause 0x1
	global_load_dwordx4 v[48:51], v[56:57], off
	global_load_dwordx4 v[52:55], v[56:57], off offset:16
	s_waitcnt vmcnt(1)
	v_fmac_f32_e32 v74, 0, v48
	v_fmac_f32_e32 v78, 0, v48
	;; [unrolled: 1-line block ×32, first 2 shown]
	s_waitcnt vmcnt(0)
	v_fmac_f32_e32 v74, 0, v52
	v_fmac_f32_e32 v78, 0, v52
	;; [unrolled: 1-line block ×12, first 2 shown]
	global_load_dwordx4 v[16:19], v[58:59], off
	v_fmac_f32_e32 v77, 0x80000000, v53
	v_fmac_f32_e32 v79, 0x80000000, v53
	;; [unrolled: 1-line block ×16, first 2 shown]
	global_load_dwordx4 v[8:11], v[58:59], off offset:16
	s_clause 0x2
	global_load_dwordx4 v[32:35], v[67:68], off offset:784
	global_load_dwordx4 v[24:27], v[67:68], off offset:768
	;; [unrolled: 1-line block ×3, first 2 shown]
	v_fmac_f32_e32 v77, 0x80000000, v55
	v_fmac_f32_e32 v79, 0x80000000, v55
	;; [unrolled: 1-line block ×4, first 2 shown]
	s_clause 0x1
	global_load_dwordx4 v[52:55], v[69:70], off
	global_load_dwordx4 v[56:59], v[69:70], off offset:16
	s_waitcnt vmcnt(6)
	v_fmac_f32_e32 v74, 0, v16
	v_fmac_f32_e32 v78, 0, v16
	;; [unrolled: 1-line block ×12, first 2 shown]
	global_load_dwordx4 v[28:31], v[71:72], off
	v_fmac_f32_e32 v77, 0x80000000, v17
	v_fmac_f32_e32 v79, 0x80000000, v17
	;; [unrolled: 1-line block ×16, first 2 shown]
	global_load_dwordx4 v[20:23], v[71:72], off offset:16
	v_fmac_f32_e32 v77, 0x80000000, v19
	v_fmac_f32_e32 v79, 0x80000000, v19
	;; [unrolled: 1-line block ×4, first 2 shown]
	global_load_dwordx4 v[16:19], v[67:68], off offset:816
	s_waitcnt vmcnt(8)
	v_fmac_f32_e32 v77, v4, v8
	v_fmac_f32_e32 v74, 0, v8
	v_fmac_f32_e32 v79, v5, v8
	v_fmac_f32_e32 v78, 0, v8
	v_fmac_f32_e32 v81, v6, v8
	v_fmac_f32_e32 v80, 0, v8
	v_fmac_f32_e32 v82, 0, v8
	v_fmac_f32_e32 v76, v7, v8
	v_fmac_f32_e32 v74, v4, v9
	v_fmac_f32_e32 v78, v5, v9
	v_fmac_f32_e32 v80, v6, v9
	v_fmac_f32_e32 v77, 0x80000000, v9
	v_fmac_f32_e32 v82, v7, v9
	v_fmac_f32_e32 v79, 0x80000000, v9
	v_fmac_f32_e32 v81, 0x80000000, v9
	v_fmac_f32_e32 v76, 0x80000000, v9
	v_fmac_f32_e32 v77, v0, v10
	v_fmac_f32_e32 v74, 0, v10
	v_fmac_f32_e32 v79, v1, v10
	v_fmac_f32_e32 v78, 0, v10
	v_fmac_f32_e32 v81, v2, v10
	v_fmac_f32_e32 v80, 0, v10
	v_fmac_f32_e32 v82, 0, v10
	v_fmac_f32_e32 v76, v3, v10
	v_fmac_f32_e32 v74, v0, v11
	v_fmac_f32_e32 v78, v1, v11
	v_fmac_f32_e32 v80, v2, v11
	v_fmac_f32_e32 v77, 0x80000000, v11
	v_fmac_f32_e32 v82, v3, v11
	v_fmac_f32_e32 v79, 0x80000000, v11
	v_fmac_f32_e32 v81, 0x80000000, v11
	v_fmac_f32_e32 v76, 0x80000000, v11
	s_waitcnt vmcnt(4)
	v_fmac_f32_e32 v77, v44, v52
	v_fmac_f32_e32 v74, 0, v52
	v_fmac_f32_e32 v79, v45, v52
	v_fmac_f32_e32 v78, 0, v52
	v_fmac_f32_e32 v81, v46, v52
	v_fmac_f32_e32 v80, 0, v52
	v_fmac_f32_e32 v82, 0, v52
	v_fmac_f32_e32 v76, v47, v52
	v_fmac_f32_e32 v74, v44, v53
	v_fmac_f32_e32 v78, v45, v53
	v_fmac_f32_e32 v80, v46, v53
	v_fmac_f32_e32 v77, 0x80000000, v53
	v_fmac_f32_e32 v82, v47, v53
	v_fmac_f32_e32 v79, 0x80000000, v53
	v_fmac_f32_e32 v81, 0x80000000, v53
	v_fmac_f32_e32 v76, 0x80000000, v53
	v_fmac_f32_e32 v77, v40, v54
	v_fmac_f32_e32 v74, 0, v54
	v_fmac_f32_e32 v79, v41, v54
	v_fmac_f32_e32 v78, 0, v54
	v_fmac_f32_e32 v81, v42, v54
	v_fmac_f32_e32 v80, 0, v54
	v_fmac_f32_e32 v76, v43, v54
	v_fmac_f32_e32 v82, 0, v54
	v_fmac_f32_e32 v77, 0x80000000, v55
	v_fmac_f32_e32 v74, v40, v55
	v_fmac_f32_e32 v79, 0x80000000, v55
	v_fmac_f32_e32 v78, v41, v55
	v_fmac_f32_e32 v81, 0x80000000, v55
	v_fmac_f32_e32 v80, v42, v55
	v_fmac_f32_e32 v76, 0x80000000, v55
	v_fmac_f32_e32 v82, v43, v55
	s_waitcnt vmcnt(3)
	v_fmac_f32_e32 v77, v36, v56
	v_fmac_f32_e32 v74, 0, v56
	v_fmac_f32_e32 v79, v37, v56
	v_fmac_f32_e32 v78, 0, v56
	v_fmac_f32_e32 v81, v38, v56
	v_fmac_f32_e32 v80, 0, v56
	v_fmac_f32_e32 v76, v39, v56
	v_fmac_f32_e32 v82, 0, v56
	v_fmac_f32_e32 v77, 0x80000000, v57
	v_fmac_f32_e32 v74, v36, v57
	v_fmac_f32_e32 v79, 0x80000000, v57
	v_fmac_f32_e32 v78, v37, v57
	v_fmac_f32_e32 v81, 0x80000000, v57
	v_fmac_f32_e32 v80, v38, v57
	v_fmac_f32_e32 v76, 0x80000000, v57
	v_fmac_f32_e32 v82, v39, v57
	v_fmac_f32_e32 v77, v12, v58
	v_fmac_f32_e32 v74, 0, v58
	v_fmac_f32_e32 v79, v13, v58
	v_fmac_f32_e32 v78, 0, v58
	v_fmac_f32_e32 v81, v14, v58
	v_fmac_f32_e32 v80, 0, v58
	v_fmac_f32_e32 v76, v15, v58
	v_fmac_f32_e32 v82, 0, v58
	v_fmac_f32_e32 v77, 0x80000000, v59
	v_fmac_f32_e32 v74, v12, v59
	v_fmac_f32_e32 v79, 0x80000000, v59
	v_fmac_f32_e32 v78, v13, v59
	v_fmac_f32_e32 v81, 0x80000000, v59
	v_fmac_f32_e32 v80, v14, v59
	v_fmac_f32_e32 v76, 0x80000000, v59
	v_fmac_f32_e32 v82, v15, v59
	v_add_co_u32 v67, vcc_lo, 0x400, v67
	v_add_co_ci_u32_e64 v68, null, 0, v68, vcc_lo
	v_cmp_ge_i32_e32 vcc_lo, v65, v75
	s_or_b32 s3, vcc_lo, s3
	s_waitcnt vmcnt(2)
	v_fmac_f32_e32 v77, v24, v28
	v_fmac_f32_e32 v74, 0, v28
	;; [unrolled: 1-line block ×32, first 2 shown]
	s_waitcnt vmcnt(1)
	v_fmac_f32_e32 v77, v48, v20
	v_fmac_f32_e32 v74, 0, v20
	;; [unrolled: 1-line block ×16, first 2 shown]
	s_waitcnt vmcnt(0)
	v_fmac_f32_e32 v77, v16, v22
	v_fmac_f32_e32 v74, 0, v22
	;; [unrolled: 1-line block ×16, first 2 shown]
	s_andn2_b32 exec_lo, exec_lo, s3
	s_cbranch_execnz .LBB120_31
; %bb.32:
	s_or_b32 exec_lo, exec_lo, s3
.LBB120_33:
	s_or_b32 exec_lo, exec_lo, s0
.LBB120_34:
	s_or_b32 exec_lo, exec_lo, s1
.LBB120_35:
	v_mbcnt_lo_u32_b32 v0, -1, 0
	v_xor_b32_e32 v1, 2, v0
	v_cmp_gt_i32_e32 vcc_lo, 32, v1
	v_cndmask_b32_e32 v1, v0, v1, vcc_lo
	v_lshlrev_b32_e32 v1, 2, v1
	ds_bpermute_b32 v2, v1, v77
	ds_bpermute_b32 v3, v1, v74
	ds_bpermute_b32 v4, v1, v79
	ds_bpermute_b32 v5, v1, v78
	ds_bpermute_b32 v6, v1, v81
	ds_bpermute_b32 v7, v1, v80
	ds_bpermute_b32 v8, v1, v76
	ds_bpermute_b32 v9, v1, v82
	v_xor_b32_e32 v1, 1, v0
	v_cmp_gt_i32_e32 vcc_lo, 32, v1
	v_cndmask_b32_e32 v0, v0, v1, vcc_lo
	v_cmp_eq_u32_e32 vcc_lo, 3, v73
	s_waitcnt lgkmcnt(6)
	v_add_f32_e32 v1, v74, v3
	v_lshlrev_b32_e32 v15, 2, v0
	v_add_f32_e32 v0, v77, v2
	s_waitcnt lgkmcnt(5)
	v_add_f32_e32 v2, v79, v4
	s_waitcnt lgkmcnt(4)
	;; [unrolled: 2-line block ×6, first 2 shown]
	v_add_f32_e32 v7, v82, v9
	ds_bpermute_b32 v8, v15, v0
	ds_bpermute_b32 v9, v15, v1
	;; [unrolled: 1-line block ×8, first 2 shown]
	s_and_b32 exec_lo, exec_lo, vcc_lo
	s_cbranch_execz .LBB120_8
; %bb.36:
	s_load_dwordx2 s[2:3], s[4:5], 0x50
	s_waitcnt lgkmcnt(0)
	v_add_f32_e32 v8, v0, v8
	v_add_f32_e32 v0, v1, v9
	;; [unrolled: 1-line block ×8, first 2 shown]
	v_mul_f32_e64 v4, v0, -v63
	v_mul_f32_e32 v5, v62, v0
	v_mul_f32_e64 v6, v1, -v63
	v_mul_f32_e32 v7, v62, v1
	;; [unrolled: 2-line block ×4, first 2 shown]
	v_cmp_eq_f32_e32 vcc_lo, 0, v60
	v_cmp_eq_f32_e64 s0, 0, v61
	v_fmac_f32_e32 v4, v62, v8
	v_fmac_f32_e32 v5, v63, v8
	v_lshlrev_b32_e32 v8, 2, v64
	v_fmac_f32_e32 v6, v62, v9
	v_fmac_f32_e32 v7, v63, v9
	;; [unrolled: 1-line block ×6, first 2 shown]
	s_and_b32 s0, vcc_lo, s0
	s_and_saveexec_b32 s1, s0
	s_xor_b32 s0, exec_lo, s1
	s_cbranch_execz .LBB120_38
; %bb.37:
	v_ashrrev_i32_e32 v9, 31, v8
                                        ; implicit-def: $vgpr60_vgpr61
	v_lshlrev_b64 v[8:9], 3, v[8:9]
	v_add_co_u32 v8, vcc_lo, s2, v8
	v_add_co_ci_u32_e64 v9, null, s3, v9, vcc_lo
	global_store_dwordx4 v[8:9], v[4:7], off
	global_store_dwordx4 v[8:9], v[0:3], off offset:16
                                        ; implicit-def: $vgpr4
                                        ; implicit-def: $vgpr8
                                        ; implicit-def: $vgpr0
.LBB120_38:
	s_andn2_saveexec_b32 s0, s0
	s_cbranch_execz .LBB120_8
; %bb.39:
	v_ashrrev_i32_e32 v9, 31, v8
	v_lshlrev_b64 v[8:9], 3, v[8:9]
	v_add_co_u32 v16, vcc_lo, s2, v8
	v_add_co_ci_u32_e64 v17, null, s3, v9, vcc_lo
	s_clause 0x1
	global_load_dwordx4 v[8:11], v[16:17], off
	global_load_dwordx4 v[12:15], v[16:17], off offset:16
	s_waitcnt vmcnt(1)
	v_fmac_f32_e32 v4, v60, v8
	v_fmac_f32_e32 v5, v61, v8
	;; [unrolled: 1-line block ×4, first 2 shown]
	s_waitcnt vmcnt(0)
	v_fmac_f32_e32 v0, v60, v12
	v_fmac_f32_e32 v1, v61, v12
	;; [unrolled: 1-line block ×4, first 2 shown]
	v_fma_f32 v4, -v61, v9, v4
	v_fmac_f32_e32 v5, v60, v9
	v_fma_f32 v6, -v61, v11, v6
	v_fmac_f32_e32 v7, v60, v11
	;; [unrolled: 2-line block ×4, first 2 shown]
	global_store_dwordx4 v[16:17], v[4:7], off
	global_store_dwordx4 v[16:17], v[0:3], off offset:16
	s_endpgm
	.section	.rodata,"a",@progbits
	.p2align	6, 0x0
	.amdhsa_kernel _ZN9rocsparseL18bsrxmvn_4x4_kernelILj128ELj4E21rocsparse_complex_numIfEiifS2_S2_EEvT3_20rocsparse_direction_NS_24const_host_device_scalarIT1_EES3_PKS3_PKT2_SC_S9_PKT4_PKT5_S7_PT6_21rocsparse_index_base_b
		.amdhsa_group_segment_fixed_size 0
		.amdhsa_private_segment_fixed_size 0
		.amdhsa_kernarg_size 96
		.amdhsa_user_sgpr_count 6
		.amdhsa_user_sgpr_private_segment_buffer 1
		.amdhsa_user_sgpr_dispatch_ptr 0
		.amdhsa_user_sgpr_queue_ptr 0
		.amdhsa_user_sgpr_kernarg_segment_ptr 1
		.amdhsa_user_sgpr_dispatch_id 0
		.amdhsa_user_sgpr_flat_scratch_init 0
		.amdhsa_user_sgpr_private_segment_size 0
		.amdhsa_wavefront_size32 1
		.amdhsa_uses_dynamic_stack 0
		.amdhsa_system_sgpr_private_segment_wavefront_offset 0
		.amdhsa_system_sgpr_workgroup_id_x 1
		.amdhsa_system_sgpr_workgroup_id_y 0
		.amdhsa_system_sgpr_workgroup_id_z 0
		.amdhsa_system_sgpr_workgroup_info 0
		.amdhsa_system_vgpr_workitem_id 0
		.amdhsa_next_free_vgpr 104
		.amdhsa_next_free_sgpr 16
		.amdhsa_reserve_vcc 1
		.amdhsa_reserve_flat_scratch 0
		.amdhsa_float_round_mode_32 0
		.amdhsa_float_round_mode_16_64 0
		.amdhsa_float_denorm_mode_32 3
		.amdhsa_float_denorm_mode_16_64 3
		.amdhsa_dx10_clamp 1
		.amdhsa_ieee_mode 1
		.amdhsa_fp16_overflow 0
		.amdhsa_workgroup_processor_mode 1
		.amdhsa_memory_ordered 1
		.amdhsa_forward_progress 1
		.amdhsa_shared_vgpr_count 0
		.amdhsa_exception_fp_ieee_invalid_op 0
		.amdhsa_exception_fp_denorm_src 0
		.amdhsa_exception_fp_ieee_div_zero 0
		.amdhsa_exception_fp_ieee_overflow 0
		.amdhsa_exception_fp_ieee_underflow 0
		.amdhsa_exception_fp_ieee_inexact 0
		.amdhsa_exception_int_div_zero 0
	.end_amdhsa_kernel
	.section	.text._ZN9rocsparseL18bsrxmvn_4x4_kernelILj128ELj4E21rocsparse_complex_numIfEiifS2_S2_EEvT3_20rocsparse_direction_NS_24const_host_device_scalarIT1_EES3_PKS3_PKT2_SC_S9_PKT4_PKT5_S7_PT6_21rocsparse_index_base_b,"axG",@progbits,_ZN9rocsparseL18bsrxmvn_4x4_kernelILj128ELj4E21rocsparse_complex_numIfEiifS2_S2_EEvT3_20rocsparse_direction_NS_24const_host_device_scalarIT1_EES3_PKS3_PKT2_SC_S9_PKT4_PKT5_S7_PT6_21rocsparse_index_base_b,comdat
.Lfunc_end120:
	.size	_ZN9rocsparseL18bsrxmvn_4x4_kernelILj128ELj4E21rocsparse_complex_numIfEiifS2_S2_EEvT3_20rocsparse_direction_NS_24const_host_device_scalarIT1_EES3_PKS3_PKT2_SC_S9_PKT4_PKT5_S7_PT6_21rocsparse_index_base_b, .Lfunc_end120-_ZN9rocsparseL18bsrxmvn_4x4_kernelILj128ELj4E21rocsparse_complex_numIfEiifS2_S2_EEvT3_20rocsparse_direction_NS_24const_host_device_scalarIT1_EES3_PKS3_PKT2_SC_S9_PKT4_PKT5_S7_PT6_21rocsparse_index_base_b
                                        ; -- End function
	.set _ZN9rocsparseL18bsrxmvn_4x4_kernelILj128ELj4E21rocsparse_complex_numIfEiifS2_S2_EEvT3_20rocsparse_direction_NS_24const_host_device_scalarIT1_EES3_PKS3_PKT2_SC_S9_PKT4_PKT5_S7_PT6_21rocsparse_index_base_b.num_vgpr, 104
	.set _ZN9rocsparseL18bsrxmvn_4x4_kernelILj128ELj4E21rocsparse_complex_numIfEiifS2_S2_EEvT3_20rocsparse_direction_NS_24const_host_device_scalarIT1_EES3_PKS3_PKT2_SC_S9_PKT4_PKT5_S7_PT6_21rocsparse_index_base_b.num_agpr, 0
	.set _ZN9rocsparseL18bsrxmvn_4x4_kernelILj128ELj4E21rocsparse_complex_numIfEiifS2_S2_EEvT3_20rocsparse_direction_NS_24const_host_device_scalarIT1_EES3_PKS3_PKT2_SC_S9_PKT4_PKT5_S7_PT6_21rocsparse_index_base_b.numbered_sgpr, 16
	.set _ZN9rocsparseL18bsrxmvn_4x4_kernelILj128ELj4E21rocsparse_complex_numIfEiifS2_S2_EEvT3_20rocsparse_direction_NS_24const_host_device_scalarIT1_EES3_PKS3_PKT2_SC_S9_PKT4_PKT5_S7_PT6_21rocsparse_index_base_b.num_named_barrier, 0
	.set _ZN9rocsparseL18bsrxmvn_4x4_kernelILj128ELj4E21rocsparse_complex_numIfEiifS2_S2_EEvT3_20rocsparse_direction_NS_24const_host_device_scalarIT1_EES3_PKS3_PKT2_SC_S9_PKT4_PKT5_S7_PT6_21rocsparse_index_base_b.private_seg_size, 0
	.set _ZN9rocsparseL18bsrxmvn_4x4_kernelILj128ELj4E21rocsparse_complex_numIfEiifS2_S2_EEvT3_20rocsparse_direction_NS_24const_host_device_scalarIT1_EES3_PKS3_PKT2_SC_S9_PKT4_PKT5_S7_PT6_21rocsparse_index_base_b.uses_vcc, 1
	.set _ZN9rocsparseL18bsrxmvn_4x4_kernelILj128ELj4E21rocsparse_complex_numIfEiifS2_S2_EEvT3_20rocsparse_direction_NS_24const_host_device_scalarIT1_EES3_PKS3_PKT2_SC_S9_PKT4_PKT5_S7_PT6_21rocsparse_index_base_b.uses_flat_scratch, 0
	.set _ZN9rocsparseL18bsrxmvn_4x4_kernelILj128ELj4E21rocsparse_complex_numIfEiifS2_S2_EEvT3_20rocsparse_direction_NS_24const_host_device_scalarIT1_EES3_PKS3_PKT2_SC_S9_PKT4_PKT5_S7_PT6_21rocsparse_index_base_b.has_dyn_sized_stack, 0
	.set _ZN9rocsparseL18bsrxmvn_4x4_kernelILj128ELj4E21rocsparse_complex_numIfEiifS2_S2_EEvT3_20rocsparse_direction_NS_24const_host_device_scalarIT1_EES3_PKS3_PKT2_SC_S9_PKT4_PKT5_S7_PT6_21rocsparse_index_base_b.has_recursion, 0
	.set _ZN9rocsparseL18bsrxmvn_4x4_kernelILj128ELj4E21rocsparse_complex_numIfEiifS2_S2_EEvT3_20rocsparse_direction_NS_24const_host_device_scalarIT1_EES3_PKS3_PKT2_SC_S9_PKT4_PKT5_S7_PT6_21rocsparse_index_base_b.has_indirect_call, 0
	.section	.AMDGPU.csdata,"",@progbits
; Kernel info:
; codeLenInByte = 6176
; TotalNumSgprs: 18
; NumVgprs: 104
; ScratchSize: 0
; MemoryBound: 0
; FloatMode: 240
; IeeeMode: 1
; LDSByteSize: 0 bytes/workgroup (compile time only)
; SGPRBlocks: 0
; VGPRBlocks: 12
; NumSGPRsForWavesPerEU: 18
; NumVGPRsForWavesPerEU: 104
; Occupancy: 9
; WaveLimiterHint : 1
; COMPUTE_PGM_RSRC2:SCRATCH_EN: 0
; COMPUTE_PGM_RSRC2:USER_SGPR: 6
; COMPUTE_PGM_RSRC2:TRAP_HANDLER: 0
; COMPUTE_PGM_RSRC2:TGID_X_EN: 1
; COMPUTE_PGM_RSRC2:TGID_Y_EN: 0
; COMPUTE_PGM_RSRC2:TGID_Z_EN: 0
; COMPUTE_PGM_RSRC2:TIDIG_COMP_CNT: 0
	.section	.text._ZN9rocsparseL18bsrxmvn_4x4_kernelILj128ELj8E21rocsparse_complex_numIfEiifS2_S2_EEvT3_20rocsparse_direction_NS_24const_host_device_scalarIT1_EES3_PKS3_PKT2_SC_S9_PKT4_PKT5_S7_PT6_21rocsparse_index_base_b,"axG",@progbits,_ZN9rocsparseL18bsrxmvn_4x4_kernelILj128ELj8E21rocsparse_complex_numIfEiifS2_S2_EEvT3_20rocsparse_direction_NS_24const_host_device_scalarIT1_EES3_PKS3_PKT2_SC_S9_PKT4_PKT5_S7_PT6_21rocsparse_index_base_b,comdat
	.globl	_ZN9rocsparseL18bsrxmvn_4x4_kernelILj128ELj8E21rocsparse_complex_numIfEiifS2_S2_EEvT3_20rocsparse_direction_NS_24const_host_device_scalarIT1_EES3_PKS3_PKT2_SC_S9_PKT4_PKT5_S7_PT6_21rocsparse_index_base_b ; -- Begin function _ZN9rocsparseL18bsrxmvn_4x4_kernelILj128ELj8E21rocsparse_complex_numIfEiifS2_S2_EEvT3_20rocsparse_direction_NS_24const_host_device_scalarIT1_EES3_PKS3_PKT2_SC_S9_PKT4_PKT5_S7_PT6_21rocsparse_index_base_b
	.p2align	8
	.type	_ZN9rocsparseL18bsrxmvn_4x4_kernelILj128ELj8E21rocsparse_complex_numIfEiifS2_S2_EEvT3_20rocsparse_direction_NS_24const_host_device_scalarIT1_EES3_PKS3_PKT2_SC_S9_PKT4_PKT5_S7_PT6_21rocsparse_index_base_b,@function
_ZN9rocsparseL18bsrxmvn_4x4_kernelILj128ELj8E21rocsparse_complex_numIfEiifS2_S2_EEvT3_20rocsparse_direction_NS_24const_host_device_scalarIT1_EES3_PKS3_PKT2_SC_S9_PKT4_PKT5_S7_PT6_21rocsparse_index_base_b: ; @_ZN9rocsparseL18bsrxmvn_4x4_kernelILj128ELj8E21rocsparse_complex_numIfEiifS2_S2_EEvT3_20rocsparse_direction_NS_24const_host_device_scalarIT1_EES3_PKS3_PKT2_SC_S9_PKT4_PKT5_S7_PT6_21rocsparse_index_base_b
; %bb.0:
	s_clause 0x2
	s_load_dwordx2 s[2:3], s[4:5], 0x58
	s_load_dwordx2 s[0:1], s[4:5], 0x8
	;; [unrolled: 1-line block ×3, first 2 shown]
	s_add_u32 s7, s4, 8
	s_addc_u32 s10, s5, 0
	s_add_u32 s11, s4, 0x48
	s_addc_u32 s12, s5, 0
	s_waitcnt lgkmcnt(0)
	s_bitcmp1_b32 s3, 0
	s_cselect_b32 s0, s7, s0
	s_cselect_b32 s1, s10, s1
	v_mov_b32_e32 v1, s0
	v_mov_b32_e32 v2, s1
	s_cselect_b32 s0, s11, s8
	s_cselect_b32 s1, s12, s9
	flat_load_dwordx2 v[62:63], v[1:2]
	v_mov_b32_e32 v1, s0
	v_mov_b32_e32 v2, s1
	flat_load_dwordx2 v[60:61], v[1:2]
	s_waitcnt vmcnt(1) lgkmcnt(1)
	v_cmp_eq_f32_e32 vcc_lo, 0, v62
	v_cmp_eq_f32_e64 s0, 0, v63
	s_and_b32 s3, vcc_lo, s0
	s_mov_b32 s0, -1
	s_and_saveexec_b32 s1, s3
	s_cbranch_execz .LBB121_2
; %bb.1:
	s_waitcnt vmcnt(0) lgkmcnt(0)
	v_cmp_neq_f32_e32 vcc_lo, 1.0, v60
	v_cmp_neq_f32_e64 s0, 0, v61
	s_or_b32 s0, vcc_lo, s0
	s_orn2_b32 s0, s0, exec_lo
.LBB121_2:
	s_or_b32 exec_lo, exec_lo, s1
	s_and_saveexec_b32 s1, s0
	s_cbranch_execz .LBB121_8
; %bb.3:
	s_clause 0x1
	s_load_dwordx2 s[8:9], s[4:5], 0x18
	s_load_dwordx2 s[0:1], s[4:5], 0x0
	v_lshrrev_b32_e32 v1, 3, v0
	v_lshl_or_b32 v64, s6, 4, v1
	s_waitcnt lgkmcnt(0)
	s_cmp_lg_u64 s[8:9], 0
	s_cbranch_scc0 .LBB121_9
; %bb.4:
	s_load_dword s3, s[4:5], 0x10
	s_mov_b32 s6, 0
                                        ; implicit-def: $vgpr1
	s_waitcnt lgkmcnt(0)
	v_cmp_gt_i32_e32 vcc_lo, s3, v64
	s_mov_b32 s3, 0
	s_and_saveexec_b32 s7, vcc_lo
	s_xor_b32 s7, exec_lo, s7
	s_cbranch_execz .LBB121_6
; %bb.5:
	v_ashrrev_i32_e32 v65, 31, v64
	s_mov_b32 s3, exec_lo
	v_lshlrev_b64 v[1:2], 2, v[64:65]
	v_add_co_u32 v1, vcc_lo, s8, v1
	v_add_co_ci_u32_e64 v2, null, s9, v2, vcc_lo
	global_load_dword v1, v[1:2], off
	s_waitcnt vmcnt(0)
	v_subrev_nc_u32_e32 v1, s2, v1
.LBB121_6:
	s_or_b32 exec_lo, exec_lo, s7
	s_and_b32 vcc_lo, exec_lo, s6
	s_cbranch_vccz .LBB121_10
.LBB121_7:
	v_cmp_gt_i32_e32 vcc_lo, s0, v64
	s_andn2_b32 s0, s3, exec_lo
	s_and_b32 s3, vcc_lo, exec_lo
	s_or_b32 s3, s0, s3
	s_and_b32 exec_lo, exec_lo, s3
	s_cbranch_execnz .LBB121_11
.LBB121_8:
	s_endpgm
.LBB121_9:
	s_mov_b32 s3, 0
                                        ; implicit-def: $vgpr1
	s_cbranch_execnz .LBB121_7
.LBB121_10:
	v_mov_b32_e32 v64, v1
	s_and_b32 exec_lo, exec_lo, s3
	s_cbranch_execz .LBB121_8
.LBB121_11:
	s_load_dwordx8 s[8:15], s[4:5], 0x20
	v_ashrrev_i32_e32 v65, 31, v64
	v_and_b32_e32 v73, 7, v0
	s_load_dwordx2 s[6:7], s[4:5], 0x40
	v_lshlrev_b64 v[1:2], 2, v[64:65]
	s_waitcnt lgkmcnt(0)
	v_add_co_u32 v3, vcc_lo, s8, v1
	v_add_co_ci_u32_e64 v4, null, s9, v2, vcc_lo
	v_add_co_u32 v1, vcc_lo, s10, v1
	v_add_co_ci_u32_e64 v2, null, s11, v2, vcc_lo
	global_load_dword v83, v[3:4], off
	v_add_co_u32 v3, vcc_lo, v3, 4
	v_add_co_ci_u32_e64 v4, null, 0, v4, vcc_lo
	s_cmp_eq_u64 s[10:11], 0
	s_cselect_b32 vcc_lo, -1, 0
	s_cmp_eq_u32 s1, 1
	v_cndmask_b32_e32 v2, v2, v4, vcc_lo
	v_cndmask_b32_e32 v1, v1, v3, vcc_lo
	global_load_dword v2, v[1:2], off
	s_waitcnt vmcnt(1)
	v_subrev_nc_u32_e32 v0, s2, v83
	v_add_nc_u32_e32 v65, v0, v73
	v_ashrrev_i32_e32 v66, 31, v65
	s_waitcnt vmcnt(0)
	v_subrev_nc_u32_e32 v82, s2, v2
	v_lshlrev_b64 v[0:1], 6, v[65:66]
	v_cmp_lt_i32_e64 s0, v65, v82
	v_add_co_u32 v67, vcc_lo, s14, v0
	v_add_co_ci_u32_e64 v68, null, s15, v1, vcc_lo
	s_cbranch_scc1 .LBB121_23
; %bb.12:
	v_mov_b32_e32 v74, 0
	v_mov_b32_e32 v76, 0
	;; [unrolled: 1-line block ×8, first 2 shown]
	s_and_saveexec_b32 s1, s0
	s_cbranch_execz .LBB121_22
; %bb.13:
	v_add_nc_u32_e32 v0, v83, v73
	v_not_b32_e32 v1, v83
	v_mov_b32_e32 v70, v68
	v_mov_b32_e32 v75, 0
	;; [unrolled: 1-line block ×3, first 2 shown]
	v_subrev_nc_u32_e32 v0, s2, v0
	v_mov_b32_e32 v80, 0
	v_mov_b32_e32 v79, 0
	;; [unrolled: 1-line block ×4, first 2 shown]
	v_add_nc_u32_e32 v0, 8, v0
	v_mov_b32_e32 v76, 0
	v_mov_b32_e32 v74, 0
	;; [unrolled: 1-line block ×4, first 2 shown]
	v_max_i32_e32 v0, v0, v82
	s_mov_b32 s3, exec_lo
	v_add3_u32 v0, s2, v0, v1
	v_sub_nc_u32_e32 v0, v0, v73
	v_and_b32_e32 v1, 24, v0
	v_cmpx_ne_u32_e32 24, v1
	s_cbranch_execz .LBB121_17
; %bb.14:
	v_lshrrev_b32_e32 v1, 3, v0
	v_mov_b32_e32 v70, v68
	v_mov_b32_e32 v74, 0
	;; [unrolled: 1-line block ×4, first 2 shown]
	v_add_nc_u32_e32 v1, 1, v1
	v_mov_b32_e32 v76, 0
	v_mov_b32_e32 v77, 0
	;; [unrolled: 1-line block ×4, first 2 shown]
	v_and_b32_e32 v1, 3, v1
	v_mov_b32_e32 v80, 0
	v_mov_b32_e32 v81, 0
	;; [unrolled: 1-line block ×3, first 2 shown]
	s_mov_b32 s8, 0
	v_sub_nc_u32_e32 v1, 0, v1
.LBB121_15:                             ; =>This Inner Loop Header: Depth=1
	v_ashrrev_i32_e32 v72, 31, v71
	v_add_co_u32 v1, s9, v1, 1
	s_or_b32 s8, s9, s8
	v_lshlrev_b64 v[2:3], 2, v[71:72]
	v_add_nc_u32_e32 v71, 8, v71
	v_add_co_u32 v2, vcc_lo, s12, v2
	v_add_co_ci_u32_e64 v3, null, s13, v3, vcc_lo
	global_load_dword v18, v[2:3], off
	s_clause 0x3
	global_load_dwordx4 v[2:5], v[69:70], off offset:48
	global_load_dwordx4 v[6:9], v[69:70], off offset:32
	global_load_dwordx4 v[10:13], v[69:70], off offset:16
	global_load_dwordx4 v[14:17], v[69:70], off
	s_waitcnt vmcnt(4)
	v_subrev_nc_u32_e32 v18, s2, v18
	v_lshlrev_b32_e32 v18, 2, v18
	v_ashrrev_i32_e32 v19, 31, v18
	v_lshlrev_b64 v[18:19], 3, v[18:19]
	v_add_co_u32 v22, vcc_lo, s6, v18
	v_add_co_ci_u32_e64 v23, null, s7, v19, vcc_lo
	v_add_co_u32 v69, vcc_lo, 0x200, v69
	v_add_co_ci_u32_e64 v70, null, 0, v70, vcc_lo
	s_clause 0x1
	global_load_dwordx4 v[18:21], v[22:23], off
	global_load_dwordx4 v[22:25], v[22:23], off offset:16
	s_waitcnt vmcnt(1)
	v_fmac_f32_e32 v76, v14, v18
	v_fmac_f32_e32 v74, 0, v18
	;; [unrolled: 1-line block ×32, first 2 shown]
	s_waitcnt vmcnt(0)
	v_fmac_f32_e32 v76, v16, v22
	v_fmac_f32_e32 v74, 0, v22
	;; [unrolled: 1-line block ×32, first 2 shown]
	s_andn2_b32 exec_lo, exec_lo, s8
	s_cbranch_execnz .LBB121_15
; %bb.16:
	s_or_b32 exec_lo, exec_lo, s8
.LBB121_17:
	s_or_b32 exec_lo, exec_lo, s3
	s_mov_b32 s3, exec_lo
	v_cmpx_lt_u32_e32 23, v0
	s_cbranch_execz .LBB121_21
; %bb.18:
	s_mov_b32 s8, 0
.LBB121_19:                             ; =>This Inner Loop Header: Depth=1
	v_ashrrev_i32_e32 v72, 31, v71
	s_clause 0xf
	global_load_dwordx4 v[0:3], v[69:70], off offset:48
	global_load_dwordx4 v[32:35], v[69:70], off offset:32
	;; [unrolled: 1-line block ×3, first 2 shown]
	global_load_dwordx4 v[44:47], v[69:70], off
	global_load_dwordx4 v[4:7], v[69:70], off offset:560
	global_load_dwordx4 v[8:11], v[69:70], off offset:544
	;; [unrolled: 1-line block ×12, first 2 shown]
	v_lshlrev_b64 v[88:89], 2, v[71:72]
	v_add_nc_u32_e32 v71, 32, v71
	v_add_co_u32 v88, vcc_lo, s12, v88
	v_add_co_ci_u32_e64 v89, null, s13, v89, vcc_lo
	s_clause 0x3
	global_load_dword v66, v[88:89], off
	global_load_dword v72, v[88:89], off offset:32
	global_load_dword v90, v[88:89], off offset:64
	;; [unrolled: 1-line block ×3, first 2 shown]
	s_waitcnt vmcnt(3)
	v_subrev_nc_u32_e32 v66, s2, v66
	s_waitcnt vmcnt(2)
	v_subrev_nc_u32_e32 v72, s2, v72
	;; [unrolled: 2-line block ×4, first 2 shown]
	v_lshlrev_b32_e32 v88, 2, v66
	v_lshlrev_b32_e32 v90, 2, v72
	;; [unrolled: 1-line block ×4, first 2 shown]
	v_ashrrev_i32_e32 v89, 31, v88
	v_ashrrev_i32_e32 v91, 31, v90
	;; [unrolled: 1-line block ×4, first 2 shown]
	v_lshlrev_b64 v[88:89], 3, v[88:89]
	v_lshlrev_b64 v[90:91], 3, v[90:91]
	;; [unrolled: 1-line block ×4, first 2 shown]
	v_add_co_u32 v96, vcc_lo, s6, v88
	v_add_co_ci_u32_e64 v97, null, s7, v89, vcc_lo
	v_add_co_u32 v98, vcc_lo, s6, v90
	v_add_co_ci_u32_e64 v99, null, s7, v91, vcc_lo
	;; [unrolled: 2-line block ×4, first 2 shown]
	s_clause 0x1
	global_load_dwordx4 v[88:91], v[96:97], off
	global_load_dwordx4 v[92:95], v[96:97], off offset:16
	v_add_co_u32 v69, vcc_lo, 0x800, v69
	v_add_co_ci_u32_e64 v70, null, 0, v70, vcc_lo
	v_cmp_ge_i32_e32 vcc_lo, v71, v82
	s_or_b32 s8, vcc_lo, s8
	s_waitcnt vmcnt(1)
	v_fmac_f32_e32 v76, v44, v88
	v_fmac_f32_e32 v74, 0, v88
	;; [unrolled: 1-line block ×32, first 2 shown]
	global_load_dwordx4 v[88:91], v[98:99], off
	s_waitcnt vmcnt(1)
	v_fmac_f32_e32 v74, 0, v92
	v_fmac_f32_e32 v76, v46, v92
	;; [unrolled: 1-line block ×16, first 2 shown]
	global_load_dwordx4 v[44:47], v[98:99], off offset:16
	v_fmac_f32_e32 v77, v43, v95
	s_clause 0x1
	global_load_dwordx4 v[40:43], v[100:101], off
	global_load_dwordx4 v[96:99], v[100:101], off offset:16
	v_fmac_f32_e32 v80, 0x80000000, v93
	v_fmac_f32_e32 v79, 0, v94
	;; [unrolled: 1-line block ×7, first 2 shown]
	global_load_dwordx4 v[32:35], v[102:103], off
	v_fmac_f32_e32 v81, v2, v93
	v_fmac_f32_e32 v75, 0x80000000, v93
	;; [unrolled: 1-line block ×7, first 2 shown]
	global_load_dwordx4 v[0:3], v[102:103], off offset:16
	v_fmac_f32_e32 v75, 0x80000000, v95
	s_waitcnt vmcnt(5)
	v_fmac_f32_e32 v76, v16, v88
	v_fmac_f32_e32 v74, 0, v88
	v_fmac_f32_e32 v78, v12, v88
	v_fmac_f32_e32 v77, 0, v88
	v_fmac_f32_e32 v80, v8, v88
	v_fmac_f32_e32 v79, 0, v88
	v_fmac_f32_e32 v75, v4, v88
	v_fmac_f32_e32 v81, 0, v88
	v_fmac_f32_e32 v76, 0x80000000, v89
	v_fmac_f32_e32 v74, v16, v89
	v_fmac_f32_e32 v78, 0x80000000, v89
	v_fmac_f32_e32 v77, v12, v89
	v_fmac_f32_e32 v80, 0x80000000, v89
	v_fmac_f32_e32 v79, v8, v89
	v_fmac_f32_e32 v75, 0x80000000, v89
	v_fmac_f32_e32 v81, v4, v89
	v_fmac_f32_e32 v76, v17, v90
	v_fmac_f32_e32 v74, 0, v90
	v_fmac_f32_e32 v78, v13, v90
	v_fmac_f32_e32 v77, 0, v90
	v_fmac_f32_e32 v80, v9, v90
	v_fmac_f32_e32 v79, 0, v90
	v_fmac_f32_e32 v75, v5, v90
	v_fmac_f32_e32 v81, 0, v90
	v_fmac_f32_e32 v76, 0x80000000, v91
	v_fmac_f32_e32 v74, v17, v91
	v_fmac_f32_e32 v78, 0x80000000, v91
	v_fmac_f32_e32 v77, v13, v91
	v_fmac_f32_e32 v80, 0x80000000, v91
	v_fmac_f32_e32 v79, v9, v91
	v_fmac_f32_e32 v75, 0x80000000, v91
	v_fmac_f32_e32 v81, v5, v91
	s_waitcnt vmcnt(4)
	v_fmac_f32_e32 v74, 0, v44
	v_fmac_f32_e32 v76, v18, v44
	v_fmac_f32_e32 v77, 0, v44
	v_fmac_f32_e32 v78, v14, v44
	v_fmac_f32_e32 v79, 0, v44
	v_fmac_f32_e32 v80, v10, v44
	v_fmac_f32_e32 v75, v6, v44
	v_fmac_f32_e32 v81, 0, v44
	v_fmac_f32_e32 v74, v18, v45
	v_fmac_f32_e32 v76, 0x80000000, v45
	v_fmac_f32_e32 v77, v14, v45
	v_fmac_f32_e32 v78, 0x80000000, v45
	v_fmac_f32_e32 v79, v10, v45
	v_fmac_f32_e32 v80, 0x80000000, v45
	v_fmac_f32_e32 v75, 0x80000000, v45
	v_fmac_f32_e32 v81, v6, v45
	v_fmac_f32_e32 v74, 0, v46
	v_fmac_f32_e32 v76, v19, v46
	v_fmac_f32_e32 v77, 0, v46
	v_fmac_f32_e32 v78, v15, v46
	v_fmac_f32_e32 v79, 0, v46
	v_fmac_f32_e32 v80, v11, v46
	v_fmac_f32_e32 v75, v7, v46
	v_fmac_f32_e32 v81, 0, v46
	v_fmac_f32_e32 v74, v19, v47
	v_fmac_f32_e32 v77, v15, v47
	v_fmac_f32_e32 v79, v11, v47
	v_fmac_f32_e32 v76, 0x80000000, v47
	v_fmac_f32_e32 v78, 0x80000000, v47
	v_fmac_f32_e32 v80, 0x80000000, v47
	v_fmac_f32_e32 v75, 0x80000000, v47
	v_fmac_f32_e32 v81, v7, v47
	s_waitcnt vmcnt(3)
	v_fmac_f32_e32 v76, v36, v40
	v_fmac_f32_e32 v74, 0, v40
	v_fmac_f32_e32 v78, v28, v40
	v_fmac_f32_e32 v77, 0, v40
	v_fmac_f32_e32 v80, v24, v40
	v_fmac_f32_e32 v79, 0, v40
	v_fmac_f32_e32 v75, v20, v40
	v_fmac_f32_e32 v81, 0, v40
	v_fmac_f32_e32 v76, 0x80000000, v41
	v_fmac_f32_e32 v74, v36, v41
	v_fmac_f32_e32 v78, 0x80000000, v41
	v_fmac_f32_e32 v77, v28, v41
	v_fmac_f32_e32 v80, 0x80000000, v41
	v_fmac_f32_e32 v79, v24, v41
	v_fmac_f32_e32 v75, 0x80000000, v41
	v_fmac_f32_e32 v81, v20, v41
	v_fmac_f32_e32 v76, v37, v42
	v_fmac_f32_e32 v74, 0, v42
	v_fmac_f32_e32 v78, v29, v42
	v_fmac_f32_e32 v77, 0, v42
	v_fmac_f32_e32 v80, v25, v42
	v_fmac_f32_e32 v79, 0, v42
	v_fmac_f32_e32 v75, v21, v42
	v_fmac_f32_e32 v81, 0, v42
	v_fmac_f32_e32 v76, 0x80000000, v43
	v_fmac_f32_e32 v74, v37, v43
	v_fmac_f32_e32 v78, 0x80000000, v43
	v_fmac_f32_e32 v77, v29, v43
	v_fmac_f32_e32 v80, 0x80000000, v43
	v_fmac_f32_e32 v79, v25, v43
	v_fmac_f32_e32 v75, 0x80000000, v43
	v_fmac_f32_e32 v81, v21, v43
	s_waitcnt vmcnt(2)
	v_fmac_f32_e32 v76, v38, v96
	v_fmac_f32_e32 v74, 0, v96
	v_fmac_f32_e32 v78, v30, v96
	v_fmac_f32_e32 v77, 0, v96
	v_fmac_f32_e32 v80, v26, v96
	v_fmac_f32_e32 v79, 0, v96
	v_fmac_f32_e32 v75, v22, v96
	v_fmac_f32_e32 v81, 0, v96
	v_fmac_f32_e32 v76, 0x80000000, v97
	v_fmac_f32_e32 v74, v38, v97
	v_fmac_f32_e32 v78, 0x80000000, v97
	v_fmac_f32_e32 v77, v30, v97
	v_fmac_f32_e32 v80, 0x80000000, v97
	v_fmac_f32_e32 v79, v26, v97
	v_fmac_f32_e32 v75, 0x80000000, v97
	v_fmac_f32_e32 v81, v22, v97
	v_fmac_f32_e32 v76, v39, v98
	v_fmac_f32_e32 v74, 0, v98
	v_fmac_f32_e32 v78, v31, v98
	v_fmac_f32_e32 v77, 0, v98
	v_fmac_f32_e32 v80, v27, v98
	v_fmac_f32_e32 v79, 0, v98
	v_fmac_f32_e32 v75, v23, v98
	v_fmac_f32_e32 v81, 0, v98
	v_fmac_f32_e32 v76, 0x80000000, v99
	v_fmac_f32_e32 v74, v39, v99
	v_fmac_f32_e32 v78, 0x80000000, v99
	v_fmac_f32_e32 v77, v31, v99
	v_fmac_f32_e32 v80, 0x80000000, v99
	v_fmac_f32_e32 v79, v27, v99
	v_fmac_f32_e32 v75, 0x80000000, v99
	v_fmac_f32_e32 v81, v23, v99
	s_waitcnt vmcnt(1)
	v_fmac_f32_e32 v76, v84, v32
	v_fmac_f32_e32 v74, 0, v32
	v_fmac_f32_e32 v78, v56, v32
	v_fmac_f32_e32 v77, 0, v32
	v_fmac_f32_e32 v80, v52, v32
	v_fmac_f32_e32 v79, 0, v32
	v_fmac_f32_e32 v75, v48, v32
	v_fmac_f32_e32 v81, 0, v32
	v_fmac_f32_e32 v76, 0x80000000, v33
	v_fmac_f32_e32 v74, v84, v33
	v_fmac_f32_e32 v78, 0x80000000, v33
	v_fmac_f32_e32 v77, v56, v33
	v_fmac_f32_e32 v80, 0x80000000, v33
	v_fmac_f32_e32 v79, v52, v33
	v_fmac_f32_e32 v75, 0x80000000, v33
	v_fmac_f32_e32 v81, v48, v33
	v_fmac_f32_e32 v76, v85, v34
	v_fmac_f32_e32 v74, 0, v34
	v_fmac_f32_e32 v78, v57, v34
	v_fmac_f32_e32 v77, 0, v34
	v_fmac_f32_e32 v80, v53, v34
	v_fmac_f32_e32 v79, 0, v34
	v_fmac_f32_e32 v75, v49, v34
	v_fmac_f32_e32 v81, 0, v34
	v_fmac_f32_e32 v76, 0x80000000, v35
	v_fmac_f32_e32 v74, v85, v35
	v_fmac_f32_e32 v78, 0x80000000, v35
	v_fmac_f32_e32 v77, v57, v35
	v_fmac_f32_e32 v80, 0x80000000, v35
	v_fmac_f32_e32 v79, v53, v35
	v_fmac_f32_e32 v75, 0x80000000, v35
	v_fmac_f32_e32 v81, v49, v35
	s_waitcnt vmcnt(0)
	v_fmac_f32_e32 v76, v86, v0
	v_fmac_f32_e32 v74, 0, v0
	v_fmac_f32_e32 v78, v58, v0
	v_fmac_f32_e32 v77, 0, v0
	v_fmac_f32_e32 v80, v54, v0
	v_fmac_f32_e32 v79, 0, v0
	v_fmac_f32_e32 v75, v50, v0
	v_fmac_f32_e32 v81, 0, v0
	v_fmac_f32_e32 v76, 0x80000000, v1
	v_fmac_f32_e32 v74, v86, v1
	v_fmac_f32_e32 v78, 0x80000000, v1
	v_fmac_f32_e32 v77, v58, v1
	v_fmac_f32_e32 v80, 0x80000000, v1
	v_fmac_f32_e32 v79, v54, v1
	v_fmac_f32_e32 v75, 0x80000000, v1
	v_fmac_f32_e32 v81, v50, v1
	v_fmac_f32_e32 v76, v87, v2
	v_fmac_f32_e32 v74, 0, v2
	v_fmac_f32_e32 v78, v59, v2
	v_fmac_f32_e32 v77, 0, v2
	v_fmac_f32_e32 v80, v55, v2
	v_fmac_f32_e32 v79, 0, v2
	v_fmac_f32_e32 v75, v51, v2
	v_fmac_f32_e32 v81, 0, v2
	v_fmac_f32_e32 v76, 0x80000000, v3
	v_fmac_f32_e32 v74, v87, v3
	v_fmac_f32_e32 v78, 0x80000000, v3
	v_fmac_f32_e32 v77, v59, v3
	v_fmac_f32_e32 v80, 0x80000000, v3
	v_fmac_f32_e32 v79, v55, v3
	v_fmac_f32_e32 v75, 0x80000000, v3
	v_fmac_f32_e32 v81, v51, v3
	s_andn2_b32 exec_lo, exec_lo, s8
	s_cbranch_execnz .LBB121_19
; %bb.20:
	s_or_b32 exec_lo, exec_lo, s8
.LBB121_21:
	s_or_b32 exec_lo, exec_lo, s3
.LBB121_22:
	s_or_b32 exec_lo, exec_lo, s1
	s_cbranch_execz .LBB121_24
	s_branch .LBB121_35
.LBB121_23:
                                        ; implicit-def: $vgpr74
                                        ; implicit-def: $vgpr76
                                        ; implicit-def: $vgpr77
                                        ; implicit-def: $vgpr78
                                        ; implicit-def: $vgpr79
                                        ; implicit-def: $vgpr80
                                        ; implicit-def: $vgpr81
                                        ; implicit-def: $vgpr75
.LBB121_24:
	v_mov_b32_e32 v74, 0
	v_mov_b32_e32 v76, 0
	;; [unrolled: 1-line block ×8, first 2 shown]
	s_and_saveexec_b32 s1, s0
	s_cbranch_execz .LBB121_34
; %bb.25:
	v_add_nc_u32_e32 v0, v83, v73
	v_not_b32_e32 v1, v83
	v_mov_b32_e32 v75, 0
	v_mov_b32_e32 v81, 0
	;; [unrolled: 1-line block ×3, first 2 shown]
	v_subrev_nc_u32_e32 v0, s2, v0
	v_mov_b32_e32 v79, 0
	v_mov_b32_e32 v78, 0
	;; [unrolled: 1-line block ×4, first 2 shown]
	v_add_nc_u32_e32 v0, 8, v0
	v_mov_b32_e32 v74, 0
	s_mov_b32 s0, exec_lo
	v_max_i32_e32 v0, v0, v82
	v_add3_u32 v0, s2, v0, v1
	v_sub_nc_u32_e32 v0, v0, v73
	v_and_b32_e32 v1, 24, v0
	v_cmpx_ne_u32_e32 24, v1
	s_cbranch_execz .LBB121_29
; %bb.26:
	v_lshrrev_b32_e32 v1, 3, v0
	v_mov_b32_e32 v74, 0
	v_mov_b32_e32 v76, 0
	;; [unrolled: 1-line block ×4, first 2 shown]
	v_add_nc_u32_e32 v1, 1, v1
	v_mov_b32_e32 v79, 0
	v_mov_b32_e32 v80, 0
	;; [unrolled: 1-line block ×4, first 2 shown]
	v_and_b32_e32 v1, 3, v1
	s_mov_b32 s3, 0
	v_sub_nc_u32_e32 v1, 0, v1
.LBB121_27:                             ; =>This Inner Loop Header: Depth=1
	v_ashrrev_i32_e32 v66, 31, v65
	v_add_co_u32 v1, s8, v1, 1
	s_or_b32 s3, s8, s3
	v_lshlrev_b64 v[2:3], 2, v[65:66]
	v_add_nc_u32_e32 v65, 8, v65
	v_add_co_u32 v2, vcc_lo, s12, v2
	v_add_co_ci_u32_e64 v3, null, s13, v3, vcc_lo
	global_load_dword v10, v[2:3], off
	s_clause 0x1
	global_load_dwordx4 v[2:5], v[67:68], off offset:16
	global_load_dwordx4 v[6:9], v[67:68], off
	s_waitcnt vmcnt(2)
	v_subrev_nc_u32_e32 v10, s2, v10
	v_lshlrev_b32_e32 v10, 2, v10
	v_ashrrev_i32_e32 v11, 31, v10
	v_lshlrev_b64 v[10:11], 3, v[10:11]
	v_add_co_u32 v14, vcc_lo, s6, v10
	v_add_co_ci_u32_e64 v15, null, s7, v11, vcc_lo
	s_clause 0x1
	global_load_dwordx4 v[10:13], v[14:15], off
	global_load_dwordx4 v[14:17], v[14:15], off offset:16
	s_clause 0x1
	global_load_dwordx4 v[18:21], v[67:68], off offset:32
	global_load_dwordx4 v[22:25], v[67:68], off offset:48
	v_add_co_u32 v67, vcc_lo, 0x200, v67
	v_add_co_ci_u32_e64 v68, null, 0, v68, vcc_lo
	s_waitcnt vmcnt(3)
	v_fmac_f32_e32 v76, v6, v10
	v_fmac_f32_e32 v74, 0, v10
	;; [unrolled: 1-line block ×32, first 2 shown]
	s_waitcnt vmcnt(1)
	v_fmac_f32_e32 v76, v18, v14
	v_fmac_f32_e32 v74, 0, v14
	;; [unrolled: 1-line block ×16, first 2 shown]
	s_waitcnt vmcnt(0)
	v_fmac_f32_e32 v76, v22, v16
	v_fmac_f32_e32 v74, 0, v16
	;; [unrolled: 1-line block ×16, first 2 shown]
	s_andn2_b32 exec_lo, exec_lo, s3
	s_cbranch_execnz .LBB121_27
; %bb.28:
	s_or_b32 exec_lo, exec_lo, s3
.LBB121_29:
	s_or_b32 exec_lo, exec_lo, s0
	s_mov_b32 s0, exec_lo
	v_cmpx_lt_u32_e32 23, v0
	s_cbranch_execz .LBB121_33
; %bb.30:
	s_mov_b32 s3, 0
.LBB121_31:                             ; =>This Inner Loop Header: Depth=1
	v_ashrrev_i32_e32 v66, 31, v65
	s_clause 0xb
	global_load_dwordx4 v[8:11], v[67:68], off offset:48
	global_load_dwordx4 v[16:19], v[67:68], off offset:32
	;; [unrolled: 1-line block ×3, first 2 shown]
	global_load_dwordx4 v[32:35], v[67:68], off
	global_load_dwordx4 v[0:3], v[67:68], off offset:560
	global_load_dwordx4 v[4:7], v[67:68], off offset:544
	;; [unrolled: 1-line block ×8, first 2 shown]
	v_lshlrev_b64 v[48:49], 2, v[65:66]
	v_add_nc_u32_e32 v65, 32, v65
	v_add_co_u32 v48, vcc_lo, s12, v48
	v_add_co_ci_u32_e64 v49, null, s13, v49, vcc_lo
	s_clause 0x3
	global_load_dword v50, v[48:49], off
	global_load_dword v51, v[48:49], off offset:32
	global_load_dword v52, v[48:49], off offset:64
	;; [unrolled: 1-line block ×3, first 2 shown]
	s_waitcnt vmcnt(3)
	v_subrev_nc_u32_e32 v49, s2, v50
	s_waitcnt vmcnt(2)
	v_subrev_nc_u32_e32 v50, s2, v51
	;; [unrolled: 2-line block ×4, first 2 shown]
	v_lshlrev_b32_e32 v48, 2, v49
	v_lshlrev_b32_e32 v50, 2, v50
	v_lshlrev_b32_e32 v52, 2, v51
	v_lshlrev_b32_e32 v54, 2, v53
	v_ashrrev_i32_e32 v49, 31, v48
	v_ashrrev_i32_e32 v51, 31, v50
	;; [unrolled: 1-line block ×4, first 2 shown]
	v_lshlrev_b64 v[48:49], 3, v[48:49]
	v_lshlrev_b64 v[50:51], 3, v[50:51]
	;; [unrolled: 1-line block ×4, first 2 shown]
	v_add_co_u32 v56, vcc_lo, s6, v48
	v_add_co_ci_u32_e64 v57, null, s7, v49, vcc_lo
	v_add_co_u32 v58, vcc_lo, s6, v50
	v_add_co_ci_u32_e64 v59, null, s7, v51, vcc_lo
	;; [unrolled: 2-line block ×4, first 2 shown]
	s_clause 0x1
	global_load_dwordx4 v[48:51], v[56:57], off
	global_load_dwordx4 v[52:55], v[56:57], off offset:16
	s_waitcnt vmcnt(1)
	v_fmac_f32_e32 v74, 0, v48
	v_fmac_f32_e32 v77, 0, v48
	v_fmac_f32_e32 v79, 0, v48
	v_fmac_f32_e32 v81, 0, v48
	v_fmac_f32_e32 v76, v32, v48
	v_fmac_f32_e32 v78, v33, v48
	v_fmac_f32_e32 v80, v34, v48
	v_fmac_f32_e32 v75, v35, v48
	v_fmac_f32_e32 v74, v32, v49
	v_fmac_f32_e32 v77, v33, v49
	v_fmac_f32_e32 v79, v34, v49
	v_fmac_f32_e32 v81, v35, v49
	v_fmac_f32_e32 v76, 0x80000000, v49
	v_fmac_f32_e32 v78, 0x80000000, v49
	v_fmac_f32_e32 v80, 0x80000000, v49
	v_fmac_f32_e32 v75, 0x80000000, v49
	v_fmac_f32_e32 v74, 0, v50
	v_fmac_f32_e32 v77, 0, v50
	v_fmac_f32_e32 v79, 0, v50
	v_fmac_f32_e32 v81, 0, v50
	v_fmac_f32_e32 v76, v24, v50
	v_fmac_f32_e32 v78, v25, v50
	v_fmac_f32_e32 v80, v26, v50
	v_fmac_f32_e32 v75, v27, v50
	v_fmac_f32_e32 v74, v24, v51
	v_fmac_f32_e32 v77, v25, v51
	v_fmac_f32_e32 v79, v26, v51
	v_fmac_f32_e32 v81, v27, v51
	v_fmac_f32_e32 v76, 0x80000000, v51
	v_fmac_f32_e32 v78, 0x80000000, v51
	v_fmac_f32_e32 v80, 0x80000000, v51
	v_fmac_f32_e32 v75, 0x80000000, v51
	s_waitcnt vmcnt(0)
	v_fmac_f32_e32 v74, 0, v52
	v_fmac_f32_e32 v77, 0, v52
	;; [unrolled: 1-line block ×12, first 2 shown]
	global_load_dwordx4 v[16:19], v[58:59], off
	v_fmac_f32_e32 v76, 0x80000000, v53
	v_fmac_f32_e32 v78, 0x80000000, v53
	;; [unrolled: 1-line block ×16, first 2 shown]
	global_load_dwordx4 v[8:11], v[58:59], off offset:16
	s_clause 0x2
	global_load_dwordx4 v[32:35], v[67:68], off offset:1552
	global_load_dwordx4 v[24:27], v[67:68], off offset:1536
	;; [unrolled: 1-line block ×3, first 2 shown]
	v_fmac_f32_e32 v76, 0x80000000, v55
	v_fmac_f32_e32 v78, 0x80000000, v55
	v_fmac_f32_e32 v80, 0x80000000, v55
	v_fmac_f32_e32 v75, 0x80000000, v55
	s_clause 0x1
	global_load_dwordx4 v[52:55], v[69:70], off
	global_load_dwordx4 v[56:59], v[69:70], off offset:16
	s_waitcnt vmcnt(6)
	v_fmac_f32_e32 v74, 0, v16
	v_fmac_f32_e32 v77, 0, v16
	;; [unrolled: 1-line block ×12, first 2 shown]
	global_load_dwordx4 v[28:31], v[71:72], off
	v_fmac_f32_e32 v76, 0x80000000, v17
	v_fmac_f32_e32 v78, 0x80000000, v17
	;; [unrolled: 1-line block ×16, first 2 shown]
	global_load_dwordx4 v[20:23], v[71:72], off offset:16
	v_fmac_f32_e32 v76, 0x80000000, v19
	v_fmac_f32_e32 v78, 0x80000000, v19
	;; [unrolled: 1-line block ×4, first 2 shown]
	global_load_dwordx4 v[16:19], v[67:68], off offset:1584
	s_waitcnt vmcnt(8)
	v_fmac_f32_e32 v76, v4, v8
	v_fmac_f32_e32 v74, 0, v8
	v_fmac_f32_e32 v78, v5, v8
	v_fmac_f32_e32 v77, 0, v8
	v_fmac_f32_e32 v80, v6, v8
	v_fmac_f32_e32 v79, 0, v8
	v_fmac_f32_e32 v81, 0, v8
	v_fmac_f32_e32 v75, v7, v8
	v_fmac_f32_e32 v74, v4, v9
	v_fmac_f32_e32 v77, v5, v9
	v_fmac_f32_e32 v79, v6, v9
	v_fmac_f32_e32 v76, 0x80000000, v9
	v_fmac_f32_e32 v81, v7, v9
	v_fmac_f32_e32 v78, 0x80000000, v9
	v_fmac_f32_e32 v80, 0x80000000, v9
	v_fmac_f32_e32 v75, 0x80000000, v9
	v_fmac_f32_e32 v76, v0, v10
	v_fmac_f32_e32 v74, 0, v10
	v_fmac_f32_e32 v78, v1, v10
	v_fmac_f32_e32 v77, 0, v10
	v_fmac_f32_e32 v80, v2, v10
	v_fmac_f32_e32 v79, 0, v10
	v_fmac_f32_e32 v81, 0, v10
	v_fmac_f32_e32 v75, v3, v10
	v_fmac_f32_e32 v74, v0, v11
	v_fmac_f32_e32 v77, v1, v11
	v_fmac_f32_e32 v79, v2, v11
	v_fmac_f32_e32 v76, 0x80000000, v11
	v_fmac_f32_e32 v81, v3, v11
	v_fmac_f32_e32 v78, 0x80000000, v11
	v_fmac_f32_e32 v80, 0x80000000, v11
	v_fmac_f32_e32 v75, 0x80000000, v11
	s_waitcnt vmcnt(4)
	v_fmac_f32_e32 v76, v44, v52
	v_fmac_f32_e32 v74, 0, v52
	v_fmac_f32_e32 v78, v45, v52
	v_fmac_f32_e32 v77, 0, v52
	v_fmac_f32_e32 v80, v46, v52
	v_fmac_f32_e32 v79, 0, v52
	v_fmac_f32_e32 v81, 0, v52
	v_fmac_f32_e32 v75, v47, v52
	v_fmac_f32_e32 v74, v44, v53
	v_fmac_f32_e32 v77, v45, v53
	v_fmac_f32_e32 v79, v46, v53
	v_fmac_f32_e32 v76, 0x80000000, v53
	v_fmac_f32_e32 v81, v47, v53
	v_fmac_f32_e32 v78, 0x80000000, v53
	v_fmac_f32_e32 v80, 0x80000000, v53
	v_fmac_f32_e32 v75, 0x80000000, v53
	v_fmac_f32_e32 v76, v40, v54
	v_fmac_f32_e32 v74, 0, v54
	v_fmac_f32_e32 v78, v41, v54
	v_fmac_f32_e32 v77, 0, v54
	v_fmac_f32_e32 v80, v42, v54
	v_fmac_f32_e32 v79, 0, v54
	v_fmac_f32_e32 v75, v43, v54
	v_fmac_f32_e32 v81, 0, v54
	v_fmac_f32_e32 v76, 0x80000000, v55
	v_fmac_f32_e32 v74, v40, v55
	v_fmac_f32_e32 v78, 0x80000000, v55
	v_fmac_f32_e32 v77, v41, v55
	v_fmac_f32_e32 v80, 0x80000000, v55
	v_fmac_f32_e32 v79, v42, v55
	v_fmac_f32_e32 v75, 0x80000000, v55
	v_fmac_f32_e32 v81, v43, v55
	;; [unrolled: 33-line block ×3, first 2 shown]
	v_add_co_u32 v67, vcc_lo, 0x800, v67
	v_add_co_ci_u32_e64 v68, null, 0, v68, vcc_lo
	v_cmp_ge_i32_e32 vcc_lo, v65, v82
	s_or_b32 s3, vcc_lo, s3
	s_waitcnt vmcnt(2)
	v_fmac_f32_e32 v76, v24, v28
	v_fmac_f32_e32 v74, 0, v28
	;; [unrolled: 1-line block ×32, first 2 shown]
	s_waitcnt vmcnt(1)
	v_fmac_f32_e32 v76, v48, v20
	v_fmac_f32_e32 v74, 0, v20
	;; [unrolled: 1-line block ×16, first 2 shown]
	s_waitcnt vmcnt(0)
	v_fmac_f32_e32 v76, v16, v22
	v_fmac_f32_e32 v74, 0, v22
	;; [unrolled: 1-line block ×16, first 2 shown]
	s_andn2_b32 exec_lo, exec_lo, s3
	s_cbranch_execnz .LBB121_31
; %bb.32:
	s_or_b32 exec_lo, exec_lo, s3
.LBB121_33:
	s_or_b32 exec_lo, exec_lo, s0
.LBB121_34:
	s_or_b32 exec_lo, exec_lo, s1
.LBB121_35:
	v_mbcnt_lo_u32_b32 v0, -1, 0
	v_xor_b32_e32 v1, 4, v0
	v_xor_b32_e32 v9, 2, v0
	;; [unrolled: 1-line block ×3, first 2 shown]
	v_cmp_gt_i32_e32 vcc_lo, 32, v1
	v_cndmask_b32_e32 v1, v0, v1, vcc_lo
	v_cmp_gt_i32_e32 vcc_lo, 32, v9
	v_lshlrev_b32_e32 v1, 2, v1
	v_cndmask_b32_e32 v9, v0, v9, vcc_lo
	v_cmp_gt_i32_e32 vcc_lo, 32, v17
	ds_bpermute_b32 v2, v1, v76
	ds_bpermute_b32 v3, v1, v74
	;; [unrolled: 1-line block ×8, first 2 shown]
	v_lshlrev_b32_e32 v9, 2, v9
	v_cndmask_b32_e32 v0, v0, v17, vcc_lo
	v_cmp_eq_u32_e32 vcc_lo, 7, v73
	v_lshlrev_b32_e32 v17, 2, v0
	s_waitcnt lgkmcnt(7)
	v_add_f32_e32 v2, v76, v2
	s_waitcnt lgkmcnt(6)
	v_add_f32_e32 v3, v74, v3
	;; [unrolled: 2-line block ×8, first 2 shown]
	ds_bpermute_b32 v1, v9, v2
	ds_bpermute_b32 v11, v9, v3
	;; [unrolled: 1-line block ×8, first 2 shown]
	s_waitcnt lgkmcnt(7)
	v_add_f32_e32 v0, v2, v1
	s_waitcnt lgkmcnt(6)
	v_add_f32_e32 v1, v3, v11
	;; [unrolled: 2-line block ×8, first 2 shown]
	ds_bpermute_b32 v8, v17, v0
	ds_bpermute_b32 v9, v17, v1
	;; [unrolled: 1-line block ×8, first 2 shown]
	s_and_b32 exec_lo, exec_lo, vcc_lo
	s_cbranch_execz .LBB121_8
; %bb.36:
	s_load_dwordx2 s[2:3], s[4:5], 0x50
	s_waitcnt lgkmcnt(0)
	v_add_f32_e32 v8, v0, v8
	v_add_f32_e32 v0, v1, v9
	v_add_f32_e32 v9, v2, v10
	v_add_f32_e32 v1, v3, v11
	v_add_f32_e32 v2, v5, v13
	v_add_f32_e32 v3, v7, v15
	v_add_f32_e32 v10, v4, v12
	v_add_f32_e32 v11, v6, v14
	v_mul_f32_e64 v4, v0, -v63
	v_mul_f32_e32 v5, v62, v0
	v_mul_f32_e64 v6, v1, -v63
	v_mul_f32_e32 v7, v62, v1
	;; [unrolled: 2-line block ×4, first 2 shown]
	v_cmp_eq_f32_e32 vcc_lo, 0, v60
	v_cmp_eq_f32_e64 s0, 0, v61
	v_fmac_f32_e32 v4, v62, v8
	v_fmac_f32_e32 v5, v63, v8
	v_lshlrev_b32_e32 v8, 2, v64
	v_fmac_f32_e32 v6, v62, v9
	v_fmac_f32_e32 v7, v63, v9
	;; [unrolled: 1-line block ×6, first 2 shown]
	s_and_b32 s0, vcc_lo, s0
	s_and_saveexec_b32 s1, s0
	s_xor_b32 s0, exec_lo, s1
	s_cbranch_execz .LBB121_38
; %bb.37:
	v_ashrrev_i32_e32 v9, 31, v8
                                        ; implicit-def: $vgpr60_vgpr61
	v_lshlrev_b64 v[8:9], 3, v[8:9]
	v_add_co_u32 v8, vcc_lo, s2, v8
	v_add_co_ci_u32_e64 v9, null, s3, v9, vcc_lo
	global_store_dwordx4 v[8:9], v[4:7], off
	global_store_dwordx4 v[8:9], v[0:3], off offset:16
                                        ; implicit-def: $vgpr4
                                        ; implicit-def: $vgpr8
                                        ; implicit-def: $vgpr0
.LBB121_38:
	s_andn2_saveexec_b32 s0, s0
	s_cbranch_execz .LBB121_8
; %bb.39:
	v_ashrrev_i32_e32 v9, 31, v8
	v_lshlrev_b64 v[8:9], 3, v[8:9]
	v_add_co_u32 v16, vcc_lo, s2, v8
	v_add_co_ci_u32_e64 v17, null, s3, v9, vcc_lo
	s_clause 0x1
	global_load_dwordx4 v[8:11], v[16:17], off
	global_load_dwordx4 v[12:15], v[16:17], off offset:16
	s_waitcnt vmcnt(1)
	v_fmac_f32_e32 v4, v60, v8
	v_fmac_f32_e32 v5, v61, v8
	;; [unrolled: 1-line block ×4, first 2 shown]
	s_waitcnt vmcnt(0)
	v_fmac_f32_e32 v0, v60, v12
	v_fmac_f32_e32 v1, v61, v12
	;; [unrolled: 1-line block ×4, first 2 shown]
	v_fma_f32 v4, -v61, v9, v4
	v_fmac_f32_e32 v5, v60, v9
	v_fma_f32 v6, -v61, v11, v6
	v_fmac_f32_e32 v7, v60, v11
	;; [unrolled: 2-line block ×4, first 2 shown]
	global_store_dwordx4 v[16:17], v[4:7], off
	global_store_dwordx4 v[16:17], v[0:3], off offset:16
	s_endpgm
	.section	.rodata,"a",@progbits
	.p2align	6, 0x0
	.amdhsa_kernel _ZN9rocsparseL18bsrxmvn_4x4_kernelILj128ELj8E21rocsparse_complex_numIfEiifS2_S2_EEvT3_20rocsparse_direction_NS_24const_host_device_scalarIT1_EES3_PKS3_PKT2_SC_S9_PKT4_PKT5_S7_PT6_21rocsparse_index_base_b
		.amdhsa_group_segment_fixed_size 0
		.amdhsa_private_segment_fixed_size 0
		.amdhsa_kernarg_size 96
		.amdhsa_user_sgpr_count 6
		.amdhsa_user_sgpr_private_segment_buffer 1
		.amdhsa_user_sgpr_dispatch_ptr 0
		.amdhsa_user_sgpr_queue_ptr 0
		.amdhsa_user_sgpr_kernarg_segment_ptr 1
		.amdhsa_user_sgpr_dispatch_id 0
		.amdhsa_user_sgpr_flat_scratch_init 0
		.amdhsa_user_sgpr_private_segment_size 0
		.amdhsa_wavefront_size32 1
		.amdhsa_uses_dynamic_stack 0
		.amdhsa_system_sgpr_private_segment_wavefront_offset 0
		.amdhsa_system_sgpr_workgroup_id_x 1
		.amdhsa_system_sgpr_workgroup_id_y 0
		.amdhsa_system_sgpr_workgroup_id_z 0
		.amdhsa_system_sgpr_workgroup_info 0
		.amdhsa_system_vgpr_workitem_id 0
		.amdhsa_next_free_vgpr 104
		.amdhsa_next_free_sgpr 16
		.amdhsa_reserve_vcc 1
		.amdhsa_reserve_flat_scratch 0
		.amdhsa_float_round_mode_32 0
		.amdhsa_float_round_mode_16_64 0
		.amdhsa_float_denorm_mode_32 3
		.amdhsa_float_denorm_mode_16_64 3
		.amdhsa_dx10_clamp 1
		.amdhsa_ieee_mode 1
		.amdhsa_fp16_overflow 0
		.amdhsa_workgroup_processor_mode 1
		.amdhsa_memory_ordered 1
		.amdhsa_forward_progress 1
		.amdhsa_shared_vgpr_count 0
		.amdhsa_exception_fp_ieee_invalid_op 0
		.amdhsa_exception_fp_denorm_src 0
		.amdhsa_exception_fp_ieee_div_zero 0
		.amdhsa_exception_fp_ieee_overflow 0
		.amdhsa_exception_fp_ieee_underflow 0
		.amdhsa_exception_fp_ieee_inexact 0
		.amdhsa_exception_int_div_zero 0
	.end_amdhsa_kernel
	.section	.text._ZN9rocsparseL18bsrxmvn_4x4_kernelILj128ELj8E21rocsparse_complex_numIfEiifS2_S2_EEvT3_20rocsparse_direction_NS_24const_host_device_scalarIT1_EES3_PKS3_PKT2_SC_S9_PKT4_PKT5_S7_PT6_21rocsparse_index_base_b,"axG",@progbits,_ZN9rocsparseL18bsrxmvn_4x4_kernelILj128ELj8E21rocsparse_complex_numIfEiifS2_S2_EEvT3_20rocsparse_direction_NS_24const_host_device_scalarIT1_EES3_PKS3_PKT2_SC_S9_PKT4_PKT5_S7_PT6_21rocsparse_index_base_b,comdat
.Lfunc_end121:
	.size	_ZN9rocsparseL18bsrxmvn_4x4_kernelILj128ELj8E21rocsparse_complex_numIfEiifS2_S2_EEvT3_20rocsparse_direction_NS_24const_host_device_scalarIT1_EES3_PKS3_PKT2_SC_S9_PKT4_PKT5_S7_PT6_21rocsparse_index_base_b, .Lfunc_end121-_ZN9rocsparseL18bsrxmvn_4x4_kernelILj128ELj8E21rocsparse_complex_numIfEiifS2_S2_EEvT3_20rocsparse_direction_NS_24const_host_device_scalarIT1_EES3_PKS3_PKT2_SC_S9_PKT4_PKT5_S7_PT6_21rocsparse_index_base_b
                                        ; -- End function
	.set _ZN9rocsparseL18bsrxmvn_4x4_kernelILj128ELj8E21rocsparse_complex_numIfEiifS2_S2_EEvT3_20rocsparse_direction_NS_24const_host_device_scalarIT1_EES3_PKS3_PKT2_SC_S9_PKT4_PKT5_S7_PT6_21rocsparse_index_base_b.num_vgpr, 104
	.set _ZN9rocsparseL18bsrxmvn_4x4_kernelILj128ELj8E21rocsparse_complex_numIfEiifS2_S2_EEvT3_20rocsparse_direction_NS_24const_host_device_scalarIT1_EES3_PKS3_PKT2_SC_S9_PKT4_PKT5_S7_PT6_21rocsparse_index_base_b.num_agpr, 0
	.set _ZN9rocsparseL18bsrxmvn_4x4_kernelILj128ELj8E21rocsparse_complex_numIfEiifS2_S2_EEvT3_20rocsparse_direction_NS_24const_host_device_scalarIT1_EES3_PKS3_PKT2_SC_S9_PKT4_PKT5_S7_PT6_21rocsparse_index_base_b.numbered_sgpr, 16
	.set _ZN9rocsparseL18bsrxmvn_4x4_kernelILj128ELj8E21rocsparse_complex_numIfEiifS2_S2_EEvT3_20rocsparse_direction_NS_24const_host_device_scalarIT1_EES3_PKS3_PKT2_SC_S9_PKT4_PKT5_S7_PT6_21rocsparse_index_base_b.num_named_barrier, 0
	.set _ZN9rocsparseL18bsrxmvn_4x4_kernelILj128ELj8E21rocsparse_complex_numIfEiifS2_S2_EEvT3_20rocsparse_direction_NS_24const_host_device_scalarIT1_EES3_PKS3_PKT2_SC_S9_PKT4_PKT5_S7_PT6_21rocsparse_index_base_b.private_seg_size, 0
	.set _ZN9rocsparseL18bsrxmvn_4x4_kernelILj128ELj8E21rocsparse_complex_numIfEiifS2_S2_EEvT3_20rocsparse_direction_NS_24const_host_device_scalarIT1_EES3_PKS3_PKT2_SC_S9_PKT4_PKT5_S7_PT6_21rocsparse_index_base_b.uses_vcc, 1
	.set _ZN9rocsparseL18bsrxmvn_4x4_kernelILj128ELj8E21rocsparse_complex_numIfEiifS2_S2_EEvT3_20rocsparse_direction_NS_24const_host_device_scalarIT1_EES3_PKS3_PKT2_SC_S9_PKT4_PKT5_S7_PT6_21rocsparse_index_base_b.uses_flat_scratch, 0
	.set _ZN9rocsparseL18bsrxmvn_4x4_kernelILj128ELj8E21rocsparse_complex_numIfEiifS2_S2_EEvT3_20rocsparse_direction_NS_24const_host_device_scalarIT1_EES3_PKS3_PKT2_SC_S9_PKT4_PKT5_S7_PT6_21rocsparse_index_base_b.has_dyn_sized_stack, 0
	.set _ZN9rocsparseL18bsrxmvn_4x4_kernelILj128ELj8E21rocsparse_complex_numIfEiifS2_S2_EEvT3_20rocsparse_direction_NS_24const_host_device_scalarIT1_EES3_PKS3_PKT2_SC_S9_PKT4_PKT5_S7_PT6_21rocsparse_index_base_b.has_recursion, 0
	.set _ZN9rocsparseL18bsrxmvn_4x4_kernelILj128ELj8E21rocsparse_complex_numIfEiifS2_S2_EEvT3_20rocsparse_direction_NS_24const_host_device_scalarIT1_EES3_PKS3_PKT2_SC_S9_PKT4_PKT5_S7_PT6_21rocsparse_index_base_b.has_indirect_call, 0
	.section	.AMDGPU.csdata,"",@progbits
; Kernel info:
; codeLenInByte = 6324
; TotalNumSgprs: 18
; NumVgprs: 104
; ScratchSize: 0
; MemoryBound: 0
; FloatMode: 240
; IeeeMode: 1
; LDSByteSize: 0 bytes/workgroup (compile time only)
; SGPRBlocks: 0
; VGPRBlocks: 12
; NumSGPRsForWavesPerEU: 18
; NumVGPRsForWavesPerEU: 104
; Occupancy: 9
; WaveLimiterHint : 1
; COMPUTE_PGM_RSRC2:SCRATCH_EN: 0
; COMPUTE_PGM_RSRC2:USER_SGPR: 6
; COMPUTE_PGM_RSRC2:TRAP_HANDLER: 0
; COMPUTE_PGM_RSRC2:TGID_X_EN: 1
; COMPUTE_PGM_RSRC2:TGID_Y_EN: 0
; COMPUTE_PGM_RSRC2:TGID_Z_EN: 0
; COMPUTE_PGM_RSRC2:TIDIG_COMP_CNT: 0
	.section	.text._ZN9rocsparseL18bsrxmvn_4x4_kernelILj128ELj16E21rocsparse_complex_numIfEiifS2_S2_EEvT3_20rocsparse_direction_NS_24const_host_device_scalarIT1_EES3_PKS3_PKT2_SC_S9_PKT4_PKT5_S7_PT6_21rocsparse_index_base_b,"axG",@progbits,_ZN9rocsparseL18bsrxmvn_4x4_kernelILj128ELj16E21rocsparse_complex_numIfEiifS2_S2_EEvT3_20rocsparse_direction_NS_24const_host_device_scalarIT1_EES3_PKS3_PKT2_SC_S9_PKT4_PKT5_S7_PT6_21rocsparse_index_base_b,comdat
	.globl	_ZN9rocsparseL18bsrxmvn_4x4_kernelILj128ELj16E21rocsparse_complex_numIfEiifS2_S2_EEvT3_20rocsparse_direction_NS_24const_host_device_scalarIT1_EES3_PKS3_PKT2_SC_S9_PKT4_PKT5_S7_PT6_21rocsparse_index_base_b ; -- Begin function _ZN9rocsparseL18bsrxmvn_4x4_kernelILj128ELj16E21rocsparse_complex_numIfEiifS2_S2_EEvT3_20rocsparse_direction_NS_24const_host_device_scalarIT1_EES3_PKS3_PKT2_SC_S9_PKT4_PKT5_S7_PT6_21rocsparse_index_base_b
	.p2align	8
	.type	_ZN9rocsparseL18bsrxmvn_4x4_kernelILj128ELj16E21rocsparse_complex_numIfEiifS2_S2_EEvT3_20rocsparse_direction_NS_24const_host_device_scalarIT1_EES3_PKS3_PKT2_SC_S9_PKT4_PKT5_S7_PT6_21rocsparse_index_base_b,@function
_ZN9rocsparseL18bsrxmvn_4x4_kernelILj128ELj16E21rocsparse_complex_numIfEiifS2_S2_EEvT3_20rocsparse_direction_NS_24const_host_device_scalarIT1_EES3_PKS3_PKT2_SC_S9_PKT4_PKT5_S7_PT6_21rocsparse_index_base_b: ; @_ZN9rocsparseL18bsrxmvn_4x4_kernelILj128ELj16E21rocsparse_complex_numIfEiifS2_S2_EEvT3_20rocsparse_direction_NS_24const_host_device_scalarIT1_EES3_PKS3_PKT2_SC_S9_PKT4_PKT5_S7_PT6_21rocsparse_index_base_b
; %bb.0:
	s_clause 0x2
	s_load_dwordx2 s[2:3], s[4:5], 0x58
	s_load_dwordx2 s[0:1], s[4:5], 0x8
	;; [unrolled: 1-line block ×3, first 2 shown]
	s_add_u32 s7, s4, 8
	s_addc_u32 s10, s5, 0
	s_add_u32 s11, s4, 0x48
	s_addc_u32 s12, s5, 0
	s_waitcnt lgkmcnt(0)
	s_bitcmp1_b32 s3, 0
	s_cselect_b32 s0, s7, s0
	s_cselect_b32 s1, s10, s1
	v_mov_b32_e32 v1, s0
	v_mov_b32_e32 v2, s1
	s_cselect_b32 s0, s11, s8
	s_cselect_b32 s1, s12, s9
	flat_load_dwordx2 v[62:63], v[1:2]
	v_mov_b32_e32 v1, s0
	v_mov_b32_e32 v2, s1
	flat_load_dwordx2 v[60:61], v[1:2]
	s_waitcnt vmcnt(1) lgkmcnt(1)
	v_cmp_eq_f32_e32 vcc_lo, 0, v62
	v_cmp_eq_f32_e64 s0, 0, v63
	s_and_b32 s3, vcc_lo, s0
	s_mov_b32 s0, -1
	s_and_saveexec_b32 s1, s3
	s_cbranch_execz .LBB122_2
; %bb.1:
	s_waitcnt vmcnt(0) lgkmcnt(0)
	v_cmp_neq_f32_e32 vcc_lo, 1.0, v60
	v_cmp_neq_f32_e64 s0, 0, v61
	s_or_b32 s0, vcc_lo, s0
	s_orn2_b32 s0, s0, exec_lo
.LBB122_2:
	s_or_b32 exec_lo, exec_lo, s1
	s_and_saveexec_b32 s1, s0
	s_cbranch_execz .LBB122_8
; %bb.3:
	s_clause 0x1
	s_load_dwordx2 s[8:9], s[4:5], 0x18
	s_load_dwordx2 s[0:1], s[4:5], 0x0
	v_lshrrev_b32_e32 v1, 4, v0
	v_lshl_or_b32 v64, s6, 3, v1
	s_waitcnt lgkmcnt(0)
	s_cmp_lg_u64 s[8:9], 0
	s_cbranch_scc0 .LBB122_9
; %bb.4:
	s_load_dword s3, s[4:5], 0x10
	s_mov_b32 s6, 0
                                        ; implicit-def: $vgpr1
	s_waitcnt lgkmcnt(0)
	v_cmp_gt_i32_e32 vcc_lo, s3, v64
	s_mov_b32 s3, 0
	s_and_saveexec_b32 s7, vcc_lo
	s_xor_b32 s7, exec_lo, s7
	s_cbranch_execz .LBB122_6
; %bb.5:
	v_ashrrev_i32_e32 v65, 31, v64
	s_mov_b32 s3, exec_lo
	v_lshlrev_b64 v[1:2], 2, v[64:65]
	v_add_co_u32 v1, vcc_lo, s8, v1
	v_add_co_ci_u32_e64 v2, null, s9, v2, vcc_lo
	global_load_dword v1, v[1:2], off
	s_waitcnt vmcnt(0)
	v_subrev_nc_u32_e32 v1, s2, v1
.LBB122_6:
	s_or_b32 exec_lo, exec_lo, s7
	s_and_b32 vcc_lo, exec_lo, s6
	s_cbranch_vccz .LBB122_10
.LBB122_7:
	v_cmp_gt_i32_e32 vcc_lo, s0, v64
	s_andn2_b32 s0, s3, exec_lo
	s_and_b32 s3, vcc_lo, exec_lo
	s_or_b32 s3, s0, s3
	s_and_b32 exec_lo, exec_lo, s3
	s_cbranch_execnz .LBB122_11
.LBB122_8:
	s_endpgm
.LBB122_9:
	s_mov_b32 s3, 0
                                        ; implicit-def: $vgpr1
	s_cbranch_execnz .LBB122_7
.LBB122_10:
	v_mov_b32_e32 v64, v1
	s_and_b32 exec_lo, exec_lo, s3
	s_cbranch_execz .LBB122_8
.LBB122_11:
	s_load_dwordx8 s[8:15], s[4:5], 0x20
	v_ashrrev_i32_e32 v65, 31, v64
	v_and_b32_e32 v73, 15, v0
	s_load_dwordx2 s[6:7], s[4:5], 0x40
	v_lshlrev_b64 v[1:2], 2, v[64:65]
	s_waitcnt lgkmcnt(0)
	v_add_co_u32 v3, vcc_lo, s8, v1
	v_add_co_ci_u32_e64 v4, null, s9, v2, vcc_lo
	v_add_co_u32 v1, vcc_lo, s10, v1
	v_add_co_ci_u32_e64 v2, null, s11, v2, vcc_lo
	global_load_dword v83, v[3:4], off
	v_add_co_u32 v3, vcc_lo, v3, 4
	v_add_co_ci_u32_e64 v4, null, 0, v4, vcc_lo
	s_cmp_eq_u64 s[10:11], 0
	s_cselect_b32 vcc_lo, -1, 0
	s_cmp_eq_u32 s1, 1
	v_cndmask_b32_e32 v2, v2, v4, vcc_lo
	v_cndmask_b32_e32 v1, v1, v3, vcc_lo
	global_load_dword v2, v[1:2], off
	s_waitcnt vmcnt(1)
	v_subrev_nc_u32_e32 v0, s2, v83
	v_add_nc_u32_e32 v65, v0, v73
	v_ashrrev_i32_e32 v66, 31, v65
	s_waitcnt vmcnt(0)
	v_subrev_nc_u32_e32 v82, s2, v2
	v_lshlrev_b64 v[0:1], 6, v[65:66]
	v_cmp_lt_i32_e64 s0, v65, v82
	v_add_co_u32 v67, vcc_lo, s14, v0
	v_add_co_ci_u32_e64 v68, null, s15, v1, vcc_lo
	s_cbranch_scc1 .LBB122_23
; %bb.12:
	v_mov_b32_e32 v74, 0
	v_mov_b32_e32 v76, 0
	;; [unrolled: 1-line block ×8, first 2 shown]
	s_and_saveexec_b32 s1, s0
	s_cbranch_execz .LBB122_22
; %bb.13:
	v_add_nc_u32_e32 v0, v83, v73
	v_not_b32_e32 v1, v83
	v_mov_b32_e32 v70, v68
	v_mov_b32_e32 v75, 0
	;; [unrolled: 1-line block ×3, first 2 shown]
	v_subrev_nc_u32_e32 v0, s2, v0
	v_mov_b32_e32 v80, 0
	v_mov_b32_e32 v79, 0
	;; [unrolled: 1-line block ×4, first 2 shown]
	v_add_nc_u32_e32 v0, 16, v0
	v_mov_b32_e32 v76, 0
	v_mov_b32_e32 v74, 0
	;; [unrolled: 1-line block ×4, first 2 shown]
	v_max_i32_e32 v0, v0, v82
	s_mov_b32 s3, exec_lo
	v_add3_u32 v0, s2, v0, v1
	v_sub_nc_u32_e32 v0, v0, v73
	v_and_b32_e32 v1, 48, v0
	v_cmpx_ne_u32_e32 48, v1
	s_cbranch_execz .LBB122_17
; %bb.14:
	v_lshrrev_b32_e32 v1, 4, v0
	v_mov_b32_e32 v70, v68
	v_mov_b32_e32 v74, 0
	;; [unrolled: 1-line block ×4, first 2 shown]
	v_add_nc_u32_e32 v1, 1, v1
	v_mov_b32_e32 v76, 0
	v_mov_b32_e32 v77, 0
	;; [unrolled: 1-line block ×4, first 2 shown]
	v_and_b32_e32 v1, 3, v1
	v_mov_b32_e32 v80, 0
	v_mov_b32_e32 v81, 0
	;; [unrolled: 1-line block ×3, first 2 shown]
	s_mov_b32 s8, 0
	v_sub_nc_u32_e32 v1, 0, v1
.LBB122_15:                             ; =>This Inner Loop Header: Depth=1
	v_ashrrev_i32_e32 v72, 31, v71
	v_add_co_u32 v1, s9, v1, 1
	s_or_b32 s8, s9, s8
	v_lshlrev_b64 v[2:3], 2, v[71:72]
	v_add_nc_u32_e32 v71, 16, v71
	v_add_co_u32 v2, vcc_lo, s12, v2
	v_add_co_ci_u32_e64 v3, null, s13, v3, vcc_lo
	global_load_dword v18, v[2:3], off
	s_clause 0x3
	global_load_dwordx4 v[2:5], v[69:70], off offset:48
	global_load_dwordx4 v[6:9], v[69:70], off offset:32
	global_load_dwordx4 v[10:13], v[69:70], off offset:16
	global_load_dwordx4 v[14:17], v[69:70], off
	s_waitcnt vmcnt(4)
	v_subrev_nc_u32_e32 v18, s2, v18
	v_lshlrev_b32_e32 v18, 2, v18
	v_ashrrev_i32_e32 v19, 31, v18
	v_lshlrev_b64 v[18:19], 3, v[18:19]
	v_add_co_u32 v22, vcc_lo, s6, v18
	v_add_co_ci_u32_e64 v23, null, s7, v19, vcc_lo
	v_add_co_u32 v69, vcc_lo, 0x400, v69
	v_add_co_ci_u32_e64 v70, null, 0, v70, vcc_lo
	s_clause 0x1
	global_load_dwordx4 v[18:21], v[22:23], off
	global_load_dwordx4 v[22:25], v[22:23], off offset:16
	s_waitcnt vmcnt(1)
	v_fmac_f32_e32 v76, v14, v18
	v_fmac_f32_e32 v74, 0, v18
	;; [unrolled: 1-line block ×32, first 2 shown]
	s_waitcnt vmcnt(0)
	v_fmac_f32_e32 v76, v16, v22
	v_fmac_f32_e32 v74, 0, v22
	;; [unrolled: 1-line block ×32, first 2 shown]
	s_andn2_b32 exec_lo, exec_lo, s8
	s_cbranch_execnz .LBB122_15
; %bb.16:
	s_or_b32 exec_lo, exec_lo, s8
.LBB122_17:
	s_or_b32 exec_lo, exec_lo, s3
	s_mov_b32 s3, exec_lo
	v_cmpx_lt_u32_e32 47, v0
	s_cbranch_execz .LBB122_21
; %bb.18:
	s_mov_b32 s8, 0
.LBB122_19:                             ; =>This Inner Loop Header: Depth=1
	v_ashrrev_i32_e32 v72, 31, v71
	v_add_co_u32 v84, vcc_lo, 0x800, v69
	v_add_co_ci_u32_e64 v85, null, 0, v70, vcc_lo
	v_lshlrev_b64 v[88:89], 2, v[71:72]
	s_clause 0xf
	global_load_dwordx4 v[0:3], v[69:70], off offset:48
	global_load_dwordx4 v[4:7], v[69:70], off offset:32
	;; [unrolled: 1-line block ×3, first 2 shown]
	global_load_dwordx4 v[24:27], v[69:70], off
	global_load_dwordx4 v[28:31], v[69:70], off offset:1072
	global_load_dwordx4 v[32:35], v[69:70], off offset:1056
	;; [unrolled: 1-line block ×6, first 2 shown]
	global_load_dwordx4 v[16:19], v[84:85], off
	global_load_dwordx4 v[56:59], v[84:85], off offset:16
	global_load_dwordx4 v[44:47], v[84:85], off offset:1072
	;; [unrolled: 1-line block ×5, first 2 shown]
	v_add_nc_u32_e32 v71, 64, v71
	v_add_co_u32 v88, vcc_lo, s12, v88
	v_add_co_ci_u32_e64 v89, null, s13, v89, vcc_lo
	s_clause 0x3
	global_load_dword v66, v[88:89], off
	global_load_dword v72, v[88:89], off offset:64
	global_load_dword v90, v[88:89], off offset:128
	global_load_dword v88, v[88:89], off offset:192
	s_waitcnt vmcnt(3)
	v_subrev_nc_u32_e32 v66, s2, v66
	s_waitcnt vmcnt(2)
	v_subrev_nc_u32_e32 v72, s2, v72
	;; [unrolled: 2-line block ×4, first 2 shown]
	v_lshlrev_b32_e32 v88, 2, v66
	v_lshlrev_b32_e32 v90, 2, v72
	;; [unrolled: 1-line block ×4, first 2 shown]
	v_ashrrev_i32_e32 v89, 31, v88
	v_ashrrev_i32_e32 v91, 31, v90
	;; [unrolled: 1-line block ×4, first 2 shown]
	v_lshlrev_b64 v[88:89], 3, v[88:89]
	v_lshlrev_b64 v[90:91], 3, v[90:91]
	;; [unrolled: 1-line block ×4, first 2 shown]
	v_add_co_u32 v96, vcc_lo, s6, v88
	v_add_co_ci_u32_e64 v97, null, s7, v89, vcc_lo
	v_add_co_u32 v98, vcc_lo, s6, v90
	v_add_co_ci_u32_e64 v99, null, s7, v91, vcc_lo
	;; [unrolled: 2-line block ×4, first 2 shown]
	s_clause 0x1
	global_load_dwordx4 v[88:91], v[96:97], off
	global_load_dwordx4 v[92:95], v[96:97], off offset:16
	v_add_co_u32 v69, vcc_lo, 0x1000, v69
	v_add_co_ci_u32_e64 v70, null, 0, v70, vcc_lo
	v_cmp_ge_i32_e32 vcc_lo, v71, v82
	s_or_b32 s8, vcc_lo, s8
	s_waitcnt vmcnt(1)
	v_fmac_f32_e32 v76, v24, v88
	v_fmac_f32_e32 v74, 0, v88
	;; [unrolled: 1-line block ×32, first 2 shown]
	global_load_dwordx4 v[88:91], v[98:99], off
	s_waitcnt vmcnt(1)
	v_fmac_f32_e32 v74, 0, v92
	v_fmac_f32_e32 v76, v26, v92
	;; [unrolled: 1-line block ×16, first 2 shown]
	global_load_dwordx4 v[24:27], v[98:99], off offset:16
	v_fmac_f32_e32 v77, v23, v95
	s_clause 0x1
	global_load_dwordx4 v[20:23], v[100:101], off
	global_load_dwordx4 v[96:99], v[100:101], off offset:16
	v_fmac_f32_e32 v80, 0x80000000, v93
	v_fmac_f32_e32 v79, 0, v94
	v_fmac_f32_e32 v81, 0, v92
	v_fmac_f32_e32 v75, v2, v92
	v_fmac_f32_e32 v76, 0x80000000, v95
	v_fmac_f32_e32 v80, v7, v94
	v_fmac_f32_e32 v79, v7, v95
	global_load_dwordx4 v[4:7], v[102:103], off
	v_fmac_f32_e32 v81, v2, v93
	v_fmac_f32_e32 v75, 0x80000000, v93
	;; [unrolled: 1-line block ×7, first 2 shown]
	global_load_dwordx4 v[0:3], v[102:103], off offset:16
	v_fmac_f32_e32 v75, 0x80000000, v95
	s_waitcnt vmcnt(5)
	v_fmac_f32_e32 v76, v40, v88
	v_fmac_f32_e32 v74, 0, v88
	v_fmac_f32_e32 v78, v36, v88
	v_fmac_f32_e32 v77, 0, v88
	v_fmac_f32_e32 v80, v32, v88
	v_fmac_f32_e32 v79, 0, v88
	v_fmac_f32_e32 v75, v28, v88
	v_fmac_f32_e32 v81, 0, v88
	v_fmac_f32_e32 v76, 0x80000000, v89
	v_fmac_f32_e32 v74, v40, v89
	v_fmac_f32_e32 v78, 0x80000000, v89
	v_fmac_f32_e32 v77, v36, v89
	v_fmac_f32_e32 v80, 0x80000000, v89
	v_fmac_f32_e32 v79, v32, v89
	v_fmac_f32_e32 v75, 0x80000000, v89
	v_fmac_f32_e32 v81, v28, v89
	v_fmac_f32_e32 v76, v41, v90
	v_fmac_f32_e32 v74, 0, v90
	v_fmac_f32_e32 v78, v37, v90
	v_fmac_f32_e32 v77, 0, v90
	v_fmac_f32_e32 v80, v33, v90
	v_fmac_f32_e32 v79, 0, v90
	v_fmac_f32_e32 v75, v29, v90
	v_fmac_f32_e32 v81, 0, v90
	v_fmac_f32_e32 v76, 0x80000000, v91
	v_fmac_f32_e32 v74, v41, v91
	v_fmac_f32_e32 v78, 0x80000000, v91
	v_fmac_f32_e32 v77, v37, v91
	v_fmac_f32_e32 v80, 0x80000000, v91
	v_fmac_f32_e32 v79, v33, v91
	v_fmac_f32_e32 v75, 0x80000000, v91
	v_fmac_f32_e32 v81, v29, v91
	s_waitcnt vmcnt(4)
	v_fmac_f32_e32 v74, 0, v24
	v_fmac_f32_e32 v76, v42, v24
	v_fmac_f32_e32 v77, 0, v24
	v_fmac_f32_e32 v78, v38, v24
	v_fmac_f32_e32 v79, 0, v24
	v_fmac_f32_e32 v80, v34, v24
	v_fmac_f32_e32 v75, v30, v24
	v_fmac_f32_e32 v81, 0, v24
	v_fmac_f32_e32 v74, v42, v25
	v_fmac_f32_e32 v76, 0x80000000, v25
	v_fmac_f32_e32 v77, v38, v25
	v_fmac_f32_e32 v78, 0x80000000, v25
	v_fmac_f32_e32 v79, v34, v25
	v_fmac_f32_e32 v80, 0x80000000, v25
	v_fmac_f32_e32 v75, 0x80000000, v25
	v_fmac_f32_e32 v81, v30, v25
	v_fmac_f32_e32 v74, 0, v26
	v_fmac_f32_e32 v76, v43, v26
	v_fmac_f32_e32 v77, 0, v26
	v_fmac_f32_e32 v78, v39, v26
	v_fmac_f32_e32 v79, 0, v26
	v_fmac_f32_e32 v80, v35, v26
	v_fmac_f32_e32 v75, v31, v26
	v_fmac_f32_e32 v81, 0, v26
	v_fmac_f32_e32 v74, v43, v27
	v_fmac_f32_e32 v77, v39, v27
	v_fmac_f32_e32 v79, v35, v27
	v_fmac_f32_e32 v76, 0x80000000, v27
	v_fmac_f32_e32 v78, 0x80000000, v27
	v_fmac_f32_e32 v80, 0x80000000, v27
	v_fmac_f32_e32 v75, 0x80000000, v27
	;; [unrolled: 33-line block ×6, first 2 shown]
	v_fmac_f32_e32 v81, v47, v3
	s_andn2_b32 exec_lo, exec_lo, s8
	s_cbranch_execnz .LBB122_19
; %bb.20:
	s_or_b32 exec_lo, exec_lo, s8
.LBB122_21:
	s_or_b32 exec_lo, exec_lo, s3
.LBB122_22:
	s_or_b32 exec_lo, exec_lo, s1
	s_cbranch_execz .LBB122_24
	s_branch .LBB122_35
.LBB122_23:
                                        ; implicit-def: $vgpr74
                                        ; implicit-def: $vgpr76
                                        ; implicit-def: $vgpr77
                                        ; implicit-def: $vgpr78
                                        ; implicit-def: $vgpr79
                                        ; implicit-def: $vgpr80
                                        ; implicit-def: $vgpr81
                                        ; implicit-def: $vgpr75
.LBB122_24:
	v_mov_b32_e32 v74, 0
	v_mov_b32_e32 v76, 0
	;; [unrolled: 1-line block ×8, first 2 shown]
	s_and_saveexec_b32 s1, s0
	s_cbranch_execz .LBB122_34
; %bb.25:
	v_add_nc_u32_e32 v0, v83, v73
	v_not_b32_e32 v1, v83
	v_mov_b32_e32 v75, 0
	v_mov_b32_e32 v81, 0
	;; [unrolled: 1-line block ×3, first 2 shown]
	v_subrev_nc_u32_e32 v0, s2, v0
	v_mov_b32_e32 v79, 0
	v_mov_b32_e32 v78, 0
	;; [unrolled: 1-line block ×4, first 2 shown]
	v_add_nc_u32_e32 v0, 16, v0
	v_mov_b32_e32 v74, 0
	s_mov_b32 s0, exec_lo
	v_max_i32_e32 v0, v0, v82
	v_add3_u32 v0, s2, v0, v1
	v_sub_nc_u32_e32 v0, v0, v73
	v_and_b32_e32 v1, 48, v0
	v_cmpx_ne_u32_e32 48, v1
	s_cbranch_execz .LBB122_29
; %bb.26:
	v_lshrrev_b32_e32 v1, 4, v0
	v_mov_b32_e32 v74, 0
	v_mov_b32_e32 v76, 0
	;; [unrolled: 1-line block ×4, first 2 shown]
	v_add_nc_u32_e32 v1, 1, v1
	v_mov_b32_e32 v79, 0
	v_mov_b32_e32 v80, 0
	;; [unrolled: 1-line block ×4, first 2 shown]
	v_and_b32_e32 v1, 3, v1
	s_mov_b32 s3, 0
	v_sub_nc_u32_e32 v1, 0, v1
.LBB122_27:                             ; =>This Inner Loop Header: Depth=1
	v_ashrrev_i32_e32 v66, 31, v65
	v_add_co_u32 v1, s8, v1, 1
	s_or_b32 s3, s8, s3
	v_lshlrev_b64 v[2:3], 2, v[65:66]
	v_add_nc_u32_e32 v65, 16, v65
	v_add_co_u32 v2, vcc_lo, s12, v2
	v_add_co_ci_u32_e64 v3, null, s13, v3, vcc_lo
	global_load_dword v10, v[2:3], off
	s_clause 0x1
	global_load_dwordx4 v[2:5], v[67:68], off offset:16
	global_load_dwordx4 v[6:9], v[67:68], off
	s_waitcnt vmcnt(2)
	v_subrev_nc_u32_e32 v10, s2, v10
	v_lshlrev_b32_e32 v10, 2, v10
	v_ashrrev_i32_e32 v11, 31, v10
	v_lshlrev_b64 v[10:11], 3, v[10:11]
	v_add_co_u32 v14, vcc_lo, s6, v10
	v_add_co_ci_u32_e64 v15, null, s7, v11, vcc_lo
	s_clause 0x1
	global_load_dwordx4 v[10:13], v[14:15], off
	global_load_dwordx4 v[14:17], v[14:15], off offset:16
	s_clause 0x1
	global_load_dwordx4 v[18:21], v[67:68], off offset:32
	global_load_dwordx4 v[22:25], v[67:68], off offset:48
	v_add_co_u32 v67, vcc_lo, 0x400, v67
	v_add_co_ci_u32_e64 v68, null, 0, v68, vcc_lo
	s_waitcnt vmcnt(3)
	v_fmac_f32_e32 v76, v6, v10
	v_fmac_f32_e32 v74, 0, v10
	;; [unrolled: 1-line block ×32, first 2 shown]
	s_waitcnt vmcnt(1)
	v_fmac_f32_e32 v76, v18, v14
	v_fmac_f32_e32 v74, 0, v14
	;; [unrolled: 1-line block ×16, first 2 shown]
	s_waitcnt vmcnt(0)
	v_fmac_f32_e32 v76, v22, v16
	v_fmac_f32_e32 v74, 0, v16
	;; [unrolled: 1-line block ×16, first 2 shown]
	s_andn2_b32 exec_lo, exec_lo, s3
	s_cbranch_execnz .LBB122_27
; %bb.28:
	s_or_b32 exec_lo, exec_lo, s3
.LBB122_29:
	s_or_b32 exec_lo, exec_lo, s0
	s_mov_b32 s0, exec_lo
	v_cmpx_lt_u32_e32 47, v0
	s_cbranch_execz .LBB122_33
; %bb.30:
	s_mov_b32 s3, 0
.LBB122_31:                             ; =>This Inner Loop Header: Depth=1
	v_ashrrev_i32_e32 v66, 31, v65
	v_add_co_u32 v69, vcc_lo, 0x800, v67
	v_add_co_ci_u32_e64 v70, null, 0, v68, vcc_lo
	v_lshlrev_b64 v[48:49], 2, v[65:66]
	s_clause 0xb
	global_load_dwordx4 v[0:3], v[67:68], off offset:48
	global_load_dwordx4 v[4:7], v[67:68], off offset:32
	;; [unrolled: 1-line block ×3, first 2 shown]
	global_load_dwordx4 v[20:23], v[67:68], off
	global_load_dwordx4 v[8:11], v[67:68], off offset:1072
	global_load_dwordx4 v[12:15], v[67:68], off offset:1056
	;; [unrolled: 1-line block ×6, first 2 shown]
	global_load_dwordx4 v[40:43], v[69:70], off
	global_load_dwordx4 v[44:47], v[69:70], off offset:16
	v_add_nc_u32_e32 v65, 64, v65
	v_add_co_u32 v48, vcc_lo, s12, v48
	v_add_co_ci_u32_e64 v49, null, s13, v49, vcc_lo
	s_clause 0x3
	global_load_dword v50, v[48:49], off
	global_load_dword v56, v[48:49], off offset:64
	global_load_dword v57, v[48:49], off offset:128
	;; [unrolled: 1-line block ×3, first 2 shown]
	s_waitcnt vmcnt(3)
	v_subrev_nc_u32_e32 v48, s2, v50
	v_lshlrev_b32_e32 v48, 2, v48
	v_ashrrev_i32_e32 v49, 31, v48
	v_lshlrev_b64 v[48:49], 3, v[48:49]
	v_add_co_u32 v52, vcc_lo, s6, v48
	v_add_co_ci_u32_e64 v53, null, s7, v49, vcc_lo
	s_clause 0x1
	global_load_dwordx4 v[48:51], v[52:53], off
	global_load_dwordx4 v[52:55], v[52:53], off offset:16
	s_waitcnt vmcnt(1)
	v_fmac_f32_e32 v76, v20, v48
	v_fmac_f32_e32 v74, 0, v48
	;; [unrolled: 1-line block ×8, first 2 shown]
	v_subrev_nc_u32_e32 v48, s2, v56
	v_fmac_f32_e32 v74, v20, v49
	v_fmac_f32_e32 v77, v21, v49
	v_fmac_f32_e32 v79, v22, v49
	v_fmac_f32_e32 v81, v23, v49
	v_fmac_f32_e32 v76, 0x80000000, v49
	v_fmac_f32_e32 v78, 0x80000000, v49
	v_fmac_f32_e32 v80, 0x80000000, v49
	v_fmac_f32_e32 v75, 0x80000000, v49
	v_subrev_nc_u32_e32 v49, s2, v57
	v_lshlrev_b32_e32 v48, 2, v48
	v_fmac_f32_e32 v76, v16, v50
	v_fmac_f32_e32 v74, 0, v50
	;; [unrolled: 1-line block ×8, first 2 shown]
	v_lshlrev_b32_e32 v50, 2, v49
	v_ashrrev_i32_e32 v49, 31, v48
	v_fmac_f32_e32 v74, v16, v51
	v_fmac_f32_e32 v77, v17, v51
	;; [unrolled: 1-line block ×8, first 2 shown]
	v_ashrrev_i32_e32 v51, 31, v50
	v_lshlrev_b64 v[48:49], 3, v[48:49]
	s_waitcnt vmcnt(0)
	v_fmac_f32_e32 v74, 0, v52
	v_fmac_f32_e32 v77, 0, v52
	;; [unrolled: 1-line block ×3, first 2 shown]
	v_lshlrev_b64 v[50:51], 3, v[50:51]
	v_fmac_f32_e32 v81, 0, v52
	v_add_co_u32 v48, vcc_lo, s6, v48
	v_add_co_ci_u32_e64 v49, null, s7, v49, vcc_lo
	v_subrev_nc_u32_e32 v56, s2, v58
	v_add_co_u32 v58, vcc_lo, s6, v50
	s_clause 0x1
	global_load_dwordx4 v[20:23], v[69:70], off offset:1040
	global_load_dwordx4 v[16:19], v[69:70], off offset:1024
	v_add_co_ci_u32_e64 v59, null, s7, v51, vcc_lo
	v_fmac_f32_e32 v76, v4, v52
	v_fmac_f32_e32 v78, v5, v52
	;; [unrolled: 1-line block ×8, first 2 shown]
	s_clause 0x1
	global_load_dwordx4 v[4:7], v[48:49], off
	global_load_dwordx4 v[48:51], v[48:49], off offset:16
	v_fmac_f32_e32 v76, 0x80000000, v53
	v_fmac_f32_e32 v78, 0x80000000, v53
	;; [unrolled: 1-line block ×16, first 2 shown]
	global_load_dwordx4 v[0:3], v[58:59], off
	v_lshlrev_b32_e32 v56, 2, v56
	v_fmac_f32_e32 v76, 0x80000000, v55
	v_fmac_f32_e32 v78, 0x80000000, v55
	;; [unrolled: 1-line block ×4, first 2 shown]
	global_load_dwordx4 v[52:55], v[58:59], off offset:16
	v_ashrrev_i32_e32 v57, 31, v56
	v_lshlrev_b64 v[56:57], 3, v[56:57]
	v_add_co_u32 v56, vcc_lo, s6, v56
	v_add_co_ci_u32_e64 v57, null, s7, v57, vcc_lo
	v_add_co_u32 v67, vcc_lo, 0x1000, v67
	v_add_co_ci_u32_e64 v68, null, 0, v68, vcc_lo
	v_cmp_ge_i32_e32 vcc_lo, v65, v82
	s_or_b32 s3, vcc_lo, s3
	s_waitcnt vmcnt(3)
	v_fmac_f32_e32 v74, 0, v4
	v_fmac_f32_e32 v77, 0, v4
	;; [unrolled: 1-line block ×12, first 2 shown]
	global_load_dwordx4 v[32:35], v[56:57], off
	v_fmac_f32_e32 v76, 0x80000000, v5
	v_fmac_f32_e32 v78, 0x80000000, v5
	;; [unrolled: 1-line block ×16, first 2 shown]
	global_load_dwordx4 v[28:31], v[69:70], off offset:1056
	global_load_dwordx4 v[56:59], v[56:57], off offset:16
	v_fmac_f32_e32 v76, 0x80000000, v7
	v_fmac_f32_e32 v78, 0x80000000, v7
	;; [unrolled: 1-line block ×4, first 2 shown]
	global_load_dwordx4 v[4:7], v[69:70], off offset:1072
	s_waitcnt vmcnt(6)
	v_fmac_f32_e32 v76, v12, v48
	v_fmac_f32_e32 v74, 0, v48
	v_fmac_f32_e32 v78, v13, v48
	v_fmac_f32_e32 v77, 0, v48
	v_fmac_f32_e32 v80, v14, v48
	v_fmac_f32_e32 v79, 0, v48
	v_fmac_f32_e32 v81, 0, v48
	v_fmac_f32_e32 v75, v15, v48
	v_fmac_f32_e32 v74, v12, v49
	v_fmac_f32_e32 v77, v13, v49
	v_fmac_f32_e32 v79, v14, v49
	v_fmac_f32_e32 v76, 0x80000000, v49
	v_fmac_f32_e32 v81, v15, v49
	v_fmac_f32_e32 v78, 0x80000000, v49
	v_fmac_f32_e32 v80, 0x80000000, v49
	v_fmac_f32_e32 v75, 0x80000000, v49
	v_fmac_f32_e32 v76, v8, v50
	v_fmac_f32_e32 v74, 0, v50
	v_fmac_f32_e32 v78, v9, v50
	v_fmac_f32_e32 v77, 0, v50
	v_fmac_f32_e32 v80, v10, v50
	v_fmac_f32_e32 v79, 0, v50
	v_fmac_f32_e32 v81, 0, v50
	v_fmac_f32_e32 v75, v11, v50
	v_fmac_f32_e32 v74, v8, v51
	v_fmac_f32_e32 v77, v9, v51
	v_fmac_f32_e32 v79, v10, v51
	v_fmac_f32_e32 v76, 0x80000000, v51
	v_fmac_f32_e32 v81, v11, v51
	v_fmac_f32_e32 v78, 0x80000000, v51
	v_fmac_f32_e32 v80, 0x80000000, v51
	v_fmac_f32_e32 v75, 0x80000000, v51
	s_waitcnt vmcnt(5)
	v_fmac_f32_e32 v76, v40, v0
	v_fmac_f32_e32 v74, 0, v0
	v_fmac_f32_e32 v78, v41, v0
	v_fmac_f32_e32 v77, 0, v0
	v_fmac_f32_e32 v80, v42, v0
	v_fmac_f32_e32 v79, 0, v0
	v_fmac_f32_e32 v81, 0, v0
	v_fmac_f32_e32 v75, v43, v0
	v_fmac_f32_e32 v74, v40, v1
	v_fmac_f32_e32 v77, v41, v1
	v_fmac_f32_e32 v79, v42, v1
	v_fmac_f32_e32 v76, 0x80000000, v1
	v_fmac_f32_e32 v81, v43, v1
	v_fmac_f32_e32 v78, 0x80000000, v1
	v_fmac_f32_e32 v80, 0x80000000, v1
	v_fmac_f32_e32 v75, 0x80000000, v1
	v_fmac_f32_e32 v76, v44, v2
	v_fmac_f32_e32 v74, 0, v2
	v_fmac_f32_e32 v78, v45, v2
	v_fmac_f32_e32 v77, 0, v2
	v_fmac_f32_e32 v80, v46, v2
	v_fmac_f32_e32 v79, 0, v2
	v_fmac_f32_e32 v75, v47, v2
	v_fmac_f32_e32 v81, 0, v2
	v_fmac_f32_e32 v76, 0x80000000, v3
	v_fmac_f32_e32 v74, v44, v3
	v_fmac_f32_e32 v78, 0x80000000, v3
	v_fmac_f32_e32 v77, v45, v3
	v_fmac_f32_e32 v80, 0x80000000, v3
	v_fmac_f32_e32 v79, v46, v3
	v_fmac_f32_e32 v75, 0x80000000, v3
	v_fmac_f32_e32 v81, v47, v3
	;; [unrolled: 33-line block ×4, first 2 shown]
	s_waitcnt vmcnt(1)
	v_fmac_f32_e32 v76, v28, v56
	v_fmac_f32_e32 v74, 0, v56
	;; [unrolled: 1-line block ×16, first 2 shown]
	s_waitcnt vmcnt(0)
	v_fmac_f32_e32 v76, v4, v58
	v_fmac_f32_e32 v74, 0, v58
	v_fmac_f32_e32 v78, v5, v58
	v_fmac_f32_e32 v77, 0, v58
	v_fmac_f32_e32 v80, v6, v58
	v_fmac_f32_e32 v79, 0, v58
	v_fmac_f32_e32 v75, v7, v58
	v_fmac_f32_e32 v81, 0, v58
	v_fmac_f32_e32 v76, 0x80000000, v59
	v_fmac_f32_e32 v74, v4, v59
	v_fmac_f32_e32 v78, 0x80000000, v59
	v_fmac_f32_e32 v77, v5, v59
	v_fmac_f32_e32 v80, 0x80000000, v59
	v_fmac_f32_e32 v79, v6, v59
	v_fmac_f32_e32 v75, 0x80000000, v59
	v_fmac_f32_e32 v81, v7, v59
	s_andn2_b32 exec_lo, exec_lo, s3
	s_cbranch_execnz .LBB122_31
; %bb.32:
	s_or_b32 exec_lo, exec_lo, s3
.LBB122_33:
	s_or_b32 exec_lo, exec_lo, s0
.LBB122_34:
	s_or_b32 exec_lo, exec_lo, s1
.LBB122_35:
	v_mbcnt_lo_u32_b32 v0, -1, 0
	v_xor_b32_e32 v1, 8, v0
	v_xor_b32_e32 v9, 4, v0
	;; [unrolled: 1-line block ×3, first 2 shown]
	v_cmp_gt_i32_e32 vcc_lo, 32, v1
	v_cndmask_b32_e32 v1, v0, v1, vcc_lo
	v_cmp_gt_i32_e32 vcc_lo, 32, v9
	v_lshlrev_b32_e32 v1, 2, v1
	v_cndmask_b32_e32 v9, v0, v9, vcc_lo
	v_cmp_gt_i32_e32 vcc_lo, 32, v17
	ds_bpermute_b32 v2, v1, v76
	ds_bpermute_b32 v3, v1, v74
	ds_bpermute_b32 v4, v1, v78
	ds_bpermute_b32 v5, v1, v77
	ds_bpermute_b32 v6, v1, v80
	ds_bpermute_b32 v7, v1, v79
	ds_bpermute_b32 v8, v1, v75
	ds_bpermute_b32 v1, v1, v81
	v_lshlrev_b32_e32 v9, 2, v9
	v_cndmask_b32_e32 v17, v0, v17, vcc_lo
	v_lshlrev_b32_e32 v17, 2, v17
	s_waitcnt lgkmcnt(7)
	v_add_f32_e32 v2, v76, v2
	s_waitcnt lgkmcnt(6)
	v_add_f32_e32 v3, v74, v3
	;; [unrolled: 2-line block ×8, first 2 shown]
	ds_bpermute_b32 v10, v9, v2
	ds_bpermute_b32 v11, v9, v3
	ds_bpermute_b32 v12, v9, v4
	ds_bpermute_b32 v13, v9, v5
	ds_bpermute_b32 v14, v9, v6
	ds_bpermute_b32 v15, v9, v7
	ds_bpermute_b32 v16, v9, v8
	ds_bpermute_b32 v9, v9, v1
	s_waitcnt lgkmcnt(7)
	v_add_f32_e32 v2, v2, v10
	s_waitcnt lgkmcnt(6)
	v_add_f32_e32 v3, v3, v11
	;; [unrolled: 2-line block ×8, first 2 shown]
	ds_bpermute_b32 v1, v17, v2
	ds_bpermute_b32 v10, v17, v3
	;; [unrolled: 1-line block ×8, first 2 shown]
	v_xor_b32_e32 v17, 1, v0
	v_cmp_gt_i32_e32 vcc_lo, 32, v17
	v_cndmask_b32_e32 v0, v0, v17, vcc_lo
	v_cmp_eq_u32_e32 vcc_lo, 15, v73
	v_lshlrev_b32_e32 v17, 2, v0
	s_waitcnt lgkmcnt(7)
	v_add_f32_e32 v0, v2, v1
	s_waitcnt lgkmcnt(6)
	v_add_f32_e32 v1, v3, v10
	;; [unrolled: 2-line block ×8, first 2 shown]
	ds_bpermute_b32 v8, v17, v0
	ds_bpermute_b32 v9, v17, v1
	;; [unrolled: 1-line block ×8, first 2 shown]
	s_and_b32 exec_lo, exec_lo, vcc_lo
	s_cbranch_execz .LBB122_8
; %bb.36:
	s_load_dwordx2 s[2:3], s[4:5], 0x50
	s_waitcnt lgkmcnt(0)
	v_add_f32_e32 v8, v0, v8
	v_add_f32_e32 v0, v1, v9
	;; [unrolled: 1-line block ×8, first 2 shown]
	v_mul_f32_e64 v4, v0, -v63
	v_mul_f32_e32 v5, v62, v0
	v_mul_f32_e64 v6, v1, -v63
	v_mul_f32_e32 v7, v62, v1
	;; [unrolled: 2-line block ×4, first 2 shown]
	v_cmp_eq_f32_e32 vcc_lo, 0, v60
	v_cmp_eq_f32_e64 s0, 0, v61
	v_fmac_f32_e32 v4, v62, v8
	v_fmac_f32_e32 v5, v63, v8
	v_lshlrev_b32_e32 v8, 2, v64
	v_fmac_f32_e32 v6, v62, v9
	v_fmac_f32_e32 v7, v63, v9
	;; [unrolled: 1-line block ×6, first 2 shown]
	s_and_b32 s0, vcc_lo, s0
	s_and_saveexec_b32 s1, s0
	s_xor_b32 s0, exec_lo, s1
	s_cbranch_execz .LBB122_38
; %bb.37:
	v_ashrrev_i32_e32 v9, 31, v8
                                        ; implicit-def: $vgpr60_vgpr61
	v_lshlrev_b64 v[8:9], 3, v[8:9]
	v_add_co_u32 v8, vcc_lo, s2, v8
	v_add_co_ci_u32_e64 v9, null, s3, v9, vcc_lo
	global_store_dwordx4 v[8:9], v[4:7], off
	global_store_dwordx4 v[8:9], v[0:3], off offset:16
                                        ; implicit-def: $vgpr4
                                        ; implicit-def: $vgpr8
                                        ; implicit-def: $vgpr0
.LBB122_38:
	s_andn2_saveexec_b32 s0, s0
	s_cbranch_execz .LBB122_8
; %bb.39:
	v_ashrrev_i32_e32 v9, 31, v8
	v_lshlrev_b64 v[8:9], 3, v[8:9]
	v_add_co_u32 v16, vcc_lo, s2, v8
	v_add_co_ci_u32_e64 v17, null, s3, v9, vcc_lo
	s_clause 0x1
	global_load_dwordx4 v[8:11], v[16:17], off
	global_load_dwordx4 v[12:15], v[16:17], off offset:16
	s_waitcnt vmcnt(1)
	v_fmac_f32_e32 v4, v60, v8
	v_fmac_f32_e32 v5, v61, v8
	;; [unrolled: 1-line block ×4, first 2 shown]
	s_waitcnt vmcnt(0)
	v_fmac_f32_e32 v0, v60, v12
	v_fmac_f32_e32 v1, v61, v12
	;; [unrolled: 1-line block ×4, first 2 shown]
	v_fma_f32 v4, -v61, v9, v4
	v_fmac_f32_e32 v5, v60, v9
	v_fma_f32 v6, -v61, v11, v6
	v_fmac_f32_e32 v7, v60, v11
	;; [unrolled: 2-line block ×4, first 2 shown]
	global_store_dwordx4 v[16:17], v[4:7], off
	global_store_dwordx4 v[16:17], v[0:3], off offset:16
	s_endpgm
	.section	.rodata,"a",@progbits
	.p2align	6, 0x0
	.amdhsa_kernel _ZN9rocsparseL18bsrxmvn_4x4_kernelILj128ELj16E21rocsparse_complex_numIfEiifS2_S2_EEvT3_20rocsparse_direction_NS_24const_host_device_scalarIT1_EES3_PKS3_PKT2_SC_S9_PKT4_PKT5_S7_PT6_21rocsparse_index_base_b
		.amdhsa_group_segment_fixed_size 0
		.amdhsa_private_segment_fixed_size 0
		.amdhsa_kernarg_size 96
		.amdhsa_user_sgpr_count 6
		.amdhsa_user_sgpr_private_segment_buffer 1
		.amdhsa_user_sgpr_dispatch_ptr 0
		.amdhsa_user_sgpr_queue_ptr 0
		.amdhsa_user_sgpr_kernarg_segment_ptr 1
		.amdhsa_user_sgpr_dispatch_id 0
		.amdhsa_user_sgpr_flat_scratch_init 0
		.amdhsa_user_sgpr_private_segment_size 0
		.amdhsa_wavefront_size32 1
		.amdhsa_uses_dynamic_stack 0
		.amdhsa_system_sgpr_private_segment_wavefront_offset 0
		.amdhsa_system_sgpr_workgroup_id_x 1
		.amdhsa_system_sgpr_workgroup_id_y 0
		.amdhsa_system_sgpr_workgroup_id_z 0
		.amdhsa_system_sgpr_workgroup_info 0
		.amdhsa_system_vgpr_workitem_id 0
		.amdhsa_next_free_vgpr 104
		.amdhsa_next_free_sgpr 16
		.amdhsa_reserve_vcc 1
		.amdhsa_reserve_flat_scratch 0
		.amdhsa_float_round_mode_32 0
		.amdhsa_float_round_mode_16_64 0
		.amdhsa_float_denorm_mode_32 3
		.amdhsa_float_denorm_mode_16_64 3
		.amdhsa_dx10_clamp 1
		.amdhsa_ieee_mode 1
		.amdhsa_fp16_overflow 0
		.amdhsa_workgroup_processor_mode 1
		.amdhsa_memory_ordered 1
		.amdhsa_forward_progress 1
		.amdhsa_shared_vgpr_count 0
		.amdhsa_exception_fp_ieee_invalid_op 0
		.amdhsa_exception_fp_denorm_src 0
		.amdhsa_exception_fp_ieee_div_zero 0
		.amdhsa_exception_fp_ieee_overflow 0
		.amdhsa_exception_fp_ieee_underflow 0
		.amdhsa_exception_fp_ieee_inexact 0
		.amdhsa_exception_int_div_zero 0
	.end_amdhsa_kernel
	.section	.text._ZN9rocsparseL18bsrxmvn_4x4_kernelILj128ELj16E21rocsparse_complex_numIfEiifS2_S2_EEvT3_20rocsparse_direction_NS_24const_host_device_scalarIT1_EES3_PKS3_PKT2_SC_S9_PKT4_PKT5_S7_PT6_21rocsparse_index_base_b,"axG",@progbits,_ZN9rocsparseL18bsrxmvn_4x4_kernelILj128ELj16E21rocsparse_complex_numIfEiifS2_S2_EEvT3_20rocsparse_direction_NS_24const_host_device_scalarIT1_EES3_PKS3_PKT2_SC_S9_PKT4_PKT5_S7_PT6_21rocsparse_index_base_b,comdat
.Lfunc_end122:
	.size	_ZN9rocsparseL18bsrxmvn_4x4_kernelILj128ELj16E21rocsparse_complex_numIfEiifS2_S2_EEvT3_20rocsparse_direction_NS_24const_host_device_scalarIT1_EES3_PKS3_PKT2_SC_S9_PKT4_PKT5_S7_PT6_21rocsparse_index_base_b, .Lfunc_end122-_ZN9rocsparseL18bsrxmvn_4x4_kernelILj128ELj16E21rocsparse_complex_numIfEiifS2_S2_EEvT3_20rocsparse_direction_NS_24const_host_device_scalarIT1_EES3_PKS3_PKT2_SC_S9_PKT4_PKT5_S7_PT6_21rocsparse_index_base_b
                                        ; -- End function
	.set _ZN9rocsparseL18bsrxmvn_4x4_kernelILj128ELj16E21rocsparse_complex_numIfEiifS2_S2_EEvT3_20rocsparse_direction_NS_24const_host_device_scalarIT1_EES3_PKS3_PKT2_SC_S9_PKT4_PKT5_S7_PT6_21rocsparse_index_base_b.num_vgpr, 104
	.set _ZN9rocsparseL18bsrxmvn_4x4_kernelILj128ELj16E21rocsparse_complex_numIfEiifS2_S2_EEvT3_20rocsparse_direction_NS_24const_host_device_scalarIT1_EES3_PKS3_PKT2_SC_S9_PKT4_PKT5_S7_PT6_21rocsparse_index_base_b.num_agpr, 0
	.set _ZN9rocsparseL18bsrxmvn_4x4_kernelILj128ELj16E21rocsparse_complex_numIfEiifS2_S2_EEvT3_20rocsparse_direction_NS_24const_host_device_scalarIT1_EES3_PKS3_PKT2_SC_S9_PKT4_PKT5_S7_PT6_21rocsparse_index_base_b.numbered_sgpr, 16
	.set _ZN9rocsparseL18bsrxmvn_4x4_kernelILj128ELj16E21rocsparse_complex_numIfEiifS2_S2_EEvT3_20rocsparse_direction_NS_24const_host_device_scalarIT1_EES3_PKS3_PKT2_SC_S9_PKT4_PKT5_S7_PT6_21rocsparse_index_base_b.num_named_barrier, 0
	.set _ZN9rocsparseL18bsrxmvn_4x4_kernelILj128ELj16E21rocsparse_complex_numIfEiifS2_S2_EEvT3_20rocsparse_direction_NS_24const_host_device_scalarIT1_EES3_PKS3_PKT2_SC_S9_PKT4_PKT5_S7_PT6_21rocsparse_index_base_b.private_seg_size, 0
	.set _ZN9rocsparseL18bsrxmvn_4x4_kernelILj128ELj16E21rocsparse_complex_numIfEiifS2_S2_EEvT3_20rocsparse_direction_NS_24const_host_device_scalarIT1_EES3_PKS3_PKT2_SC_S9_PKT4_PKT5_S7_PT6_21rocsparse_index_base_b.uses_vcc, 1
	.set _ZN9rocsparseL18bsrxmvn_4x4_kernelILj128ELj16E21rocsparse_complex_numIfEiifS2_S2_EEvT3_20rocsparse_direction_NS_24const_host_device_scalarIT1_EES3_PKS3_PKT2_SC_S9_PKT4_PKT5_S7_PT6_21rocsparse_index_base_b.uses_flat_scratch, 0
	.set _ZN9rocsparseL18bsrxmvn_4x4_kernelILj128ELj16E21rocsparse_complex_numIfEiifS2_S2_EEvT3_20rocsparse_direction_NS_24const_host_device_scalarIT1_EES3_PKS3_PKT2_SC_S9_PKT4_PKT5_S7_PT6_21rocsparse_index_base_b.has_dyn_sized_stack, 0
	.set _ZN9rocsparseL18bsrxmvn_4x4_kernelILj128ELj16E21rocsparse_complex_numIfEiifS2_S2_EEvT3_20rocsparse_direction_NS_24const_host_device_scalarIT1_EES3_PKS3_PKT2_SC_S9_PKT4_PKT5_S7_PT6_21rocsparse_index_base_b.has_recursion, 0
	.set _ZN9rocsparseL18bsrxmvn_4x4_kernelILj128ELj16E21rocsparse_complex_numIfEiifS2_S2_EEvT3_20rocsparse_direction_NS_24const_host_device_scalarIT1_EES3_PKS3_PKT2_SC_S9_PKT4_PKT5_S7_PT6_21rocsparse_index_base_b.has_indirect_call, 0
	.section	.AMDGPU.csdata,"",@progbits
; Kernel info:
; codeLenInByte = 6496
; TotalNumSgprs: 18
; NumVgprs: 104
; ScratchSize: 0
; MemoryBound: 0
; FloatMode: 240
; IeeeMode: 1
; LDSByteSize: 0 bytes/workgroup (compile time only)
; SGPRBlocks: 0
; VGPRBlocks: 12
; NumSGPRsForWavesPerEU: 18
; NumVGPRsForWavesPerEU: 104
; Occupancy: 9
; WaveLimiterHint : 1
; COMPUTE_PGM_RSRC2:SCRATCH_EN: 0
; COMPUTE_PGM_RSRC2:USER_SGPR: 6
; COMPUTE_PGM_RSRC2:TRAP_HANDLER: 0
; COMPUTE_PGM_RSRC2:TGID_X_EN: 1
; COMPUTE_PGM_RSRC2:TGID_Y_EN: 0
; COMPUTE_PGM_RSRC2:TGID_Z_EN: 0
; COMPUTE_PGM_RSRC2:TIDIG_COMP_CNT: 0
	.section	.text._ZN9rocsparseL18bsrxmvn_4x4_kernelILj128ELj32E21rocsparse_complex_numIfEiifS2_S2_EEvT3_20rocsparse_direction_NS_24const_host_device_scalarIT1_EES3_PKS3_PKT2_SC_S9_PKT4_PKT5_S7_PT6_21rocsparse_index_base_b,"axG",@progbits,_ZN9rocsparseL18bsrxmvn_4x4_kernelILj128ELj32E21rocsparse_complex_numIfEiifS2_S2_EEvT3_20rocsparse_direction_NS_24const_host_device_scalarIT1_EES3_PKS3_PKT2_SC_S9_PKT4_PKT5_S7_PT6_21rocsparse_index_base_b,comdat
	.globl	_ZN9rocsparseL18bsrxmvn_4x4_kernelILj128ELj32E21rocsparse_complex_numIfEiifS2_S2_EEvT3_20rocsparse_direction_NS_24const_host_device_scalarIT1_EES3_PKS3_PKT2_SC_S9_PKT4_PKT5_S7_PT6_21rocsparse_index_base_b ; -- Begin function _ZN9rocsparseL18bsrxmvn_4x4_kernelILj128ELj32E21rocsparse_complex_numIfEiifS2_S2_EEvT3_20rocsparse_direction_NS_24const_host_device_scalarIT1_EES3_PKS3_PKT2_SC_S9_PKT4_PKT5_S7_PT6_21rocsparse_index_base_b
	.p2align	8
	.type	_ZN9rocsparseL18bsrxmvn_4x4_kernelILj128ELj32E21rocsparse_complex_numIfEiifS2_S2_EEvT3_20rocsparse_direction_NS_24const_host_device_scalarIT1_EES3_PKS3_PKT2_SC_S9_PKT4_PKT5_S7_PT6_21rocsparse_index_base_b,@function
_ZN9rocsparseL18bsrxmvn_4x4_kernelILj128ELj32E21rocsparse_complex_numIfEiifS2_S2_EEvT3_20rocsparse_direction_NS_24const_host_device_scalarIT1_EES3_PKS3_PKT2_SC_S9_PKT4_PKT5_S7_PT6_21rocsparse_index_base_b: ; @_ZN9rocsparseL18bsrxmvn_4x4_kernelILj128ELj32E21rocsparse_complex_numIfEiifS2_S2_EEvT3_20rocsparse_direction_NS_24const_host_device_scalarIT1_EES3_PKS3_PKT2_SC_S9_PKT4_PKT5_S7_PT6_21rocsparse_index_base_b
; %bb.0:
	s_clause 0x2
	s_load_dwordx2 s[2:3], s[4:5], 0x58
	s_load_dwordx2 s[0:1], s[4:5], 0x8
	;; [unrolled: 1-line block ×3, first 2 shown]
	s_add_u32 s7, s4, 8
	s_addc_u32 s10, s5, 0
	s_add_u32 s11, s4, 0x48
	s_addc_u32 s12, s5, 0
	s_waitcnt lgkmcnt(0)
	s_bitcmp1_b32 s3, 0
	s_cselect_b32 s0, s7, s0
	s_cselect_b32 s1, s10, s1
	v_mov_b32_e32 v1, s0
	v_mov_b32_e32 v2, s1
	s_cselect_b32 s0, s11, s8
	s_cselect_b32 s1, s12, s9
	flat_load_dwordx2 v[50:51], v[1:2]
	v_mov_b32_e32 v1, s0
	v_mov_b32_e32 v2, s1
	flat_load_dwordx2 v[48:49], v[1:2]
	s_waitcnt vmcnt(1) lgkmcnt(1)
	v_cmp_eq_f32_e32 vcc_lo, 0, v50
	v_cmp_eq_f32_e64 s0, 0, v51
	s_and_b32 s3, vcc_lo, s0
	s_mov_b32 s0, -1
	s_and_saveexec_b32 s1, s3
	s_cbranch_execz .LBB123_2
; %bb.1:
	s_waitcnt vmcnt(0) lgkmcnt(0)
	v_cmp_neq_f32_e32 vcc_lo, 1.0, v48
	v_cmp_neq_f32_e64 s0, 0, v49
	s_or_b32 s0, vcc_lo, s0
	s_orn2_b32 s0, s0, exec_lo
.LBB123_2:
	s_or_b32 exec_lo, exec_lo, s1
	s_and_saveexec_b32 s1, s0
	s_cbranch_execz .LBB123_8
; %bb.3:
	s_clause 0x1
	s_load_dwordx2 s[8:9], s[4:5], 0x18
	s_load_dwordx2 s[0:1], s[4:5], 0x0
	v_lshrrev_b32_e32 v1, 5, v0
	v_lshl_or_b32 v52, s6, 2, v1
	s_waitcnt lgkmcnt(0)
	s_cmp_lg_u64 s[8:9], 0
	s_cbranch_scc0 .LBB123_9
; %bb.4:
	s_load_dword s3, s[4:5], 0x10
	s_mov_b32 s6, 0
                                        ; implicit-def: $vgpr1
	s_waitcnt lgkmcnt(0)
	v_cmp_gt_i32_e32 vcc_lo, s3, v52
	s_mov_b32 s3, 0
	s_and_saveexec_b32 s7, vcc_lo
	s_xor_b32 s7, exec_lo, s7
	s_cbranch_execz .LBB123_6
; %bb.5:
	v_ashrrev_i32_e32 v53, 31, v52
	s_mov_b32 s3, exec_lo
	v_lshlrev_b64 v[1:2], 2, v[52:53]
	v_add_co_u32 v1, vcc_lo, s8, v1
	v_add_co_ci_u32_e64 v2, null, s9, v2, vcc_lo
	global_load_dword v1, v[1:2], off
	s_waitcnt vmcnt(0)
	v_subrev_nc_u32_e32 v1, s2, v1
.LBB123_6:
	s_or_b32 exec_lo, exec_lo, s7
	s_and_b32 vcc_lo, exec_lo, s6
	s_cbranch_vccz .LBB123_10
.LBB123_7:
	v_cmp_gt_i32_e32 vcc_lo, s0, v52
	s_andn2_b32 s0, s3, exec_lo
	s_and_b32 s3, vcc_lo, exec_lo
	s_or_b32 s3, s0, s3
	s_and_b32 exec_lo, exec_lo, s3
	s_cbranch_execnz .LBB123_11
.LBB123_8:
	s_endpgm
.LBB123_9:
	s_mov_b32 s3, 0
                                        ; implicit-def: $vgpr1
	s_cbranch_execnz .LBB123_7
.LBB123_10:
	v_mov_b32_e32 v52, v1
	s_and_b32 exec_lo, exec_lo, s3
	s_cbranch_execz .LBB123_8
.LBB123_11:
	s_load_dwordx8 s[8:15], s[4:5], 0x20
	v_ashrrev_i32_e32 v53, 31, v52
	v_and_b32_e32 v61, 31, v0
	s_load_dwordx2 s[6:7], s[4:5], 0x40
	v_lshlrev_b64 v[1:2], 2, v[52:53]
	s_waitcnt lgkmcnt(0)
	v_add_co_u32 v3, vcc_lo, s8, v1
	v_add_co_ci_u32_e64 v4, null, s9, v2, vcc_lo
	v_add_co_u32 v1, vcc_lo, s10, v1
	v_add_co_ci_u32_e64 v2, null, s11, v2, vcc_lo
	global_load_dword v71, v[3:4], off
	v_add_co_u32 v3, vcc_lo, v3, 4
	v_add_co_ci_u32_e64 v4, null, 0, v4, vcc_lo
	s_cmp_eq_u64 s[10:11], 0
	s_cselect_b32 vcc_lo, -1, 0
	s_cmp_eq_u32 s1, 1
	v_cndmask_b32_e32 v2, v2, v4, vcc_lo
	v_cndmask_b32_e32 v1, v1, v3, vcc_lo
	global_load_dword v2, v[1:2], off
	s_waitcnt vmcnt(1)
	v_subrev_nc_u32_e32 v0, s2, v71
	v_add_nc_u32_e32 v53, v0, v61
	v_ashrrev_i32_e32 v54, 31, v53
	s_waitcnt vmcnt(0)
	v_subrev_nc_u32_e32 v70, s2, v2
	v_lshlrev_b64 v[0:1], 6, v[53:54]
	v_cmp_lt_i32_e64 s0, v53, v70
	v_add_co_u32 v55, vcc_lo, s14, v0
	v_add_co_ci_u32_e64 v56, null, s15, v1, vcc_lo
	s_cbranch_scc1 .LBB123_23
; %bb.12:
	v_mov_b32_e32 v62, 0
	v_mov_b32_e32 v64, 0
	;; [unrolled: 1-line block ×8, first 2 shown]
	s_and_saveexec_b32 s1, s0
	s_cbranch_execz .LBB123_22
; %bb.13:
	v_add_nc_u32_e32 v0, v71, v61
	v_not_b32_e32 v1, v71
	v_mov_b32_e32 v58, v56
	v_mov_b32_e32 v63, 0
	;; [unrolled: 1-line block ×3, first 2 shown]
	v_subrev_nc_u32_e32 v0, s2, v0
	v_mov_b32_e32 v68, 0
	v_mov_b32_e32 v67, 0
	;; [unrolled: 1-line block ×4, first 2 shown]
	v_add_nc_u32_e32 v0, 32, v0
	v_mov_b32_e32 v64, 0
	v_mov_b32_e32 v62, 0
	;; [unrolled: 1-line block ×4, first 2 shown]
	v_max_i32_e32 v0, v0, v70
	s_mov_b32 s3, exec_lo
	v_add3_u32 v0, s2, v0, v1
	v_sub_nc_u32_e32 v0, v0, v61
	v_and_b32_e32 v1, 0x60, v0
	v_cmpx_ne_u32_e32 0x60, v1
	s_cbranch_execz .LBB123_17
; %bb.14:
	v_lshrrev_b32_e32 v1, 5, v0
	v_mov_b32_e32 v58, v56
	v_mov_b32_e32 v62, 0
	;; [unrolled: 1-line block ×4, first 2 shown]
	v_add_nc_u32_e32 v1, 1, v1
	v_mov_b32_e32 v64, 0
	v_mov_b32_e32 v65, 0
	;; [unrolled: 1-line block ×4, first 2 shown]
	v_and_b32_e32 v1, 3, v1
	v_mov_b32_e32 v68, 0
	v_mov_b32_e32 v69, 0
	;; [unrolled: 1-line block ×3, first 2 shown]
	s_mov_b32 s8, 0
	v_sub_nc_u32_e32 v1, 0, v1
.LBB123_15:                             ; =>This Inner Loop Header: Depth=1
	v_ashrrev_i32_e32 v60, 31, v59
	v_add_co_u32 v1, s9, v1, 1
	s_or_b32 s8, s9, s8
	v_lshlrev_b64 v[2:3], 2, v[59:60]
	v_add_nc_u32_e32 v59, 32, v59
	v_add_co_u32 v2, vcc_lo, s12, v2
	v_add_co_ci_u32_e64 v3, null, s13, v3, vcc_lo
	global_load_dword v18, v[2:3], off
	s_clause 0x3
	global_load_dwordx4 v[2:5], v[57:58], off offset:48
	global_load_dwordx4 v[6:9], v[57:58], off offset:32
	;; [unrolled: 1-line block ×3, first 2 shown]
	global_load_dwordx4 v[14:17], v[57:58], off
	s_waitcnt vmcnt(4)
	v_subrev_nc_u32_e32 v18, s2, v18
	v_lshlrev_b32_e32 v18, 2, v18
	v_ashrrev_i32_e32 v19, 31, v18
	v_lshlrev_b64 v[18:19], 3, v[18:19]
	v_add_co_u32 v22, vcc_lo, s6, v18
	v_add_co_ci_u32_e64 v23, null, s7, v19, vcc_lo
	v_add_co_u32 v57, vcc_lo, 0x800, v57
	v_add_co_ci_u32_e64 v58, null, 0, v58, vcc_lo
	s_clause 0x1
	global_load_dwordx4 v[18:21], v[22:23], off
	global_load_dwordx4 v[22:25], v[22:23], off offset:16
	s_waitcnt vmcnt(1)
	v_fmac_f32_e32 v64, v14, v18
	v_fmac_f32_e32 v62, 0, v18
	;; [unrolled: 1-line block ×32, first 2 shown]
	s_waitcnt vmcnt(0)
	v_fmac_f32_e32 v64, v16, v22
	v_fmac_f32_e32 v62, 0, v22
	;; [unrolled: 1-line block ×32, first 2 shown]
	s_andn2_b32 exec_lo, exec_lo, s8
	s_cbranch_execnz .LBB123_15
; %bb.16:
	s_or_b32 exec_lo, exec_lo, s8
.LBB123_17:
	s_or_b32 exec_lo, exec_lo, s3
	s_mov_b32 s3, exec_lo
	v_cmpx_lt_u32_e32 0x5f, v0
	s_cbranch_execz .LBB123_21
; %bb.18:
	s_mov_b32 s8, 0
.LBB123_19:                             ; =>This Inner Loop Header: Depth=1
	v_ashrrev_i32_e32 v60, 31, v59
	v_add_co_u32 v16, vcc_lo, 0x800, v57
	v_add_co_ci_u32_e64 v17, null, 0, v58, vcc_lo
	v_add_co_u32 v18, vcc_lo, v57, 0x1000
	v_lshlrev_b64 v[88:89], 2, v[59:60]
	v_add_co_ci_u32_e64 v19, null, 0, v58, vcc_lo
	v_add_co_u32 v28, vcc_lo, 0x1000, v57
	v_add_co_ci_u32_e64 v29, null, 0, v58, vcc_lo
	v_add_co_u32 v44, vcc_lo, 0x1800, v57
	;; [unrolled: 2-line block ×3, first 2 shown]
	v_add_co_ci_u32_e64 v89, null, s13, v89, vcc_lo
	s_clause 0xf
	global_load_dwordx4 v[0:3], v[57:58], off offset:48
	global_load_dwordx4 v[4:7], v[57:58], off offset:32
	;; [unrolled: 1-line block ×3, first 2 shown]
	global_load_dwordx4 v[12:15], v[57:58], off
	global_load_dwordx4 v[72:75], v[16:17], off offset:48
	global_load_dwordx4 v[76:79], v[16:17], off offset:32
	global_load_dwordx4 v[80:83], v[16:17], off offset:16
	global_load_dwordx4 v[84:87], v[18:19], off offset:-2048
	global_load_dwordx4 v[24:27], v[18:19], off
	global_load_dwordx4 v[16:19], v[28:29], off offset:48
	global_load_dwordx4 v[20:23], v[28:29], off offset:32
	;; [unrolled: 1-line block ×5, first 2 shown]
	global_load_dwordx4 v[36:39], v[44:45], off
	global_load_dwordx4 v[44:47], v[44:45], off offset:16
	s_clause 0x3
	global_load_dword v54, v[88:89], off
	global_load_dword v60, v[88:89], off offset:128
	global_load_dword v90, v[88:89], off offset:256
	;; [unrolled: 1-line block ×3, first 2 shown]
	v_add_nc_u32_e32 v59, 0x80, v59
	s_waitcnt vmcnt(3)
	v_subrev_nc_u32_e32 v54, s2, v54
	s_waitcnt vmcnt(2)
	v_subrev_nc_u32_e32 v60, s2, v60
	;; [unrolled: 2-line block ×4, first 2 shown]
	v_lshlrev_b32_e32 v88, 2, v54
	v_lshlrev_b32_e32 v90, 2, v60
	;; [unrolled: 1-line block ×4, first 2 shown]
	v_ashrrev_i32_e32 v89, 31, v88
	v_ashrrev_i32_e32 v91, 31, v90
	;; [unrolled: 1-line block ×4, first 2 shown]
	v_lshlrev_b64 v[88:89], 3, v[88:89]
	v_lshlrev_b64 v[90:91], 3, v[90:91]
	;; [unrolled: 1-line block ×4, first 2 shown]
	v_add_co_u32 v96, vcc_lo, s6, v88
	v_add_co_ci_u32_e64 v97, null, s7, v89, vcc_lo
	v_add_co_u32 v98, vcc_lo, s6, v90
	v_add_co_ci_u32_e64 v99, null, s7, v91, vcc_lo
	;; [unrolled: 2-line block ×4, first 2 shown]
	s_clause 0x1
	global_load_dwordx4 v[88:91], v[96:97], off
	global_load_dwordx4 v[92:95], v[96:97], off offset:16
	v_add_co_u32 v57, vcc_lo, 0x2000, v57
	v_add_co_ci_u32_e64 v58, null, 0, v58, vcc_lo
	v_cmp_ge_i32_e32 vcc_lo, v59, v70
	s_or_b32 s8, vcc_lo, s8
	s_waitcnt vmcnt(1)
	v_fmac_f32_e32 v64, v12, v88
	v_fmac_f32_e32 v62, 0, v88
	;; [unrolled: 1-line block ×32, first 2 shown]
	global_load_dwordx4 v[88:91], v[98:99], off
	s_waitcnt vmcnt(1)
	v_fmac_f32_e32 v62, 0, v92
	v_fmac_f32_e32 v64, v14, v92
	;; [unrolled: 1-line block ×16, first 2 shown]
	global_load_dwordx4 v[12:15], v[98:99], off offset:16
	v_fmac_f32_e32 v65, v11, v95
	s_clause 0x1
	global_load_dwordx4 v[8:11], v[100:101], off
	global_load_dwordx4 v[96:99], v[100:101], off offset:16
	v_fmac_f32_e32 v68, 0x80000000, v93
	v_fmac_f32_e32 v67, 0, v94
	;; [unrolled: 1-line block ×7, first 2 shown]
	global_load_dwordx4 v[4:7], v[102:103], off
	v_fmac_f32_e32 v69, v2, v93
	v_fmac_f32_e32 v63, 0x80000000, v93
	;; [unrolled: 1-line block ×7, first 2 shown]
	global_load_dwordx4 v[0:3], v[102:103], off offset:16
	v_fmac_f32_e32 v63, 0x80000000, v95
	s_waitcnt vmcnt(5)
	v_fmac_f32_e32 v64, v84, v88
	v_fmac_f32_e32 v62, 0, v88
	v_fmac_f32_e32 v66, v80, v88
	v_fmac_f32_e32 v65, 0, v88
	v_fmac_f32_e32 v68, v76, v88
	v_fmac_f32_e32 v67, 0, v88
	v_fmac_f32_e32 v63, v72, v88
	v_fmac_f32_e32 v69, 0, v88
	v_fmac_f32_e32 v64, 0x80000000, v89
	v_fmac_f32_e32 v62, v84, v89
	v_fmac_f32_e32 v66, 0x80000000, v89
	v_fmac_f32_e32 v65, v80, v89
	v_fmac_f32_e32 v68, 0x80000000, v89
	v_fmac_f32_e32 v67, v76, v89
	v_fmac_f32_e32 v63, 0x80000000, v89
	v_fmac_f32_e32 v69, v72, v89
	v_fmac_f32_e32 v64, v85, v90
	v_fmac_f32_e32 v62, 0, v90
	v_fmac_f32_e32 v66, v81, v90
	v_fmac_f32_e32 v65, 0, v90
	v_fmac_f32_e32 v68, v77, v90
	v_fmac_f32_e32 v67, 0, v90
	v_fmac_f32_e32 v63, v73, v90
	v_fmac_f32_e32 v69, 0, v90
	v_fmac_f32_e32 v64, 0x80000000, v91
	v_fmac_f32_e32 v62, v85, v91
	v_fmac_f32_e32 v66, 0x80000000, v91
	v_fmac_f32_e32 v65, v81, v91
	v_fmac_f32_e32 v68, 0x80000000, v91
	v_fmac_f32_e32 v67, v77, v91
	v_fmac_f32_e32 v63, 0x80000000, v91
	v_fmac_f32_e32 v69, v73, v91
	s_waitcnt vmcnt(4)
	v_fmac_f32_e32 v62, 0, v12
	v_fmac_f32_e32 v64, v86, v12
	v_fmac_f32_e32 v65, 0, v12
	v_fmac_f32_e32 v66, v82, v12
	v_fmac_f32_e32 v67, 0, v12
	v_fmac_f32_e32 v68, v78, v12
	v_fmac_f32_e32 v63, v74, v12
	v_fmac_f32_e32 v69, 0, v12
	v_fmac_f32_e32 v62, v86, v13
	v_fmac_f32_e32 v64, 0x80000000, v13
	v_fmac_f32_e32 v65, v82, v13
	v_fmac_f32_e32 v66, 0x80000000, v13
	v_fmac_f32_e32 v67, v78, v13
	v_fmac_f32_e32 v68, 0x80000000, v13
	v_fmac_f32_e32 v63, 0x80000000, v13
	v_fmac_f32_e32 v69, v74, v13
	v_fmac_f32_e32 v62, 0, v14
	v_fmac_f32_e32 v64, v87, v14
	v_fmac_f32_e32 v65, 0, v14
	v_fmac_f32_e32 v66, v83, v14
	v_fmac_f32_e32 v67, 0, v14
	v_fmac_f32_e32 v68, v79, v14
	v_fmac_f32_e32 v63, v75, v14
	v_fmac_f32_e32 v69, 0, v14
	v_fmac_f32_e32 v62, v87, v15
	v_fmac_f32_e32 v65, v83, v15
	v_fmac_f32_e32 v67, v79, v15
	v_fmac_f32_e32 v64, 0x80000000, v15
	v_fmac_f32_e32 v66, 0x80000000, v15
	v_fmac_f32_e32 v68, 0x80000000, v15
	v_fmac_f32_e32 v63, 0x80000000, v15
	;; [unrolled: 33-line block ×6, first 2 shown]
	v_fmac_f32_e32 v69, v31, v3
	s_andn2_b32 exec_lo, exec_lo, s8
	s_cbranch_execnz .LBB123_19
; %bb.20:
	s_or_b32 exec_lo, exec_lo, s8
.LBB123_21:
	s_or_b32 exec_lo, exec_lo, s3
.LBB123_22:
	s_or_b32 exec_lo, exec_lo, s1
	s_cbranch_execz .LBB123_24
	s_branch .LBB123_35
.LBB123_23:
                                        ; implicit-def: $vgpr62
                                        ; implicit-def: $vgpr64
                                        ; implicit-def: $vgpr65
                                        ; implicit-def: $vgpr66
                                        ; implicit-def: $vgpr67
                                        ; implicit-def: $vgpr68
                                        ; implicit-def: $vgpr69
                                        ; implicit-def: $vgpr63
.LBB123_24:
	v_mov_b32_e32 v62, 0
	v_mov_b32_e32 v64, 0
	;; [unrolled: 1-line block ×8, first 2 shown]
	s_and_saveexec_b32 s1, s0
	s_cbranch_execz .LBB123_34
; %bb.25:
	v_add_nc_u32_e32 v0, v71, v61
	v_not_b32_e32 v1, v71
	v_mov_b32_e32 v63, 0
	v_mov_b32_e32 v69, 0
	;; [unrolled: 1-line block ×3, first 2 shown]
	v_subrev_nc_u32_e32 v0, s2, v0
	v_mov_b32_e32 v67, 0
	v_mov_b32_e32 v66, 0
	;; [unrolled: 1-line block ×4, first 2 shown]
	v_add_nc_u32_e32 v0, 32, v0
	v_mov_b32_e32 v62, 0
	s_mov_b32 s0, exec_lo
	v_max_i32_e32 v0, v0, v70
	v_add3_u32 v0, s2, v0, v1
	v_sub_nc_u32_e32 v0, v0, v61
	v_and_b32_e32 v1, 0x60, v0
	v_cmpx_ne_u32_e32 0x60, v1
	s_cbranch_execz .LBB123_29
; %bb.26:
	v_lshrrev_b32_e32 v1, 5, v0
	v_mov_b32_e32 v62, 0
	v_mov_b32_e32 v64, 0
	;; [unrolled: 1-line block ×4, first 2 shown]
	v_add_nc_u32_e32 v1, 1, v1
	v_mov_b32_e32 v67, 0
	v_mov_b32_e32 v68, 0
	;; [unrolled: 1-line block ×4, first 2 shown]
	v_and_b32_e32 v1, 3, v1
	s_mov_b32 s3, 0
	v_sub_nc_u32_e32 v1, 0, v1
.LBB123_27:                             ; =>This Inner Loop Header: Depth=1
	v_ashrrev_i32_e32 v54, 31, v53
	v_add_co_u32 v1, s8, v1, 1
	s_or_b32 s3, s8, s3
	v_lshlrev_b64 v[2:3], 2, v[53:54]
	v_add_nc_u32_e32 v53, 32, v53
	v_add_co_u32 v2, vcc_lo, s12, v2
	v_add_co_ci_u32_e64 v3, null, s13, v3, vcc_lo
	global_load_dword v10, v[2:3], off
	s_clause 0x1
	global_load_dwordx4 v[2:5], v[55:56], off offset:16
	global_load_dwordx4 v[6:9], v[55:56], off
	s_waitcnt vmcnt(2)
	v_subrev_nc_u32_e32 v10, s2, v10
	v_lshlrev_b32_e32 v10, 2, v10
	v_ashrrev_i32_e32 v11, 31, v10
	v_lshlrev_b64 v[10:11], 3, v[10:11]
	v_add_co_u32 v14, vcc_lo, s6, v10
	v_add_co_ci_u32_e64 v15, null, s7, v11, vcc_lo
	s_clause 0x1
	global_load_dwordx4 v[10:13], v[14:15], off
	global_load_dwordx4 v[14:17], v[14:15], off offset:16
	s_clause 0x1
	global_load_dwordx4 v[18:21], v[55:56], off offset:32
	global_load_dwordx4 v[22:25], v[55:56], off offset:48
	v_add_co_u32 v55, vcc_lo, 0x800, v55
	v_add_co_ci_u32_e64 v56, null, 0, v56, vcc_lo
	s_waitcnt vmcnt(3)
	v_fmac_f32_e32 v64, v6, v10
	v_fmac_f32_e32 v62, 0, v10
	;; [unrolled: 1-line block ×32, first 2 shown]
	s_waitcnt vmcnt(1)
	v_fmac_f32_e32 v64, v18, v14
	v_fmac_f32_e32 v62, 0, v14
	v_fmac_f32_e32 v66, v19, v14
	v_fmac_f32_e32 v65, 0, v14
	v_fmac_f32_e32 v68, v20, v14
	v_fmac_f32_e32 v67, 0, v14
	v_fmac_f32_e32 v63, v21, v14
	v_fmac_f32_e32 v69, 0, v14
	v_fmac_f32_e32 v64, 0x80000000, v15
	v_fmac_f32_e32 v62, v18, v15
	v_fmac_f32_e32 v66, 0x80000000, v15
	v_fmac_f32_e32 v65, v19, v15
	v_fmac_f32_e32 v68, 0x80000000, v15
	v_fmac_f32_e32 v67, v20, v15
	v_fmac_f32_e32 v63, 0x80000000, v15
	v_fmac_f32_e32 v69, v21, v15
	s_waitcnt vmcnt(0)
	v_fmac_f32_e32 v64, v22, v16
	v_fmac_f32_e32 v62, 0, v16
	;; [unrolled: 1-line block ×16, first 2 shown]
	s_andn2_b32 exec_lo, exec_lo, s3
	s_cbranch_execnz .LBB123_27
; %bb.28:
	s_or_b32 exec_lo, exec_lo, s3
.LBB123_29:
	s_or_b32 exec_lo, exec_lo, s0
	s_mov_b32 s0, exec_lo
	v_cmpx_lt_u32_e32 0x5f, v0
	s_cbranch_execz .LBB123_33
; %bb.30:
	s_mov_b32 s3, 0
.LBB123_31:                             ; =>This Inner Loop Header: Depth=1
	v_ashrrev_i32_e32 v54, 31, v53
	v_add_co_u32 v24, vcc_lo, 0x800, v55
	v_add_co_ci_u32_e64 v25, null, 0, v56, vcc_lo
	v_add_co_u32 v32, vcc_lo, v55, 0x1000
	v_lshlrev_b64 v[57:58], 2, v[53:54]
	v_add_co_ci_u32_e64 v33, null, 0, v56, vcc_lo
	v_add_co_u32 v44, vcc_lo, 0x1000, v55
	v_add_co_ci_u32_e64 v45, null, 0, v56, vcc_lo
	v_add_co_u32 v79, vcc_lo, 0x1800, v55
	;; [unrolled: 2-line block ×3, first 2 shown]
	v_add_co_ci_u32_e64 v58, null, s13, v58, vcc_lo
	s_clause 0xb
	global_load_dwordx4 v[0:3], v[55:56], off offset:48
	global_load_dwordx4 v[4:7], v[55:56], off offset:32
	;; [unrolled: 1-line block ×3, first 2 shown]
	global_load_dwordx4 v[12:15], v[55:56], off
	global_load_dwordx4 v[16:19], v[24:25], off offset:48
	global_load_dwordx4 v[20:23], v[24:25], off offset:32
	global_load_dwordx4 v[24:27], v[24:25], off offset:16
	global_load_dwordx4 v[28:31], v[32:33], off offset:-2048
	global_load_dwordx4 v[32:35], v[32:33], off
	global_load_dwordx4 v[36:39], v[44:45], off offset:48
	global_load_dwordx4 v[40:43], v[44:45], off offset:32
	;; [unrolled: 1-line block ×3, first 2 shown]
	s_clause 0x3
	global_load_dword v54, v[57:58], off
	global_load_dword v75, v[57:58], off offset:128
	global_load_dword v76, v[57:58], off offset:256
	;; [unrolled: 1-line block ×3, first 2 shown]
	v_add_nc_u32_e32 v53, 0x80, v53
	s_waitcnt vmcnt(3)
	v_subrev_nc_u32_e32 v54, s2, v54
	v_lshlrev_b32_e32 v57, 2, v54
	s_waitcnt vmcnt(2)
	v_subrev_nc_u32_e32 v54, s2, v75
	s_waitcnt vmcnt(0)
	v_subrev_nc_u32_e32 v75, s2, v77
	v_ashrrev_i32_e32 v58, 31, v57
	v_lshlrev_b32_e32 v75, 2, v75
	v_lshlrev_b64 v[57:58], 3, v[57:58]
	v_add_co_u32 v71, vcc_lo, s6, v57
	v_add_co_ci_u32_e64 v72, null, s7, v58, vcc_lo
	s_clause 0x1
	global_load_dwordx4 v[57:60], v[71:72], off
	global_load_dwordx4 v[71:74], v[71:72], off offset:16
	s_waitcnt vmcnt(1)
	v_fmac_f32_e32 v64, v12, v57
	v_fmac_f32_e32 v62, 0, v57
	;; [unrolled: 1-line block ×16, first 2 shown]
	v_subrev_nc_u32_e32 v58, s2, v76
	v_lshlrev_b32_e32 v57, 2, v54
	v_fmac_f32_e32 v64, v8, v59
	v_fmac_f32_e32 v62, 0, v59
	;; [unrolled: 1-line block ×8, first 2 shown]
	v_lshlrev_b32_e32 v59, 2, v58
	v_ashrrev_i32_e32 v58, 31, v57
	v_fmac_f32_e32 v62, v8, v60
	v_fmac_f32_e32 v65, v9, v60
	;; [unrolled: 1-line block ×8, first 2 shown]
	v_ashrrev_i32_e32 v60, 31, v59
	v_lshlrev_b64 v[57:58], 3, v[57:58]
	s_waitcnt vmcnt(0)
	v_fmac_f32_e32 v62, 0, v71
	v_fmac_f32_e32 v65, 0, v71
	;; [unrolled: 1-line block ×3, first 2 shown]
	v_lshlrev_b64 v[59:60], 3, v[59:60]
	v_fmac_f32_e32 v69, 0, v71
	v_add_co_u32 v57, vcc_lo, s6, v57
	v_add_co_ci_u32_e64 v58, null, s7, v58, vcc_lo
	v_add_co_u32 v77, vcc_lo, s6, v59
	s_clause 0x1
	global_load_dwordx4 v[12:15], v[79:80], off
	global_load_dwordx4 v[8:11], v[79:80], off offset:16
	v_add_co_ci_u32_e64 v78, null, s7, v60, vcc_lo
	v_fmac_f32_e32 v64, v4, v71
	v_fmac_f32_e32 v66, v5, v71
	;; [unrolled: 1-line block ×8, first 2 shown]
	s_clause 0x1
	global_load_dwordx4 v[4:7], v[57:58], off
	global_load_dwordx4 v[57:60], v[57:58], off offset:16
	v_fmac_f32_e32 v64, 0x80000000, v72
	v_fmac_f32_e32 v66, 0x80000000, v72
	;; [unrolled: 1-line block ×16, first 2 shown]
	global_load_dwordx4 v[0:3], v[77:78], off
	v_fmac_f32_e32 v64, 0x80000000, v74
	v_fmac_f32_e32 v66, 0x80000000, v74
	;; [unrolled: 1-line block ×4, first 2 shown]
	global_load_dwordx4 v[71:74], v[77:78], off offset:16
	v_ashrrev_i32_e32 v76, 31, v75
	v_lshlrev_b64 v[75:76], 3, v[75:76]
	v_add_co_u32 v75, vcc_lo, s6, v75
	v_add_co_ci_u32_e64 v76, null, s7, v76, vcc_lo
	v_add_co_u32 v55, vcc_lo, 0x2000, v55
	v_add_co_ci_u32_e64 v56, null, 0, v56, vcc_lo
	v_cmp_ge_i32_e32 vcc_lo, v53, v70
	s_or_b32 s3, vcc_lo, s3
	s_waitcnt vmcnt(3)
	v_fmac_f32_e32 v62, 0, v4
	v_fmac_f32_e32 v65, 0, v4
	;; [unrolled: 1-line block ×12, first 2 shown]
	global_load_dwordx4 v[28:31], v[75:76], off
	v_fmac_f32_e32 v64, 0x80000000, v5
	v_fmac_f32_e32 v66, 0x80000000, v5
	;; [unrolled: 1-line block ×16, first 2 shown]
	global_load_dwordx4 v[24:27], v[79:80], off offset:32
	global_load_dwordx4 v[75:78], v[75:76], off offset:16
	v_fmac_f32_e32 v64, 0x80000000, v7
	v_fmac_f32_e32 v66, 0x80000000, v7
	;; [unrolled: 1-line block ×4, first 2 shown]
	global_load_dwordx4 v[4:7], v[79:80], off offset:48
	s_waitcnt vmcnt(6)
	v_fmac_f32_e32 v64, v20, v57
	v_fmac_f32_e32 v62, 0, v57
	v_fmac_f32_e32 v66, v21, v57
	v_fmac_f32_e32 v65, 0, v57
	v_fmac_f32_e32 v68, v22, v57
	v_fmac_f32_e32 v67, 0, v57
	v_fmac_f32_e32 v69, 0, v57
	v_fmac_f32_e32 v63, v23, v57
	v_fmac_f32_e32 v62, v20, v58
	v_fmac_f32_e32 v65, v21, v58
	v_fmac_f32_e32 v67, v22, v58
	v_fmac_f32_e32 v64, 0x80000000, v58
	v_fmac_f32_e32 v69, v23, v58
	v_fmac_f32_e32 v66, 0x80000000, v58
	v_fmac_f32_e32 v68, 0x80000000, v58
	v_fmac_f32_e32 v63, 0x80000000, v58
	v_fmac_f32_e32 v64, v16, v59
	v_fmac_f32_e32 v62, 0, v59
	v_fmac_f32_e32 v66, v17, v59
	v_fmac_f32_e32 v65, 0, v59
	v_fmac_f32_e32 v68, v18, v59
	v_fmac_f32_e32 v67, 0, v59
	v_fmac_f32_e32 v69, 0, v59
	v_fmac_f32_e32 v63, v19, v59
	v_fmac_f32_e32 v62, v16, v60
	v_fmac_f32_e32 v65, v17, v60
	v_fmac_f32_e32 v67, v18, v60
	v_fmac_f32_e32 v64, 0x80000000, v60
	v_fmac_f32_e32 v69, v19, v60
	v_fmac_f32_e32 v66, 0x80000000, v60
	v_fmac_f32_e32 v68, 0x80000000, v60
	v_fmac_f32_e32 v63, 0x80000000, v60
	s_waitcnt vmcnt(5)
	v_fmac_f32_e32 v64, v32, v0
	v_fmac_f32_e32 v62, 0, v0
	v_fmac_f32_e32 v66, v33, v0
	v_fmac_f32_e32 v65, 0, v0
	v_fmac_f32_e32 v68, v34, v0
	v_fmac_f32_e32 v67, 0, v0
	v_fmac_f32_e32 v69, 0, v0
	v_fmac_f32_e32 v63, v35, v0
	v_fmac_f32_e32 v62, v32, v1
	v_fmac_f32_e32 v65, v33, v1
	v_fmac_f32_e32 v67, v34, v1
	v_fmac_f32_e32 v64, 0x80000000, v1
	v_fmac_f32_e32 v69, v35, v1
	v_fmac_f32_e32 v66, 0x80000000, v1
	v_fmac_f32_e32 v68, 0x80000000, v1
	v_fmac_f32_e32 v63, 0x80000000, v1
	v_fmac_f32_e32 v64, v44, v2
	v_fmac_f32_e32 v62, 0, v2
	v_fmac_f32_e32 v66, v45, v2
	v_fmac_f32_e32 v65, 0, v2
	v_fmac_f32_e32 v68, v46, v2
	v_fmac_f32_e32 v67, 0, v2
	v_fmac_f32_e32 v63, v47, v2
	v_fmac_f32_e32 v69, 0, v2
	v_fmac_f32_e32 v64, 0x80000000, v3
	v_fmac_f32_e32 v62, v44, v3
	v_fmac_f32_e32 v66, 0x80000000, v3
	v_fmac_f32_e32 v65, v45, v3
	v_fmac_f32_e32 v68, 0x80000000, v3
	v_fmac_f32_e32 v67, v46, v3
	v_fmac_f32_e32 v63, 0x80000000, v3
	v_fmac_f32_e32 v69, v47, v3
	;; [unrolled: 33-line block ×4, first 2 shown]
	s_waitcnt vmcnt(1)
	v_fmac_f32_e32 v64, v24, v75
	v_fmac_f32_e32 v62, 0, v75
	;; [unrolled: 1-line block ×16, first 2 shown]
	s_waitcnt vmcnt(0)
	v_fmac_f32_e32 v64, v4, v77
	v_fmac_f32_e32 v62, 0, v77
	;; [unrolled: 1-line block ×16, first 2 shown]
	s_andn2_b32 exec_lo, exec_lo, s3
	s_cbranch_execnz .LBB123_31
; %bb.32:
	s_or_b32 exec_lo, exec_lo, s3
.LBB123_33:
	s_or_b32 exec_lo, exec_lo, s0
.LBB123_34:
	s_or_b32 exec_lo, exec_lo, s1
.LBB123_35:
	v_mbcnt_lo_u32_b32 v0, -1, 0
	v_xor_b32_e32 v1, 16, v0
	v_xor_b32_e32 v9, 8, v0
	;; [unrolled: 1-line block ×3, first 2 shown]
	v_cmp_gt_i32_e32 vcc_lo, 32, v1
	v_cndmask_b32_e32 v1, v0, v1, vcc_lo
	v_cmp_gt_i32_e32 vcc_lo, 32, v9
	v_lshlrev_b32_e32 v1, 2, v1
	v_cndmask_b32_e32 v9, v0, v9, vcc_lo
	v_cmp_gt_i32_e32 vcc_lo, 32, v17
	ds_bpermute_b32 v2, v1, v64
	ds_bpermute_b32 v3, v1, v62
	;; [unrolled: 1-line block ×8, first 2 shown]
	v_lshlrev_b32_e32 v9, 2, v9
	v_cndmask_b32_e32 v17, v0, v17, vcc_lo
	v_lshlrev_b32_e32 v17, 2, v17
	s_waitcnt lgkmcnt(7)
	v_add_f32_e32 v2, v64, v2
	s_waitcnt lgkmcnt(6)
	v_add_f32_e32 v3, v62, v3
	;; [unrolled: 2-line block ×8, first 2 shown]
	ds_bpermute_b32 v10, v9, v2
	ds_bpermute_b32 v11, v9, v3
	;; [unrolled: 1-line block ×8, first 2 shown]
	s_waitcnt lgkmcnt(7)
	v_add_f32_e32 v2, v2, v10
	s_waitcnt lgkmcnt(6)
	v_add_f32_e32 v3, v3, v11
	;; [unrolled: 2-line block ×8, first 2 shown]
	ds_bpermute_b32 v9, v17, v2
	ds_bpermute_b32 v10, v17, v3
	;; [unrolled: 1-line block ×8, first 2 shown]
	v_xor_b32_e32 v17, 2, v0
	v_cmp_gt_i32_e32 vcc_lo, 32, v17
	v_cndmask_b32_e32 v17, v0, v17, vcc_lo
	s_waitcnt lgkmcnt(7)
	v_add_f32_e32 v2, v2, v9
	s_waitcnt lgkmcnt(6)
	v_add_f32_e32 v3, v3, v10
	;; [unrolled: 2-line block ×3, first 2 shown]
	v_lshlrev_b32_e32 v17, 2, v17
	s_waitcnt lgkmcnt(4)
	v_add_f32_e32 v5, v5, v12
	s_waitcnt lgkmcnt(3)
	v_add_f32_e32 v6, v6, v13
	;; [unrolled: 2-line block ×5, first 2 shown]
	ds_bpermute_b32 v1, v17, v2
	ds_bpermute_b32 v10, v17, v3
	;; [unrolled: 1-line block ×8, first 2 shown]
	v_xor_b32_e32 v17, 1, v0
	v_cmp_gt_i32_e32 vcc_lo, 32, v17
	v_cndmask_b32_e32 v0, v0, v17, vcc_lo
	v_cmp_eq_u32_e32 vcc_lo, 31, v61
	v_lshlrev_b32_e32 v17, 2, v0
	s_waitcnt lgkmcnt(7)
	v_add_f32_e32 v0, v2, v1
	s_waitcnt lgkmcnt(6)
	v_add_f32_e32 v1, v3, v10
	s_waitcnt lgkmcnt(5)
	v_add_f32_e32 v2, v4, v11
	s_waitcnt lgkmcnt(4)
	v_add_f32_e32 v3, v5, v12
	s_waitcnt lgkmcnt(3)
	v_add_f32_e32 v4, v6, v13
	s_waitcnt lgkmcnt(2)
	v_add_f32_e32 v5, v7, v14
	s_waitcnt lgkmcnt(1)
	v_add_f32_e32 v6, v8, v15
	s_waitcnt lgkmcnt(0)
	v_add_f32_e32 v7, v9, v16
	ds_bpermute_b32 v8, v17, v0
	ds_bpermute_b32 v9, v17, v1
	;; [unrolled: 1-line block ×8, first 2 shown]
	s_and_b32 exec_lo, exec_lo, vcc_lo
	s_cbranch_execz .LBB123_8
; %bb.36:
	s_load_dwordx2 s[2:3], s[4:5], 0x50
	s_waitcnt lgkmcnt(0)
	v_add_f32_e32 v8, v0, v8
	v_add_f32_e32 v0, v1, v9
	;; [unrolled: 1-line block ×8, first 2 shown]
	v_mul_f32_e64 v4, v0, -v51
	v_mul_f32_e32 v5, v50, v0
	v_mul_f32_e64 v6, v1, -v51
	v_mul_f32_e32 v7, v50, v1
	;; [unrolled: 2-line block ×4, first 2 shown]
	v_cmp_eq_f32_e32 vcc_lo, 0, v48
	v_cmp_eq_f32_e64 s0, 0, v49
	v_fmac_f32_e32 v4, v50, v8
	v_fmac_f32_e32 v5, v51, v8
	v_lshlrev_b32_e32 v8, 2, v52
	v_fmac_f32_e32 v6, v50, v9
	v_fmac_f32_e32 v7, v51, v9
	;; [unrolled: 1-line block ×6, first 2 shown]
	s_and_b32 s0, vcc_lo, s0
	s_and_saveexec_b32 s1, s0
	s_xor_b32 s0, exec_lo, s1
	s_cbranch_execz .LBB123_38
; %bb.37:
	v_ashrrev_i32_e32 v9, 31, v8
                                        ; implicit-def: $vgpr48_vgpr49
	v_lshlrev_b64 v[8:9], 3, v[8:9]
	v_add_co_u32 v8, vcc_lo, s2, v8
	v_add_co_ci_u32_e64 v9, null, s3, v9, vcc_lo
	global_store_dwordx4 v[8:9], v[4:7], off
	global_store_dwordx4 v[8:9], v[0:3], off offset:16
                                        ; implicit-def: $vgpr4
                                        ; implicit-def: $vgpr8
                                        ; implicit-def: $vgpr0
.LBB123_38:
	s_andn2_saveexec_b32 s0, s0
	s_cbranch_execz .LBB123_8
; %bb.39:
	v_ashrrev_i32_e32 v9, 31, v8
	v_lshlrev_b64 v[8:9], 3, v[8:9]
	v_add_co_u32 v16, vcc_lo, s2, v8
	v_add_co_ci_u32_e64 v17, null, s3, v9, vcc_lo
	s_clause 0x1
	global_load_dwordx4 v[8:11], v[16:17], off
	global_load_dwordx4 v[12:15], v[16:17], off offset:16
	s_waitcnt vmcnt(1)
	v_fmac_f32_e32 v4, v48, v8
	v_fmac_f32_e32 v5, v49, v8
	;; [unrolled: 1-line block ×4, first 2 shown]
	s_waitcnt vmcnt(0)
	v_fmac_f32_e32 v0, v48, v12
	v_fmac_f32_e32 v1, v49, v12
	;; [unrolled: 1-line block ×4, first 2 shown]
	v_fma_f32 v4, -v49, v9, v4
	v_fmac_f32_e32 v5, v48, v9
	v_fma_f32 v6, -v49, v11, v6
	v_fmac_f32_e32 v7, v48, v11
	;; [unrolled: 2-line block ×4, first 2 shown]
	global_store_dwordx4 v[16:17], v[4:7], off
	global_store_dwordx4 v[16:17], v[0:3], off offset:16
	s_endpgm
	.section	.rodata,"a",@progbits
	.p2align	6, 0x0
	.amdhsa_kernel _ZN9rocsparseL18bsrxmvn_4x4_kernelILj128ELj32E21rocsparse_complex_numIfEiifS2_S2_EEvT3_20rocsparse_direction_NS_24const_host_device_scalarIT1_EES3_PKS3_PKT2_SC_S9_PKT4_PKT5_S7_PT6_21rocsparse_index_base_b
		.amdhsa_group_segment_fixed_size 0
		.amdhsa_private_segment_fixed_size 0
		.amdhsa_kernarg_size 96
		.amdhsa_user_sgpr_count 6
		.amdhsa_user_sgpr_private_segment_buffer 1
		.amdhsa_user_sgpr_dispatch_ptr 0
		.amdhsa_user_sgpr_queue_ptr 0
		.amdhsa_user_sgpr_kernarg_segment_ptr 1
		.amdhsa_user_sgpr_dispatch_id 0
		.amdhsa_user_sgpr_flat_scratch_init 0
		.amdhsa_user_sgpr_private_segment_size 0
		.amdhsa_wavefront_size32 1
		.amdhsa_uses_dynamic_stack 0
		.amdhsa_system_sgpr_private_segment_wavefront_offset 0
		.amdhsa_system_sgpr_workgroup_id_x 1
		.amdhsa_system_sgpr_workgroup_id_y 0
		.amdhsa_system_sgpr_workgroup_id_z 0
		.amdhsa_system_sgpr_workgroup_info 0
		.amdhsa_system_vgpr_workitem_id 0
		.amdhsa_next_free_vgpr 104
		.amdhsa_next_free_sgpr 16
		.amdhsa_reserve_vcc 1
		.amdhsa_reserve_flat_scratch 0
		.amdhsa_float_round_mode_32 0
		.amdhsa_float_round_mode_16_64 0
		.amdhsa_float_denorm_mode_32 3
		.amdhsa_float_denorm_mode_16_64 3
		.amdhsa_dx10_clamp 1
		.amdhsa_ieee_mode 1
		.amdhsa_fp16_overflow 0
		.amdhsa_workgroup_processor_mode 1
		.amdhsa_memory_ordered 1
		.amdhsa_forward_progress 1
		.amdhsa_shared_vgpr_count 0
		.amdhsa_exception_fp_ieee_invalid_op 0
		.amdhsa_exception_fp_denorm_src 0
		.amdhsa_exception_fp_ieee_div_zero 0
		.amdhsa_exception_fp_ieee_overflow 0
		.amdhsa_exception_fp_ieee_underflow 0
		.amdhsa_exception_fp_ieee_inexact 0
		.amdhsa_exception_int_div_zero 0
	.end_amdhsa_kernel
	.section	.text._ZN9rocsparseL18bsrxmvn_4x4_kernelILj128ELj32E21rocsparse_complex_numIfEiifS2_S2_EEvT3_20rocsparse_direction_NS_24const_host_device_scalarIT1_EES3_PKS3_PKT2_SC_S9_PKT4_PKT5_S7_PT6_21rocsparse_index_base_b,"axG",@progbits,_ZN9rocsparseL18bsrxmvn_4x4_kernelILj128ELj32E21rocsparse_complex_numIfEiifS2_S2_EEvT3_20rocsparse_direction_NS_24const_host_device_scalarIT1_EES3_PKS3_PKT2_SC_S9_PKT4_PKT5_S7_PT6_21rocsparse_index_base_b,comdat
.Lfunc_end123:
	.size	_ZN9rocsparseL18bsrxmvn_4x4_kernelILj128ELj32E21rocsparse_complex_numIfEiifS2_S2_EEvT3_20rocsparse_direction_NS_24const_host_device_scalarIT1_EES3_PKS3_PKT2_SC_S9_PKT4_PKT5_S7_PT6_21rocsparse_index_base_b, .Lfunc_end123-_ZN9rocsparseL18bsrxmvn_4x4_kernelILj128ELj32E21rocsparse_complex_numIfEiifS2_S2_EEvT3_20rocsparse_direction_NS_24const_host_device_scalarIT1_EES3_PKS3_PKT2_SC_S9_PKT4_PKT5_S7_PT6_21rocsparse_index_base_b
                                        ; -- End function
	.set _ZN9rocsparseL18bsrxmvn_4x4_kernelILj128ELj32E21rocsparse_complex_numIfEiifS2_S2_EEvT3_20rocsparse_direction_NS_24const_host_device_scalarIT1_EES3_PKS3_PKT2_SC_S9_PKT4_PKT5_S7_PT6_21rocsparse_index_base_b.num_vgpr, 104
	.set _ZN9rocsparseL18bsrxmvn_4x4_kernelILj128ELj32E21rocsparse_complex_numIfEiifS2_S2_EEvT3_20rocsparse_direction_NS_24const_host_device_scalarIT1_EES3_PKS3_PKT2_SC_S9_PKT4_PKT5_S7_PT6_21rocsparse_index_base_b.num_agpr, 0
	.set _ZN9rocsparseL18bsrxmvn_4x4_kernelILj128ELj32E21rocsparse_complex_numIfEiifS2_S2_EEvT3_20rocsparse_direction_NS_24const_host_device_scalarIT1_EES3_PKS3_PKT2_SC_S9_PKT4_PKT5_S7_PT6_21rocsparse_index_base_b.numbered_sgpr, 16
	.set _ZN9rocsparseL18bsrxmvn_4x4_kernelILj128ELj32E21rocsparse_complex_numIfEiifS2_S2_EEvT3_20rocsparse_direction_NS_24const_host_device_scalarIT1_EES3_PKS3_PKT2_SC_S9_PKT4_PKT5_S7_PT6_21rocsparse_index_base_b.num_named_barrier, 0
	.set _ZN9rocsparseL18bsrxmvn_4x4_kernelILj128ELj32E21rocsparse_complex_numIfEiifS2_S2_EEvT3_20rocsparse_direction_NS_24const_host_device_scalarIT1_EES3_PKS3_PKT2_SC_S9_PKT4_PKT5_S7_PT6_21rocsparse_index_base_b.private_seg_size, 0
	.set _ZN9rocsparseL18bsrxmvn_4x4_kernelILj128ELj32E21rocsparse_complex_numIfEiifS2_S2_EEvT3_20rocsparse_direction_NS_24const_host_device_scalarIT1_EES3_PKS3_PKT2_SC_S9_PKT4_PKT5_S7_PT6_21rocsparse_index_base_b.uses_vcc, 1
	.set _ZN9rocsparseL18bsrxmvn_4x4_kernelILj128ELj32E21rocsparse_complex_numIfEiifS2_S2_EEvT3_20rocsparse_direction_NS_24const_host_device_scalarIT1_EES3_PKS3_PKT2_SC_S9_PKT4_PKT5_S7_PT6_21rocsparse_index_base_b.uses_flat_scratch, 0
	.set _ZN9rocsparseL18bsrxmvn_4x4_kernelILj128ELj32E21rocsparse_complex_numIfEiifS2_S2_EEvT3_20rocsparse_direction_NS_24const_host_device_scalarIT1_EES3_PKS3_PKT2_SC_S9_PKT4_PKT5_S7_PT6_21rocsparse_index_base_b.has_dyn_sized_stack, 0
	.set _ZN9rocsparseL18bsrxmvn_4x4_kernelILj128ELj32E21rocsparse_complex_numIfEiifS2_S2_EEvT3_20rocsparse_direction_NS_24const_host_device_scalarIT1_EES3_PKS3_PKT2_SC_S9_PKT4_PKT5_S7_PT6_21rocsparse_index_base_b.has_recursion, 0
	.set _ZN9rocsparseL18bsrxmvn_4x4_kernelILj128ELj32E21rocsparse_complex_numIfEiifS2_S2_EEvT3_20rocsparse_direction_NS_24const_host_device_scalarIT1_EES3_PKS3_PKT2_SC_S9_PKT4_PKT5_S7_PT6_21rocsparse_index_base_b.has_indirect_call, 0
	.section	.AMDGPU.csdata,"",@progbits
; Kernel info:
; codeLenInByte = 6800
; TotalNumSgprs: 18
; NumVgprs: 104
; ScratchSize: 0
; MemoryBound: 0
; FloatMode: 240
; IeeeMode: 1
; LDSByteSize: 0 bytes/workgroup (compile time only)
; SGPRBlocks: 0
; VGPRBlocks: 12
; NumSGPRsForWavesPerEU: 18
; NumVGPRsForWavesPerEU: 104
; Occupancy: 9
; WaveLimiterHint : 1
; COMPUTE_PGM_RSRC2:SCRATCH_EN: 0
; COMPUTE_PGM_RSRC2:USER_SGPR: 6
; COMPUTE_PGM_RSRC2:TRAP_HANDLER: 0
; COMPUTE_PGM_RSRC2:TGID_X_EN: 1
; COMPUTE_PGM_RSRC2:TGID_Y_EN: 0
; COMPUTE_PGM_RSRC2:TGID_Z_EN: 0
; COMPUTE_PGM_RSRC2:TIDIG_COMP_CNT: 0
	.section	.text._ZN9rocsparseL18bsrxmvn_4x4_kernelILj128ELj64E21rocsparse_complex_numIfEiifS2_S2_EEvT3_20rocsparse_direction_NS_24const_host_device_scalarIT1_EES3_PKS3_PKT2_SC_S9_PKT4_PKT5_S7_PT6_21rocsparse_index_base_b,"axG",@progbits,_ZN9rocsparseL18bsrxmvn_4x4_kernelILj128ELj64E21rocsparse_complex_numIfEiifS2_S2_EEvT3_20rocsparse_direction_NS_24const_host_device_scalarIT1_EES3_PKS3_PKT2_SC_S9_PKT4_PKT5_S7_PT6_21rocsparse_index_base_b,comdat
	.globl	_ZN9rocsparseL18bsrxmvn_4x4_kernelILj128ELj64E21rocsparse_complex_numIfEiifS2_S2_EEvT3_20rocsparse_direction_NS_24const_host_device_scalarIT1_EES3_PKS3_PKT2_SC_S9_PKT4_PKT5_S7_PT6_21rocsparse_index_base_b ; -- Begin function _ZN9rocsparseL18bsrxmvn_4x4_kernelILj128ELj64E21rocsparse_complex_numIfEiifS2_S2_EEvT3_20rocsparse_direction_NS_24const_host_device_scalarIT1_EES3_PKS3_PKT2_SC_S9_PKT4_PKT5_S7_PT6_21rocsparse_index_base_b
	.p2align	8
	.type	_ZN9rocsparseL18bsrxmvn_4x4_kernelILj128ELj64E21rocsparse_complex_numIfEiifS2_S2_EEvT3_20rocsparse_direction_NS_24const_host_device_scalarIT1_EES3_PKS3_PKT2_SC_S9_PKT4_PKT5_S7_PT6_21rocsparse_index_base_b,@function
_ZN9rocsparseL18bsrxmvn_4x4_kernelILj128ELj64E21rocsparse_complex_numIfEiifS2_S2_EEvT3_20rocsparse_direction_NS_24const_host_device_scalarIT1_EES3_PKS3_PKT2_SC_S9_PKT4_PKT5_S7_PT6_21rocsparse_index_base_b: ; @_ZN9rocsparseL18bsrxmvn_4x4_kernelILj128ELj64E21rocsparse_complex_numIfEiifS2_S2_EEvT3_20rocsparse_direction_NS_24const_host_device_scalarIT1_EES3_PKS3_PKT2_SC_S9_PKT4_PKT5_S7_PT6_21rocsparse_index_base_b
; %bb.0:
	s_clause 0x2
	s_load_dwordx2 s[2:3], s[4:5], 0x58
	s_load_dwordx2 s[0:1], s[4:5], 0x8
	;; [unrolled: 1-line block ×3, first 2 shown]
	s_add_u32 s7, s4, 8
	s_addc_u32 s10, s5, 0
	s_add_u32 s11, s4, 0x48
	s_addc_u32 s12, s5, 0
	s_waitcnt lgkmcnt(0)
	s_bitcmp1_b32 s3, 0
	s_cselect_b32 s0, s7, s0
	s_cselect_b32 s1, s10, s1
	v_mov_b32_e32 v1, s0
	v_mov_b32_e32 v2, s1
	s_cselect_b32 s0, s11, s8
	s_cselect_b32 s1, s12, s9
	flat_load_dwordx2 v[50:51], v[1:2]
	v_mov_b32_e32 v1, s0
	v_mov_b32_e32 v2, s1
	flat_load_dwordx2 v[48:49], v[1:2]
	s_waitcnt vmcnt(1) lgkmcnt(1)
	v_cmp_eq_f32_e32 vcc_lo, 0, v50
	v_cmp_eq_f32_e64 s0, 0, v51
	s_and_b32 s3, vcc_lo, s0
	s_mov_b32 s0, -1
	s_and_saveexec_b32 s1, s3
	s_cbranch_execz .LBB124_2
; %bb.1:
	s_waitcnt vmcnt(0) lgkmcnt(0)
	v_cmp_neq_f32_e32 vcc_lo, 1.0, v48
	v_cmp_neq_f32_e64 s0, 0, v49
	s_or_b32 s0, vcc_lo, s0
	s_orn2_b32 s0, s0, exec_lo
.LBB124_2:
	s_or_b32 exec_lo, exec_lo, s1
	s_and_saveexec_b32 s1, s0
	s_cbranch_execz .LBB124_8
; %bb.3:
	s_clause 0x1
	s_load_dwordx2 s[8:9], s[4:5], 0x18
	s_load_dwordx2 s[0:1], s[4:5], 0x0
	v_lshrrev_b32_e32 v1, 6, v0
	v_lshl_or_b32 v52, s6, 1, v1
	s_waitcnt lgkmcnt(0)
	s_cmp_lg_u64 s[8:9], 0
	s_cbranch_scc0 .LBB124_9
; %bb.4:
	s_load_dword s3, s[4:5], 0x10
	s_mov_b32 s6, 0
                                        ; implicit-def: $vgpr1
	s_waitcnt lgkmcnt(0)
	v_cmp_gt_i32_e32 vcc_lo, s3, v52
	s_mov_b32 s3, 0
	s_and_saveexec_b32 s7, vcc_lo
	s_xor_b32 s7, exec_lo, s7
	s_cbranch_execz .LBB124_6
; %bb.5:
	v_ashrrev_i32_e32 v53, 31, v52
	s_mov_b32 s3, exec_lo
	v_lshlrev_b64 v[1:2], 2, v[52:53]
	v_add_co_u32 v1, vcc_lo, s8, v1
	v_add_co_ci_u32_e64 v2, null, s9, v2, vcc_lo
	global_load_dword v1, v[1:2], off
	s_waitcnt vmcnt(0)
	v_subrev_nc_u32_e32 v1, s2, v1
.LBB124_6:
	s_or_b32 exec_lo, exec_lo, s7
	s_and_b32 vcc_lo, exec_lo, s6
	s_cbranch_vccz .LBB124_10
.LBB124_7:
	v_cmp_gt_i32_e32 vcc_lo, s0, v52
	s_andn2_b32 s0, s3, exec_lo
	s_and_b32 s3, vcc_lo, exec_lo
	s_or_b32 s3, s0, s3
	s_and_b32 exec_lo, exec_lo, s3
	s_cbranch_execnz .LBB124_11
.LBB124_8:
	s_endpgm
.LBB124_9:
	s_mov_b32 s3, 0
                                        ; implicit-def: $vgpr1
	s_cbranch_execnz .LBB124_7
.LBB124_10:
	v_mov_b32_e32 v52, v1
	s_and_b32 exec_lo, exec_lo, s3
	s_cbranch_execz .LBB124_8
.LBB124_11:
	s_load_dwordx8 s[8:15], s[4:5], 0x20
	v_ashrrev_i32_e32 v53, 31, v52
	v_and_b32_e32 v61, 63, v0
	s_load_dwordx2 s[6:7], s[4:5], 0x40
	v_lshlrev_b64 v[1:2], 2, v[52:53]
	s_waitcnt lgkmcnt(0)
	v_add_co_u32 v3, vcc_lo, s8, v1
	v_add_co_ci_u32_e64 v4, null, s9, v2, vcc_lo
	v_add_co_u32 v1, vcc_lo, s10, v1
	v_add_co_ci_u32_e64 v2, null, s11, v2, vcc_lo
	global_load_dword v71, v[3:4], off
	v_add_co_u32 v3, vcc_lo, v3, 4
	v_add_co_ci_u32_e64 v4, null, 0, v4, vcc_lo
	s_cmp_eq_u64 s[10:11], 0
	s_cselect_b32 vcc_lo, -1, 0
	s_cmp_eq_u32 s1, 1
	v_cndmask_b32_e32 v2, v2, v4, vcc_lo
	v_cndmask_b32_e32 v1, v1, v3, vcc_lo
	global_load_dword v2, v[1:2], off
	s_waitcnt vmcnt(1)
	v_subrev_nc_u32_e32 v0, s2, v71
	v_add_nc_u32_e32 v53, v0, v61
	v_ashrrev_i32_e32 v54, 31, v53
	s_waitcnt vmcnt(0)
	v_subrev_nc_u32_e32 v70, s2, v2
	v_lshlrev_b64 v[0:1], 6, v[53:54]
	v_cmp_lt_i32_e64 s0, v53, v70
	v_add_co_u32 v55, vcc_lo, s14, v0
	v_add_co_ci_u32_e64 v56, null, s15, v1, vcc_lo
	s_cbranch_scc1 .LBB124_23
; %bb.12:
	v_mov_b32_e32 v62, 0
	v_mov_b32_e32 v64, 0
	v_mov_b32_e32 v65, 0
	v_mov_b32_e32 v66, 0
	v_mov_b32_e32 v67, 0
	v_mov_b32_e32 v68, 0
	v_mov_b32_e32 v69, 0
	v_mov_b32_e32 v63, 0
	s_and_saveexec_b32 s1, s0
	s_cbranch_execz .LBB124_22
; %bb.13:
	v_add_nc_u32_e32 v0, v71, v61
	v_not_b32_e32 v1, v71
	v_mov_b32_e32 v58, v56
	v_mov_b32_e32 v63, 0
	v_mov_b32_e32 v69, 0
	v_subrev_nc_u32_e32 v0, s2, v0
	v_mov_b32_e32 v68, 0
	v_mov_b32_e32 v67, 0
	;; [unrolled: 1-line block ×4, first 2 shown]
	v_add_nc_u32_e32 v0, 64, v0
	v_mov_b32_e32 v64, 0
	v_mov_b32_e32 v62, 0
	;; [unrolled: 1-line block ×4, first 2 shown]
	v_max_i32_e32 v0, v0, v70
	s_mov_b32 s3, exec_lo
	v_add3_u32 v0, s2, v0, v1
	v_sub_nc_u32_e32 v0, v0, v61
	v_and_b32_e32 v1, 0xc0, v0
	v_cmpx_ne_u32_e32 0xc0, v1
	s_cbranch_execz .LBB124_17
; %bb.14:
	v_lshrrev_b32_e32 v1, 6, v0
	v_mov_b32_e32 v58, v56
	v_mov_b32_e32 v62, 0
	v_mov_b32_e32 v59, v53
	v_mov_b32_e32 v57, v55
	v_add_nc_u32_e32 v1, 1, v1
	v_mov_b32_e32 v64, 0
	v_mov_b32_e32 v65, 0
	;; [unrolled: 1-line block ×4, first 2 shown]
	v_and_b32_e32 v1, 3, v1
	v_mov_b32_e32 v68, 0
	v_mov_b32_e32 v69, 0
	;; [unrolled: 1-line block ×3, first 2 shown]
	s_mov_b32 s8, 0
	v_sub_nc_u32_e32 v1, 0, v1
.LBB124_15:                             ; =>This Inner Loop Header: Depth=1
	v_ashrrev_i32_e32 v60, 31, v59
	v_add_co_u32 v1, s9, v1, 1
	s_or_b32 s8, s9, s8
	v_lshlrev_b64 v[2:3], 2, v[59:60]
	v_add_nc_u32_e32 v59, 64, v59
	v_add_co_u32 v2, vcc_lo, s12, v2
	v_add_co_ci_u32_e64 v3, null, s13, v3, vcc_lo
	global_load_dword v18, v[2:3], off
	s_clause 0x3
	global_load_dwordx4 v[2:5], v[57:58], off offset:48
	global_load_dwordx4 v[6:9], v[57:58], off offset:32
	global_load_dwordx4 v[10:13], v[57:58], off offset:16
	global_load_dwordx4 v[14:17], v[57:58], off
	s_waitcnt vmcnt(4)
	v_subrev_nc_u32_e32 v18, s2, v18
	v_lshlrev_b32_e32 v18, 2, v18
	v_ashrrev_i32_e32 v19, 31, v18
	v_lshlrev_b64 v[18:19], 3, v[18:19]
	v_add_co_u32 v22, vcc_lo, s6, v18
	v_add_co_ci_u32_e64 v23, null, s7, v19, vcc_lo
	v_add_co_u32 v57, vcc_lo, 0x1000, v57
	v_add_co_ci_u32_e64 v58, null, 0, v58, vcc_lo
	s_clause 0x1
	global_load_dwordx4 v[18:21], v[22:23], off
	global_load_dwordx4 v[22:25], v[22:23], off offset:16
	s_waitcnt vmcnt(1)
	v_fmac_f32_e32 v64, v14, v18
	v_fmac_f32_e32 v62, 0, v18
	;; [unrolled: 1-line block ×32, first 2 shown]
	s_waitcnt vmcnt(0)
	v_fmac_f32_e32 v64, v16, v22
	v_fmac_f32_e32 v62, 0, v22
	;; [unrolled: 1-line block ×32, first 2 shown]
	s_andn2_b32 exec_lo, exec_lo, s8
	s_cbranch_execnz .LBB124_15
; %bb.16:
	s_or_b32 exec_lo, exec_lo, s8
.LBB124_17:
	s_or_b32 exec_lo, exec_lo, s3
	s_mov_b32 s3, exec_lo
	v_cmpx_lt_u32_e32 0xbf, v0
	s_cbranch_execz .LBB124_21
; %bb.18:
	s_mov_b32 s8, 0
.LBB124_19:                             ; =>This Inner Loop Header: Depth=1
	v_ashrrev_i32_e32 v60, 31, v59
	v_add_co_u32 v16, vcc_lo, 0x1000, v57
	v_add_co_ci_u32_e64 v17, null, 0, v58, vcc_lo
	v_lshlrev_b64 v[88:89], 2, v[59:60]
	v_add_co_u32 v24, vcc_lo, 0x2000, v57
	v_add_co_ci_u32_e64 v25, null, 0, v58, vcc_lo
	v_add_co_u32 v44, vcc_lo, 0x3000, v57
	v_add_co_ci_u32_e64 v45, null, 0, v58, vcc_lo
	;; [unrolled: 2-line block ×3, first 2 shown]
	s_clause 0xf
	global_load_dwordx4 v[0:3], v[57:58], off offset:48
	global_load_dwordx4 v[4:7], v[57:58], off offset:32
	global_load_dwordx4 v[8:11], v[57:58], off offset:16
	global_load_dwordx4 v[12:15], v[57:58], off
	global_load_dwordx4 v[72:75], v[16:17], off offset:48
	global_load_dwordx4 v[76:79], v[16:17], off offset:32
	global_load_dwordx4 v[80:83], v[16:17], off
	global_load_dwordx4 v[84:87], v[16:17], off offset:16
	global_load_dwordx4 v[16:19], v[24:25], off offset:48
	global_load_dwordx4 v[20:23], v[24:25], off offset:32
	global_load_dwordx4 v[28:31], v[24:25], off
	global_load_dwordx4 v[40:43], v[24:25], off offset:16
	;; [unrolled: 4-line block ×3, first 2 shown]
	s_clause 0x3
	global_load_dword v54, v[88:89], off
	global_load_dword v60, v[88:89], off offset:256
	global_load_dword v90, v[88:89], off offset:512
	global_load_dword v88, v[88:89], off offset:768
	v_add_nc_u32_e32 v59, 0x100, v59
	s_waitcnt vmcnt(3)
	v_subrev_nc_u32_e32 v54, s2, v54
	s_waitcnt vmcnt(2)
	v_subrev_nc_u32_e32 v60, s2, v60
	;; [unrolled: 2-line block ×4, first 2 shown]
	v_lshlrev_b32_e32 v88, 2, v54
	v_lshlrev_b32_e32 v90, 2, v60
	;; [unrolled: 1-line block ×4, first 2 shown]
	v_ashrrev_i32_e32 v89, 31, v88
	v_ashrrev_i32_e32 v91, 31, v90
	;; [unrolled: 1-line block ×4, first 2 shown]
	v_lshlrev_b64 v[88:89], 3, v[88:89]
	v_lshlrev_b64 v[90:91], 3, v[90:91]
	;; [unrolled: 1-line block ×4, first 2 shown]
	v_add_co_u32 v96, vcc_lo, s6, v88
	v_add_co_ci_u32_e64 v97, null, s7, v89, vcc_lo
	v_add_co_u32 v98, vcc_lo, s6, v90
	v_add_co_ci_u32_e64 v99, null, s7, v91, vcc_lo
	;; [unrolled: 2-line block ×4, first 2 shown]
	s_clause 0x1
	global_load_dwordx4 v[88:91], v[96:97], off
	global_load_dwordx4 v[92:95], v[96:97], off offset:16
	v_add_co_u32 v57, vcc_lo, 0x4000, v57
	v_add_co_ci_u32_e64 v58, null, 0, v58, vcc_lo
	v_cmp_ge_i32_e32 vcc_lo, v59, v70
	s_or_b32 s8, vcc_lo, s8
	s_waitcnt vmcnt(1)
	v_fmac_f32_e32 v64, v12, v88
	v_fmac_f32_e32 v62, 0, v88
	;; [unrolled: 1-line block ×32, first 2 shown]
	global_load_dwordx4 v[88:91], v[98:99], off
	s_waitcnt vmcnt(1)
	v_fmac_f32_e32 v62, 0, v92
	v_fmac_f32_e32 v64, v14, v92
	;; [unrolled: 1-line block ×16, first 2 shown]
	global_load_dwordx4 v[12:15], v[98:99], off offset:16
	v_fmac_f32_e32 v65, v11, v95
	s_clause 0x1
	global_load_dwordx4 v[8:11], v[100:101], off
	global_load_dwordx4 v[96:99], v[100:101], off offset:16
	v_fmac_f32_e32 v68, 0x80000000, v93
	v_fmac_f32_e32 v67, 0, v94
	;; [unrolled: 1-line block ×7, first 2 shown]
	global_load_dwordx4 v[4:7], v[102:103], off
	v_fmac_f32_e32 v69, v2, v93
	v_fmac_f32_e32 v63, 0x80000000, v93
	;; [unrolled: 1-line block ×7, first 2 shown]
	global_load_dwordx4 v[0:3], v[102:103], off offset:16
	v_fmac_f32_e32 v63, 0x80000000, v95
	s_waitcnt vmcnt(5)
	v_fmac_f32_e32 v64, v80, v88
	v_fmac_f32_e32 v62, 0, v88
	v_fmac_f32_e32 v66, v84, v88
	v_fmac_f32_e32 v65, 0, v88
	v_fmac_f32_e32 v68, v76, v88
	v_fmac_f32_e32 v67, 0, v88
	v_fmac_f32_e32 v63, v72, v88
	v_fmac_f32_e32 v69, 0, v88
	v_fmac_f32_e32 v64, 0x80000000, v89
	v_fmac_f32_e32 v62, v80, v89
	v_fmac_f32_e32 v66, 0x80000000, v89
	v_fmac_f32_e32 v65, v84, v89
	v_fmac_f32_e32 v68, 0x80000000, v89
	v_fmac_f32_e32 v67, v76, v89
	v_fmac_f32_e32 v63, 0x80000000, v89
	v_fmac_f32_e32 v69, v72, v89
	v_fmac_f32_e32 v64, v81, v90
	v_fmac_f32_e32 v62, 0, v90
	v_fmac_f32_e32 v66, v85, v90
	v_fmac_f32_e32 v65, 0, v90
	v_fmac_f32_e32 v68, v77, v90
	v_fmac_f32_e32 v67, 0, v90
	v_fmac_f32_e32 v63, v73, v90
	v_fmac_f32_e32 v69, 0, v90
	v_fmac_f32_e32 v64, 0x80000000, v91
	v_fmac_f32_e32 v62, v81, v91
	v_fmac_f32_e32 v66, 0x80000000, v91
	v_fmac_f32_e32 v65, v85, v91
	v_fmac_f32_e32 v68, 0x80000000, v91
	v_fmac_f32_e32 v67, v77, v91
	v_fmac_f32_e32 v63, 0x80000000, v91
	v_fmac_f32_e32 v69, v73, v91
	s_waitcnt vmcnt(4)
	v_fmac_f32_e32 v62, 0, v12
	v_fmac_f32_e32 v64, v82, v12
	v_fmac_f32_e32 v65, 0, v12
	v_fmac_f32_e32 v66, v86, v12
	v_fmac_f32_e32 v67, 0, v12
	v_fmac_f32_e32 v68, v78, v12
	v_fmac_f32_e32 v63, v74, v12
	v_fmac_f32_e32 v69, 0, v12
	v_fmac_f32_e32 v62, v82, v13
	v_fmac_f32_e32 v64, 0x80000000, v13
	v_fmac_f32_e32 v65, v86, v13
	v_fmac_f32_e32 v66, 0x80000000, v13
	v_fmac_f32_e32 v67, v78, v13
	v_fmac_f32_e32 v68, 0x80000000, v13
	v_fmac_f32_e32 v63, 0x80000000, v13
	v_fmac_f32_e32 v69, v74, v13
	v_fmac_f32_e32 v62, 0, v14
	v_fmac_f32_e32 v64, v83, v14
	v_fmac_f32_e32 v65, 0, v14
	v_fmac_f32_e32 v66, v87, v14
	v_fmac_f32_e32 v67, 0, v14
	v_fmac_f32_e32 v68, v79, v14
	v_fmac_f32_e32 v63, v75, v14
	v_fmac_f32_e32 v69, 0, v14
	v_fmac_f32_e32 v62, v83, v15
	v_fmac_f32_e32 v65, v87, v15
	v_fmac_f32_e32 v67, v79, v15
	v_fmac_f32_e32 v64, 0x80000000, v15
	v_fmac_f32_e32 v66, 0x80000000, v15
	v_fmac_f32_e32 v68, 0x80000000, v15
	v_fmac_f32_e32 v63, 0x80000000, v15
	;; [unrolled: 33-line block ×6, first 2 shown]
	v_fmac_f32_e32 v69, v27, v3
	s_andn2_b32 exec_lo, exec_lo, s8
	s_cbranch_execnz .LBB124_19
; %bb.20:
	s_or_b32 exec_lo, exec_lo, s8
.LBB124_21:
	s_or_b32 exec_lo, exec_lo, s3
.LBB124_22:
	s_or_b32 exec_lo, exec_lo, s1
	s_cbranch_execz .LBB124_24
	s_branch .LBB124_35
.LBB124_23:
                                        ; implicit-def: $vgpr62
                                        ; implicit-def: $vgpr64
                                        ; implicit-def: $vgpr65
                                        ; implicit-def: $vgpr66
                                        ; implicit-def: $vgpr67
                                        ; implicit-def: $vgpr68
                                        ; implicit-def: $vgpr69
                                        ; implicit-def: $vgpr63
.LBB124_24:
	v_mov_b32_e32 v62, 0
	v_mov_b32_e32 v64, 0
	;; [unrolled: 1-line block ×8, first 2 shown]
	s_and_saveexec_b32 s1, s0
	s_cbranch_execz .LBB124_34
; %bb.25:
	v_add_nc_u32_e32 v0, v71, v61
	v_not_b32_e32 v1, v71
	v_mov_b32_e32 v63, 0
	v_mov_b32_e32 v69, 0
	;; [unrolled: 1-line block ×3, first 2 shown]
	v_subrev_nc_u32_e32 v0, s2, v0
	v_mov_b32_e32 v67, 0
	v_mov_b32_e32 v66, 0
	;; [unrolled: 1-line block ×4, first 2 shown]
	v_add_nc_u32_e32 v0, 64, v0
	v_mov_b32_e32 v62, 0
	s_mov_b32 s0, exec_lo
	v_max_i32_e32 v0, v0, v70
	v_add3_u32 v0, s2, v0, v1
	v_sub_nc_u32_e32 v0, v0, v61
	v_and_b32_e32 v1, 0xc0, v0
	v_cmpx_ne_u32_e32 0xc0, v1
	s_cbranch_execz .LBB124_29
; %bb.26:
	v_lshrrev_b32_e32 v1, 6, v0
	v_mov_b32_e32 v62, 0
	v_mov_b32_e32 v64, 0
	;; [unrolled: 1-line block ×4, first 2 shown]
	v_add_nc_u32_e32 v1, 1, v1
	v_mov_b32_e32 v67, 0
	v_mov_b32_e32 v68, 0
	;; [unrolled: 1-line block ×4, first 2 shown]
	v_and_b32_e32 v1, 3, v1
	s_mov_b32 s3, 0
	v_sub_nc_u32_e32 v1, 0, v1
.LBB124_27:                             ; =>This Inner Loop Header: Depth=1
	v_ashrrev_i32_e32 v54, 31, v53
	v_add_co_u32 v1, s8, v1, 1
	s_or_b32 s3, s8, s3
	v_lshlrev_b64 v[2:3], 2, v[53:54]
	v_add_nc_u32_e32 v53, 64, v53
	v_add_co_u32 v2, vcc_lo, s12, v2
	v_add_co_ci_u32_e64 v3, null, s13, v3, vcc_lo
	global_load_dword v10, v[2:3], off
	s_clause 0x1
	global_load_dwordx4 v[2:5], v[55:56], off offset:16
	global_load_dwordx4 v[6:9], v[55:56], off
	s_waitcnt vmcnt(2)
	v_subrev_nc_u32_e32 v10, s2, v10
	v_lshlrev_b32_e32 v10, 2, v10
	v_ashrrev_i32_e32 v11, 31, v10
	v_lshlrev_b64 v[10:11], 3, v[10:11]
	v_add_co_u32 v14, vcc_lo, s6, v10
	v_add_co_ci_u32_e64 v15, null, s7, v11, vcc_lo
	s_clause 0x1
	global_load_dwordx4 v[10:13], v[14:15], off
	global_load_dwordx4 v[14:17], v[14:15], off offset:16
	s_clause 0x1
	global_load_dwordx4 v[18:21], v[55:56], off offset:32
	global_load_dwordx4 v[22:25], v[55:56], off offset:48
	v_add_co_u32 v55, vcc_lo, 0x1000, v55
	v_add_co_ci_u32_e64 v56, null, 0, v56, vcc_lo
	s_waitcnt vmcnt(3)
	v_fmac_f32_e32 v64, v6, v10
	v_fmac_f32_e32 v62, 0, v10
	;; [unrolled: 1-line block ×32, first 2 shown]
	s_waitcnt vmcnt(1)
	v_fmac_f32_e32 v64, v18, v14
	v_fmac_f32_e32 v62, 0, v14
	;; [unrolled: 1-line block ×16, first 2 shown]
	s_waitcnt vmcnt(0)
	v_fmac_f32_e32 v64, v22, v16
	v_fmac_f32_e32 v62, 0, v16
	;; [unrolled: 1-line block ×16, first 2 shown]
	s_andn2_b32 exec_lo, exec_lo, s3
	s_cbranch_execnz .LBB124_27
; %bb.28:
	s_or_b32 exec_lo, exec_lo, s3
.LBB124_29:
	s_or_b32 exec_lo, exec_lo, s0
	s_mov_b32 s0, exec_lo
	v_cmpx_lt_u32_e32 0xbf, v0
	s_cbranch_execz .LBB124_33
; %bb.30:
	s_mov_b32 s3, 0
.LBB124_31:                             ; =>This Inner Loop Header: Depth=1
	v_ashrrev_i32_e32 v54, 31, v53
	v_add_co_u32 v28, vcc_lo, 0x1000, v55
	v_add_co_ci_u32_e64 v29, null, 0, v56, vcc_lo
	v_lshlrev_b64 v[57:58], 2, v[53:54]
	v_add_co_u32 v44, vcc_lo, 0x2000, v55
	v_add_co_ci_u32_e64 v45, null, 0, v56, vcc_lo
	v_add_co_u32 v79, vcc_lo, 0x3000, v55
	v_add_co_ci_u32_e64 v80, null, 0, v56, vcc_lo
	;; [unrolled: 2-line block ×3, first 2 shown]
	s_clause 0xb
	global_load_dwordx4 v[0:3], v[55:56], off offset:48
	global_load_dwordx4 v[4:7], v[55:56], off offset:32
	;; [unrolled: 1-line block ×3, first 2 shown]
	global_load_dwordx4 v[12:15], v[55:56], off
	global_load_dwordx4 v[16:19], v[28:29], off offset:48
	global_load_dwordx4 v[20:23], v[28:29], off offset:32
	global_load_dwordx4 v[24:27], v[28:29], off
	global_load_dwordx4 v[28:31], v[28:29], off offset:16
	global_load_dwordx4 v[32:35], v[44:45], off offset:48
	;; [unrolled: 1-line block ×3, first 2 shown]
	global_load_dwordx4 v[40:43], v[44:45], off
	global_load_dwordx4 v[44:47], v[44:45], off offset:16
	s_clause 0x3
	global_load_dword v54, v[57:58], off
	global_load_dword v75, v[57:58], off offset:256
	global_load_dword v76, v[57:58], off offset:512
	;; [unrolled: 1-line block ×3, first 2 shown]
	v_add_nc_u32_e32 v53, 0x100, v53
	s_waitcnt vmcnt(3)
	v_subrev_nc_u32_e32 v54, s2, v54
	v_lshlrev_b32_e32 v57, 2, v54
	s_waitcnt vmcnt(2)
	v_subrev_nc_u32_e32 v54, s2, v75
	s_waitcnt vmcnt(0)
	v_subrev_nc_u32_e32 v75, s2, v77
	v_ashrrev_i32_e32 v58, 31, v57
	v_lshlrev_b32_e32 v75, 2, v75
	v_lshlrev_b64 v[57:58], 3, v[57:58]
	v_add_co_u32 v71, vcc_lo, s6, v57
	v_add_co_ci_u32_e64 v72, null, s7, v58, vcc_lo
	s_clause 0x1
	global_load_dwordx4 v[57:60], v[71:72], off
	global_load_dwordx4 v[71:74], v[71:72], off offset:16
	s_waitcnt vmcnt(1)
	v_fmac_f32_e32 v64, v12, v57
	v_fmac_f32_e32 v62, 0, v57
	;; [unrolled: 1-line block ×16, first 2 shown]
	v_subrev_nc_u32_e32 v58, s2, v76
	v_lshlrev_b32_e32 v57, 2, v54
	v_fmac_f32_e32 v64, v8, v59
	v_fmac_f32_e32 v62, 0, v59
	;; [unrolled: 1-line block ×8, first 2 shown]
	v_lshlrev_b32_e32 v59, 2, v58
	v_ashrrev_i32_e32 v58, 31, v57
	v_fmac_f32_e32 v62, v8, v60
	v_fmac_f32_e32 v65, v9, v60
	;; [unrolled: 1-line block ×8, first 2 shown]
	v_ashrrev_i32_e32 v60, 31, v59
	v_lshlrev_b64 v[57:58], 3, v[57:58]
	s_waitcnt vmcnt(0)
	v_fmac_f32_e32 v62, 0, v71
	v_fmac_f32_e32 v65, 0, v71
	v_fmac_f32_e32 v67, 0, v71
	v_lshlrev_b64 v[59:60], 3, v[59:60]
	v_fmac_f32_e32 v69, 0, v71
	v_add_co_u32 v57, vcc_lo, s6, v57
	v_add_co_ci_u32_e64 v58, null, s7, v58, vcc_lo
	v_add_co_u32 v77, vcc_lo, s6, v59
	s_clause 0x1
	global_load_dwordx4 v[12:15], v[79:80], off
	global_load_dwordx4 v[8:11], v[79:80], off offset:16
	v_add_co_ci_u32_e64 v78, null, s7, v60, vcc_lo
	v_fmac_f32_e32 v64, v4, v71
	v_fmac_f32_e32 v66, v5, v71
	v_fmac_f32_e32 v68, v6, v71
	v_fmac_f32_e32 v63, v7, v71
	v_fmac_f32_e32 v62, v4, v72
	v_fmac_f32_e32 v65, v5, v72
	v_fmac_f32_e32 v67, v6, v72
	v_fmac_f32_e32 v69, v7, v72
	s_clause 0x1
	global_load_dwordx4 v[4:7], v[57:58], off
	global_load_dwordx4 v[57:60], v[57:58], off offset:16
	v_fmac_f32_e32 v64, 0x80000000, v72
	v_fmac_f32_e32 v66, 0x80000000, v72
	;; [unrolled: 1-line block ×16, first 2 shown]
	global_load_dwordx4 v[0:3], v[77:78], off
	v_fmac_f32_e32 v64, 0x80000000, v74
	v_fmac_f32_e32 v66, 0x80000000, v74
	;; [unrolled: 1-line block ×4, first 2 shown]
	global_load_dwordx4 v[71:74], v[77:78], off offset:16
	v_ashrrev_i32_e32 v76, 31, v75
	v_lshlrev_b64 v[75:76], 3, v[75:76]
	v_add_co_u32 v75, vcc_lo, s6, v75
	v_add_co_ci_u32_e64 v76, null, s7, v76, vcc_lo
	v_add_co_u32 v55, vcc_lo, 0x4000, v55
	v_add_co_ci_u32_e64 v56, null, 0, v56, vcc_lo
	v_cmp_ge_i32_e32 vcc_lo, v53, v70
	s_or_b32 s3, vcc_lo, s3
	s_waitcnt vmcnt(3)
	v_fmac_f32_e32 v62, 0, v4
	v_fmac_f32_e32 v65, 0, v4
	;; [unrolled: 1-line block ×12, first 2 shown]
	global_load_dwordx4 v[24:27], v[75:76], off
	v_fmac_f32_e32 v64, 0x80000000, v5
	v_fmac_f32_e32 v66, 0x80000000, v5
	;; [unrolled: 1-line block ×16, first 2 shown]
	global_load_dwordx4 v[28:31], v[79:80], off offset:32
	global_load_dwordx4 v[75:78], v[75:76], off offset:16
	v_fmac_f32_e32 v64, 0x80000000, v7
	v_fmac_f32_e32 v66, 0x80000000, v7
	;; [unrolled: 1-line block ×4, first 2 shown]
	global_load_dwordx4 v[4:7], v[79:80], off offset:48
	s_waitcnt vmcnt(6)
	v_fmac_f32_e32 v64, v20, v57
	v_fmac_f32_e32 v62, 0, v57
	v_fmac_f32_e32 v66, v21, v57
	v_fmac_f32_e32 v65, 0, v57
	v_fmac_f32_e32 v68, v22, v57
	v_fmac_f32_e32 v67, 0, v57
	v_fmac_f32_e32 v69, 0, v57
	v_fmac_f32_e32 v63, v23, v57
	v_fmac_f32_e32 v62, v20, v58
	v_fmac_f32_e32 v65, v21, v58
	v_fmac_f32_e32 v67, v22, v58
	v_fmac_f32_e32 v64, 0x80000000, v58
	v_fmac_f32_e32 v69, v23, v58
	v_fmac_f32_e32 v66, 0x80000000, v58
	v_fmac_f32_e32 v68, 0x80000000, v58
	v_fmac_f32_e32 v63, 0x80000000, v58
	v_fmac_f32_e32 v64, v16, v59
	v_fmac_f32_e32 v62, 0, v59
	v_fmac_f32_e32 v66, v17, v59
	v_fmac_f32_e32 v65, 0, v59
	v_fmac_f32_e32 v68, v18, v59
	v_fmac_f32_e32 v67, 0, v59
	v_fmac_f32_e32 v69, 0, v59
	v_fmac_f32_e32 v63, v19, v59
	v_fmac_f32_e32 v62, v16, v60
	v_fmac_f32_e32 v65, v17, v60
	v_fmac_f32_e32 v67, v18, v60
	v_fmac_f32_e32 v64, 0x80000000, v60
	v_fmac_f32_e32 v69, v19, v60
	v_fmac_f32_e32 v66, 0x80000000, v60
	v_fmac_f32_e32 v68, 0x80000000, v60
	v_fmac_f32_e32 v63, 0x80000000, v60
	s_waitcnt vmcnt(5)
	v_fmac_f32_e32 v64, v40, v0
	v_fmac_f32_e32 v62, 0, v0
	v_fmac_f32_e32 v66, v41, v0
	v_fmac_f32_e32 v65, 0, v0
	v_fmac_f32_e32 v68, v42, v0
	v_fmac_f32_e32 v67, 0, v0
	v_fmac_f32_e32 v69, 0, v0
	v_fmac_f32_e32 v63, v43, v0
	v_fmac_f32_e32 v62, v40, v1
	v_fmac_f32_e32 v65, v41, v1
	v_fmac_f32_e32 v67, v42, v1
	v_fmac_f32_e32 v64, 0x80000000, v1
	v_fmac_f32_e32 v69, v43, v1
	v_fmac_f32_e32 v66, 0x80000000, v1
	v_fmac_f32_e32 v68, 0x80000000, v1
	v_fmac_f32_e32 v63, 0x80000000, v1
	v_fmac_f32_e32 v64, v44, v2
	v_fmac_f32_e32 v62, 0, v2
	v_fmac_f32_e32 v66, v45, v2
	v_fmac_f32_e32 v65, 0, v2
	v_fmac_f32_e32 v68, v46, v2
	v_fmac_f32_e32 v67, 0, v2
	v_fmac_f32_e32 v63, v47, v2
	v_fmac_f32_e32 v69, 0, v2
	v_fmac_f32_e32 v64, 0x80000000, v3
	v_fmac_f32_e32 v62, v44, v3
	v_fmac_f32_e32 v66, 0x80000000, v3
	v_fmac_f32_e32 v65, v45, v3
	v_fmac_f32_e32 v68, 0x80000000, v3
	v_fmac_f32_e32 v67, v46, v3
	v_fmac_f32_e32 v63, 0x80000000, v3
	v_fmac_f32_e32 v69, v47, v3
	;; [unrolled: 33-line block ×4, first 2 shown]
	s_waitcnt vmcnt(1)
	v_fmac_f32_e32 v64, v28, v75
	v_fmac_f32_e32 v62, 0, v75
	;; [unrolled: 1-line block ×16, first 2 shown]
	s_waitcnt vmcnt(0)
	v_fmac_f32_e32 v64, v4, v77
	v_fmac_f32_e32 v62, 0, v77
	;; [unrolled: 1-line block ×16, first 2 shown]
	s_andn2_b32 exec_lo, exec_lo, s3
	s_cbranch_execnz .LBB124_31
; %bb.32:
	s_or_b32 exec_lo, exec_lo, s3
.LBB124_33:
	s_or_b32 exec_lo, exec_lo, s0
.LBB124_34:
	s_or_b32 exec_lo, exec_lo, s1
.LBB124_35:
	v_mbcnt_lo_u32_b32 v0, -1, 0
	v_or_b32_e32 v1, 32, v0
	v_xor_b32_e32 v9, 16, v0
	v_xor_b32_e32 v17, 8, v0
	v_cmp_gt_i32_e32 vcc_lo, 32, v1
	v_cndmask_b32_e32 v1, v0, v1, vcc_lo
	v_cmp_gt_i32_e32 vcc_lo, 32, v9
	v_lshlrev_b32_e32 v1, 2, v1
	v_cndmask_b32_e32 v9, v0, v9, vcc_lo
	v_cmp_gt_i32_e32 vcc_lo, 32, v17
	ds_bpermute_b32 v2, v1, v64
	ds_bpermute_b32 v3, v1, v62
	;; [unrolled: 1-line block ×8, first 2 shown]
	v_lshlrev_b32_e32 v9, 2, v9
	v_cndmask_b32_e32 v17, v0, v17, vcc_lo
	v_lshlrev_b32_e32 v17, 2, v17
	s_waitcnt lgkmcnt(7)
	v_add_f32_e32 v2, v64, v2
	s_waitcnt lgkmcnt(6)
	v_add_f32_e32 v3, v62, v3
	;; [unrolled: 2-line block ×8, first 2 shown]
	ds_bpermute_b32 v10, v9, v2
	ds_bpermute_b32 v11, v9, v3
	;; [unrolled: 1-line block ×8, first 2 shown]
	s_waitcnt lgkmcnt(7)
	v_add_f32_e32 v2, v2, v10
	s_waitcnt lgkmcnt(6)
	v_add_f32_e32 v3, v3, v11
	;; [unrolled: 2-line block ×8, first 2 shown]
	ds_bpermute_b32 v9, v17, v2
	ds_bpermute_b32 v10, v17, v3
	;; [unrolled: 1-line block ×8, first 2 shown]
	v_xor_b32_e32 v17, 4, v0
	v_cmp_gt_i32_e32 vcc_lo, 32, v17
	v_cndmask_b32_e32 v17, v0, v17, vcc_lo
	s_waitcnt lgkmcnt(7)
	v_add_f32_e32 v2, v2, v9
	s_waitcnt lgkmcnt(6)
	v_add_f32_e32 v3, v3, v10
	;; [unrolled: 2-line block ×3, first 2 shown]
	v_lshlrev_b32_e32 v17, 2, v17
	s_waitcnt lgkmcnt(4)
	v_add_f32_e32 v5, v5, v12
	s_waitcnt lgkmcnt(3)
	v_add_f32_e32 v6, v6, v13
	;; [unrolled: 2-line block ×5, first 2 shown]
	ds_bpermute_b32 v9, v17, v2
	ds_bpermute_b32 v10, v17, v3
	;; [unrolled: 1-line block ×8, first 2 shown]
	v_xor_b32_e32 v17, 2, v0
	v_cmp_gt_i32_e32 vcc_lo, 32, v17
	v_cndmask_b32_e32 v17, v0, v17, vcc_lo
	s_waitcnt lgkmcnt(7)
	v_add_f32_e32 v2, v2, v9
	s_waitcnt lgkmcnt(6)
	v_add_f32_e32 v3, v3, v10
	;; [unrolled: 2-line block ×3, first 2 shown]
	v_lshlrev_b32_e32 v17, 2, v17
	s_waitcnt lgkmcnt(4)
	v_add_f32_e32 v5, v5, v12
	s_waitcnt lgkmcnt(3)
	v_add_f32_e32 v6, v6, v13
	;; [unrolled: 2-line block ×5, first 2 shown]
	ds_bpermute_b32 v1, v17, v2
	ds_bpermute_b32 v10, v17, v3
	;; [unrolled: 1-line block ×8, first 2 shown]
	v_xor_b32_e32 v17, 1, v0
	v_cmp_gt_i32_e32 vcc_lo, 32, v17
	v_cndmask_b32_e32 v0, v0, v17, vcc_lo
	v_cmp_eq_u32_e32 vcc_lo, 63, v61
	v_lshlrev_b32_e32 v17, 2, v0
	s_waitcnt lgkmcnt(7)
	v_add_f32_e32 v0, v2, v1
	s_waitcnt lgkmcnt(6)
	v_add_f32_e32 v1, v3, v10
	;; [unrolled: 2-line block ×8, first 2 shown]
	ds_bpermute_b32 v8, v17, v0
	ds_bpermute_b32 v9, v17, v1
	;; [unrolled: 1-line block ×8, first 2 shown]
	s_and_b32 exec_lo, exec_lo, vcc_lo
	s_cbranch_execz .LBB124_8
; %bb.36:
	s_load_dwordx2 s[2:3], s[4:5], 0x50
	s_waitcnt lgkmcnt(0)
	v_add_f32_e32 v8, v0, v8
	v_add_f32_e32 v0, v1, v9
	;; [unrolled: 1-line block ×8, first 2 shown]
	v_mul_f32_e64 v4, v0, -v51
	v_mul_f32_e32 v5, v50, v0
	v_mul_f32_e64 v6, v1, -v51
	v_mul_f32_e32 v7, v50, v1
	;; [unrolled: 2-line block ×4, first 2 shown]
	v_cmp_eq_f32_e32 vcc_lo, 0, v48
	v_cmp_eq_f32_e64 s0, 0, v49
	v_fmac_f32_e32 v4, v50, v8
	v_fmac_f32_e32 v5, v51, v8
	v_lshlrev_b32_e32 v8, 2, v52
	v_fmac_f32_e32 v6, v50, v9
	v_fmac_f32_e32 v7, v51, v9
	;; [unrolled: 1-line block ×6, first 2 shown]
	s_and_b32 s0, vcc_lo, s0
	s_and_saveexec_b32 s1, s0
	s_xor_b32 s0, exec_lo, s1
	s_cbranch_execz .LBB124_38
; %bb.37:
	v_ashrrev_i32_e32 v9, 31, v8
                                        ; implicit-def: $vgpr48_vgpr49
	v_lshlrev_b64 v[8:9], 3, v[8:9]
	v_add_co_u32 v8, vcc_lo, s2, v8
	v_add_co_ci_u32_e64 v9, null, s3, v9, vcc_lo
	global_store_dwordx4 v[8:9], v[4:7], off
	global_store_dwordx4 v[8:9], v[0:3], off offset:16
                                        ; implicit-def: $vgpr4
                                        ; implicit-def: $vgpr8
                                        ; implicit-def: $vgpr0
.LBB124_38:
	s_andn2_saveexec_b32 s0, s0
	s_cbranch_execz .LBB124_8
; %bb.39:
	v_ashrrev_i32_e32 v9, 31, v8
	v_lshlrev_b64 v[8:9], 3, v[8:9]
	v_add_co_u32 v16, vcc_lo, s2, v8
	v_add_co_ci_u32_e64 v17, null, s3, v9, vcc_lo
	s_clause 0x1
	global_load_dwordx4 v[8:11], v[16:17], off
	global_load_dwordx4 v[12:15], v[16:17], off offset:16
	s_waitcnt vmcnt(1)
	v_fmac_f32_e32 v4, v48, v8
	v_fmac_f32_e32 v5, v49, v8
	;; [unrolled: 1-line block ×4, first 2 shown]
	s_waitcnt vmcnt(0)
	v_fmac_f32_e32 v0, v48, v12
	v_fmac_f32_e32 v1, v49, v12
	;; [unrolled: 1-line block ×4, first 2 shown]
	v_fma_f32 v4, -v49, v9, v4
	v_fmac_f32_e32 v5, v48, v9
	v_fma_f32 v6, -v49, v11, v6
	v_fmac_f32_e32 v7, v48, v11
	;; [unrolled: 2-line block ×4, first 2 shown]
	global_store_dwordx4 v[16:17], v[4:7], off
	global_store_dwordx4 v[16:17], v[0:3], off offset:16
	s_endpgm
	.section	.rodata,"a",@progbits
	.p2align	6, 0x0
	.amdhsa_kernel _ZN9rocsparseL18bsrxmvn_4x4_kernelILj128ELj64E21rocsparse_complex_numIfEiifS2_S2_EEvT3_20rocsparse_direction_NS_24const_host_device_scalarIT1_EES3_PKS3_PKT2_SC_S9_PKT4_PKT5_S7_PT6_21rocsparse_index_base_b
		.amdhsa_group_segment_fixed_size 0
		.amdhsa_private_segment_fixed_size 0
		.amdhsa_kernarg_size 96
		.amdhsa_user_sgpr_count 6
		.amdhsa_user_sgpr_private_segment_buffer 1
		.amdhsa_user_sgpr_dispatch_ptr 0
		.amdhsa_user_sgpr_queue_ptr 0
		.amdhsa_user_sgpr_kernarg_segment_ptr 1
		.amdhsa_user_sgpr_dispatch_id 0
		.amdhsa_user_sgpr_flat_scratch_init 0
		.amdhsa_user_sgpr_private_segment_size 0
		.amdhsa_wavefront_size32 1
		.amdhsa_uses_dynamic_stack 0
		.amdhsa_system_sgpr_private_segment_wavefront_offset 0
		.amdhsa_system_sgpr_workgroup_id_x 1
		.amdhsa_system_sgpr_workgroup_id_y 0
		.amdhsa_system_sgpr_workgroup_id_z 0
		.amdhsa_system_sgpr_workgroup_info 0
		.amdhsa_system_vgpr_workitem_id 0
		.amdhsa_next_free_vgpr 104
		.amdhsa_next_free_sgpr 16
		.amdhsa_reserve_vcc 1
		.amdhsa_reserve_flat_scratch 0
		.amdhsa_float_round_mode_32 0
		.amdhsa_float_round_mode_16_64 0
		.amdhsa_float_denorm_mode_32 3
		.amdhsa_float_denorm_mode_16_64 3
		.amdhsa_dx10_clamp 1
		.amdhsa_ieee_mode 1
		.amdhsa_fp16_overflow 0
		.amdhsa_workgroup_processor_mode 1
		.amdhsa_memory_ordered 1
		.amdhsa_forward_progress 1
		.amdhsa_shared_vgpr_count 0
		.amdhsa_exception_fp_ieee_invalid_op 0
		.amdhsa_exception_fp_denorm_src 0
		.amdhsa_exception_fp_ieee_div_zero 0
		.amdhsa_exception_fp_ieee_overflow 0
		.amdhsa_exception_fp_ieee_underflow 0
		.amdhsa_exception_fp_ieee_inexact 0
		.amdhsa_exception_int_div_zero 0
	.end_amdhsa_kernel
	.section	.text._ZN9rocsparseL18bsrxmvn_4x4_kernelILj128ELj64E21rocsparse_complex_numIfEiifS2_S2_EEvT3_20rocsparse_direction_NS_24const_host_device_scalarIT1_EES3_PKS3_PKT2_SC_S9_PKT4_PKT5_S7_PT6_21rocsparse_index_base_b,"axG",@progbits,_ZN9rocsparseL18bsrxmvn_4x4_kernelILj128ELj64E21rocsparse_complex_numIfEiifS2_S2_EEvT3_20rocsparse_direction_NS_24const_host_device_scalarIT1_EES3_PKS3_PKT2_SC_S9_PKT4_PKT5_S7_PT6_21rocsparse_index_base_b,comdat
.Lfunc_end124:
	.size	_ZN9rocsparseL18bsrxmvn_4x4_kernelILj128ELj64E21rocsparse_complex_numIfEiifS2_S2_EEvT3_20rocsparse_direction_NS_24const_host_device_scalarIT1_EES3_PKS3_PKT2_SC_S9_PKT4_PKT5_S7_PT6_21rocsparse_index_base_b, .Lfunc_end124-_ZN9rocsparseL18bsrxmvn_4x4_kernelILj128ELj64E21rocsparse_complex_numIfEiifS2_S2_EEvT3_20rocsparse_direction_NS_24const_host_device_scalarIT1_EES3_PKS3_PKT2_SC_S9_PKT4_PKT5_S7_PT6_21rocsparse_index_base_b
                                        ; -- End function
	.set _ZN9rocsparseL18bsrxmvn_4x4_kernelILj128ELj64E21rocsparse_complex_numIfEiifS2_S2_EEvT3_20rocsparse_direction_NS_24const_host_device_scalarIT1_EES3_PKS3_PKT2_SC_S9_PKT4_PKT5_S7_PT6_21rocsparse_index_base_b.num_vgpr, 104
	.set _ZN9rocsparseL18bsrxmvn_4x4_kernelILj128ELj64E21rocsparse_complex_numIfEiifS2_S2_EEvT3_20rocsparse_direction_NS_24const_host_device_scalarIT1_EES3_PKS3_PKT2_SC_S9_PKT4_PKT5_S7_PT6_21rocsparse_index_base_b.num_agpr, 0
	.set _ZN9rocsparseL18bsrxmvn_4x4_kernelILj128ELj64E21rocsparse_complex_numIfEiifS2_S2_EEvT3_20rocsparse_direction_NS_24const_host_device_scalarIT1_EES3_PKS3_PKT2_SC_S9_PKT4_PKT5_S7_PT6_21rocsparse_index_base_b.numbered_sgpr, 16
	.set _ZN9rocsparseL18bsrxmvn_4x4_kernelILj128ELj64E21rocsparse_complex_numIfEiifS2_S2_EEvT3_20rocsparse_direction_NS_24const_host_device_scalarIT1_EES3_PKS3_PKT2_SC_S9_PKT4_PKT5_S7_PT6_21rocsparse_index_base_b.num_named_barrier, 0
	.set _ZN9rocsparseL18bsrxmvn_4x4_kernelILj128ELj64E21rocsparse_complex_numIfEiifS2_S2_EEvT3_20rocsparse_direction_NS_24const_host_device_scalarIT1_EES3_PKS3_PKT2_SC_S9_PKT4_PKT5_S7_PT6_21rocsparse_index_base_b.private_seg_size, 0
	.set _ZN9rocsparseL18bsrxmvn_4x4_kernelILj128ELj64E21rocsparse_complex_numIfEiifS2_S2_EEvT3_20rocsparse_direction_NS_24const_host_device_scalarIT1_EES3_PKS3_PKT2_SC_S9_PKT4_PKT5_S7_PT6_21rocsparse_index_base_b.uses_vcc, 1
	.set _ZN9rocsparseL18bsrxmvn_4x4_kernelILj128ELj64E21rocsparse_complex_numIfEiifS2_S2_EEvT3_20rocsparse_direction_NS_24const_host_device_scalarIT1_EES3_PKS3_PKT2_SC_S9_PKT4_PKT5_S7_PT6_21rocsparse_index_base_b.uses_flat_scratch, 0
	.set _ZN9rocsparseL18bsrxmvn_4x4_kernelILj128ELj64E21rocsparse_complex_numIfEiifS2_S2_EEvT3_20rocsparse_direction_NS_24const_host_device_scalarIT1_EES3_PKS3_PKT2_SC_S9_PKT4_PKT5_S7_PT6_21rocsparse_index_base_b.has_dyn_sized_stack, 0
	.set _ZN9rocsparseL18bsrxmvn_4x4_kernelILj128ELj64E21rocsparse_complex_numIfEiifS2_S2_EEvT3_20rocsparse_direction_NS_24const_host_device_scalarIT1_EES3_PKS3_PKT2_SC_S9_PKT4_PKT5_S7_PT6_21rocsparse_index_base_b.has_recursion, 0
	.set _ZN9rocsparseL18bsrxmvn_4x4_kernelILj128ELj64E21rocsparse_complex_numIfEiifS2_S2_EEvT3_20rocsparse_direction_NS_24const_host_device_scalarIT1_EES3_PKS3_PKT2_SC_S9_PKT4_PKT5_S7_PT6_21rocsparse_index_base_b.has_indirect_call, 0
	.section	.AMDGPU.csdata,"",@progbits
; Kernel info:
; codeLenInByte = 6904
; TotalNumSgprs: 18
; NumVgprs: 104
; ScratchSize: 0
; MemoryBound: 0
; FloatMode: 240
; IeeeMode: 1
; LDSByteSize: 0 bytes/workgroup (compile time only)
; SGPRBlocks: 0
; VGPRBlocks: 12
; NumSGPRsForWavesPerEU: 18
; NumVGPRsForWavesPerEU: 104
; Occupancy: 9
; WaveLimiterHint : 1
; COMPUTE_PGM_RSRC2:SCRATCH_EN: 0
; COMPUTE_PGM_RSRC2:USER_SGPR: 6
; COMPUTE_PGM_RSRC2:TRAP_HANDLER: 0
; COMPUTE_PGM_RSRC2:TGID_X_EN: 1
; COMPUTE_PGM_RSRC2:TGID_Y_EN: 0
; COMPUTE_PGM_RSRC2:TGID_Z_EN: 0
; COMPUTE_PGM_RSRC2:TIDIG_COMP_CNT: 0
	.section	.text._ZN9rocsparseL18bsrxmvn_4x4_kernelILj128ELj4E21rocsparse_complex_numIfElifS2_S2_EEvT3_20rocsparse_direction_NS_24const_host_device_scalarIT1_EES3_PKS3_PKT2_SC_S9_PKT4_PKT5_S7_PT6_21rocsparse_index_base_b,"axG",@progbits,_ZN9rocsparseL18bsrxmvn_4x4_kernelILj128ELj4E21rocsparse_complex_numIfElifS2_S2_EEvT3_20rocsparse_direction_NS_24const_host_device_scalarIT1_EES3_PKS3_PKT2_SC_S9_PKT4_PKT5_S7_PT6_21rocsparse_index_base_b,comdat
	.globl	_ZN9rocsparseL18bsrxmvn_4x4_kernelILj128ELj4E21rocsparse_complex_numIfElifS2_S2_EEvT3_20rocsparse_direction_NS_24const_host_device_scalarIT1_EES3_PKS3_PKT2_SC_S9_PKT4_PKT5_S7_PT6_21rocsparse_index_base_b ; -- Begin function _ZN9rocsparseL18bsrxmvn_4x4_kernelILj128ELj4E21rocsparse_complex_numIfElifS2_S2_EEvT3_20rocsparse_direction_NS_24const_host_device_scalarIT1_EES3_PKS3_PKT2_SC_S9_PKT4_PKT5_S7_PT6_21rocsparse_index_base_b
	.p2align	8
	.type	_ZN9rocsparseL18bsrxmvn_4x4_kernelILj128ELj4E21rocsparse_complex_numIfElifS2_S2_EEvT3_20rocsparse_direction_NS_24const_host_device_scalarIT1_EES3_PKS3_PKT2_SC_S9_PKT4_PKT5_S7_PT6_21rocsparse_index_base_b,@function
_ZN9rocsparseL18bsrxmvn_4x4_kernelILj128ELj4E21rocsparse_complex_numIfElifS2_S2_EEvT3_20rocsparse_direction_NS_24const_host_device_scalarIT1_EES3_PKS3_PKT2_SC_S9_PKT4_PKT5_S7_PT6_21rocsparse_index_base_b: ; @_ZN9rocsparseL18bsrxmvn_4x4_kernelILj128ELj4E21rocsparse_complex_numIfElifS2_S2_EEvT3_20rocsparse_direction_NS_24const_host_device_scalarIT1_EES3_PKS3_PKT2_SC_S9_PKT4_PKT5_S7_PT6_21rocsparse_index_base_b
; %bb.0:
	s_clause 0x2
	s_load_dwordx2 s[2:3], s[4:5], 0x58
	s_load_dwordx2 s[0:1], s[4:5], 0x8
	;; [unrolled: 1-line block ×3, first 2 shown]
	s_add_u32 s7, s4, 8
	s_addc_u32 s10, s5, 0
	s_add_u32 s11, s4, 0x48
	s_addc_u32 s12, s5, 0
	s_waitcnt lgkmcnt(0)
	s_bitcmp1_b32 s3, 0
	s_cselect_b32 s0, s7, s0
	s_cselect_b32 s1, s10, s1
	v_mov_b32_e32 v1, s0
	v_mov_b32_e32 v2, s1
	s_cselect_b32 s0, s11, s8
	s_cselect_b32 s1, s12, s9
	flat_load_dwordx2 v[26:27], v[1:2]
	v_mov_b32_e32 v1, s0
	v_mov_b32_e32 v2, s1
	flat_load_dwordx2 v[24:25], v[1:2]
	s_waitcnt vmcnt(1) lgkmcnt(1)
	v_cmp_eq_f32_e32 vcc_lo, 0, v26
	v_cmp_eq_f32_e64 s0, 0, v27
	s_and_b32 s3, vcc_lo, s0
	s_mov_b32 s0, -1
	s_and_saveexec_b32 s1, s3
	s_cbranch_execz .LBB125_2
; %bb.1:
	s_waitcnt vmcnt(0) lgkmcnt(0)
	v_cmp_neq_f32_e32 vcc_lo, 1.0, v24
	v_cmp_neq_f32_e64 s0, 0, v25
	s_or_b32 s0, vcc_lo, s0
	s_orn2_b32 s0, s0, exec_lo
.LBB125_2:
	s_or_b32 exec_lo, exec_lo, s1
	s_and_saveexec_b32 s1, s0
	s_cbranch_execz .LBB125_8
; %bb.3:
	s_clause 0x1
	s_load_dwordx2 s[8:9], s[4:5], 0x18
	s_load_dwordx2 s[0:1], s[4:5], 0x0
	v_lshrrev_b32_e32 v1, 2, v0
	v_lshl_or_b32 v28, s6, 5, v1
	s_waitcnt lgkmcnt(0)
	s_cmp_lg_u64 s[8:9], 0
	s_cbranch_scc0 .LBB125_9
; %bb.4:
	s_load_dword s3, s[4:5], 0x10
	s_mov_b32 s6, 0
                                        ; implicit-def: $vgpr1
	s_waitcnt lgkmcnt(0)
	v_cmp_gt_i32_e32 vcc_lo, s3, v28
	s_mov_b32 s3, 0
	s_and_saveexec_b32 s7, vcc_lo
	s_xor_b32 s7, exec_lo, s7
	s_cbranch_execz .LBB125_6
; %bb.5:
	v_ashrrev_i32_e32 v29, 31, v28
	s_mov_b32 s3, exec_lo
	v_lshlrev_b64 v[1:2], 2, v[28:29]
	v_add_co_u32 v1, vcc_lo, s8, v1
	v_add_co_ci_u32_e64 v2, null, s9, v2, vcc_lo
	global_load_dword v1, v[1:2], off
	s_waitcnt vmcnt(0)
	v_subrev_nc_u32_e32 v1, s2, v1
.LBB125_6:
	s_or_b32 exec_lo, exec_lo, s7
	s_and_b32 vcc_lo, exec_lo, s6
	s_cbranch_vccz .LBB125_10
.LBB125_7:
	v_cmp_gt_i32_e32 vcc_lo, s0, v28
	s_andn2_b32 s0, s3, exec_lo
	s_and_b32 s3, vcc_lo, exec_lo
	s_or_b32 s3, s0, s3
	s_and_b32 exec_lo, exec_lo, s3
	s_cbranch_execnz .LBB125_11
.LBB125_8:
	s_endpgm
.LBB125_9:
	s_mov_b32 s3, 0
                                        ; implicit-def: $vgpr1
	s_cbranch_execnz .LBB125_7
.LBB125_10:
	v_mov_b32_e32 v28, v1
	s_and_b32 exec_lo, exec_lo, s3
	s_cbranch_execz .LBB125_8
.LBB125_11:
	s_load_dwordx8 s[8:15], s[4:5], 0x20
	v_ashrrev_i32_e32 v29, 31, v28
	v_and_b32_e32 v45, 3, v0
	s_load_dwordx2 s[6:7], s[4:5], 0x40
	v_mov_b32_e32 v46, 0
	v_lshlrev_b64 v[1:2], 3, v[28:29]
	s_waitcnt lgkmcnt(0)
	v_add_co_u32 v3, vcc_lo, s8, v1
	v_add_co_ci_u32_e64 v4, null, s9, v2, vcc_lo
	v_add_co_u32 v1, vcc_lo, s10, v1
	v_add_co_ci_u32_e64 v2, null, s11, v2, vcc_lo
	v_add_co_u32 v5, vcc_lo, v3, 8
	global_load_dwordx2 v[37:38], v[3:4], off
	v_add_co_ci_u32_e64 v6, null, 0, v4, vcc_lo
	s_cmp_eq_u64 s[10:11], 0
	s_cselect_b32 vcc_lo, -1, 0
	s_cmp_eq_u32 s1, 1
	v_cndmask_b32_e32 v2, v2, v6, vcc_lo
	v_cndmask_b32_e32 v1, v1, v5, vcc_lo
	global_load_dwordx2 v[1:2], v[1:2], off
	s_waitcnt vmcnt(1)
	v_sub_co_u32 v0, vcc_lo, v37, s2
	v_subrev_co_ci_u32_e64 v3, null, 0, v38, vcc_lo
	v_add_co_u32 v29, vcc_lo, v0, v45
	v_add_co_ci_u32_e64 v30, null, 0, v3, vcc_lo
	s_waitcnt vmcnt(0)
	v_sub_co_u32 v31, vcc_lo, v1, s2
	v_lshlrev_b64 v[0:1], 6, v[29:30]
	v_subrev_co_ci_u32_e64 v32, null, 0, v2, vcc_lo
	v_add_co_u32 v33, vcc_lo, s14, v0
	v_cmp_lt_i64_e64 s0, v[29:30], v[31:32]
	v_add_co_ci_u32_e64 v34, null, s15, v1, vcc_lo
	s_cbranch_scc1 .LBB125_23
; %bb.12:
	v_mov_b32_e32 v47, 0
	v_mov_b32_e32 v48, 0
	;; [unrolled: 1-line block ×7, first 2 shown]
	s_and_saveexec_b32 s1, s0
	s_cbranch_execz .LBB125_22
; %bb.13:
	v_or_b32_e32 v0, 4, v45
	v_not_b32_e32 v3, v37
	v_not_b32_e32 v2, v38
	v_mov_b32_e32 v36, 0
	v_mov_b32_e32 v40, v34
	v_sub_co_u32 v0, s3, v0, s2
	v_sub_co_ci_u32_e64 v1, null, 0, 0, s3
	v_sub_co_u32 v4, s3, s2, v45
	v_add_co_u32 v0, vcc_lo, v0, v37
	v_add_co_ci_u32_e64 v1, null, v1, v38, vcc_lo
	v_sub_co_ci_u32_e64 v5, null, 0, 0, s3
	v_mov_b32_e32 v42, v30
	v_cmp_gt_i64_e32 vcc_lo, v[0:1], v[31:32]
	v_mov_b32_e32 v51, v36
	v_mov_b32_e32 v52, v36
	;; [unrolled: 1-line block ×5, first 2 shown]
	v_cndmask_b32_e32 v1, v32, v1, vcc_lo
	v_cndmask_b32_e32 v0, v31, v0, vcc_lo
	v_add_co_u32 v3, vcc_lo, v4, v3
	v_add_co_ci_u32_e64 v2, null, v5, v2, vcc_lo
	v_mov_b32_e32 v47, v36
	v_add_co_u32 v0, vcc_lo, v3, v0
	v_add_co_ci_u32_e64 v1, null, v2, v1, vcc_lo
	v_mov_b32_e32 v46, v36
	v_and_b32_e32 v35, 12, v0
	v_mov_b32_e32 v39, v33
	v_mov_b32_e32 v41, v29
	s_mov_b32 s3, exec_lo
	v_cmpx_ne_u64_e32 12, v[35:36]
	s_cbranch_execz .LBB125_17
; %bb.14:
	v_lshrrev_b32_e32 v2, 2, v0
	v_mov_b32_e32 v42, v30
	v_mov_b32_e32 v40, v34
	;; [unrolled: 1-line block ×4, first 2 shown]
	v_add_nc_u32_e32 v4, 1, v2
	v_lshlrev_b64 v[2:3], 2, v[29:30]
	v_mov_b32_e32 v39, v33
	v_mov_b32_e32 v47, 0
	v_mov_b32_e32 v48, 0
	v_and_b32_e32 v4, 3, v4
	v_mov_b32_e32 v49, 0
	v_add_co_u32 v2, vcc_lo, s12, v2
	v_add_co_ci_u32_e64 v3, null, s13, v3, vcc_lo
	v_sub_co_u32 v4, s8, 0, v4
	v_sub_co_ci_u32_e64 v5, null, 0, 0, s8
	v_mov_b32_e32 v50, 0
	v_mov_b32_e32 v52, 0
	;; [unrolled: 1-line block ×4, first 2 shown]
	s_mov_b32 s8, 0
.LBB125_15:                             ; =>This Inner Loop Header: Depth=1
	global_load_dword v22, v[2:3], off
	s_clause 0x3
	global_load_dwordx4 v[6:9], v[39:40], off offset:48
	global_load_dwordx4 v[10:13], v[39:40], off offset:32
	;; [unrolled: 1-line block ×3, first 2 shown]
	global_load_dwordx4 v[18:21], v[39:40], off
	s_waitcnt vmcnt(4)
	v_subrev_nc_u32_e32 v22, s2, v22
	v_lshlrev_b32_e32 v22, 2, v22
	v_ashrrev_i32_e32 v23, 31, v22
	v_lshlrev_b64 v[22:23], 3, v[22:23]
	v_add_co_u32 v22, vcc_lo, s6, v22
	v_add_co_ci_u32_e64 v23, null, s7, v23, vcc_lo
	v_add_co_u32 v39, vcc_lo, 0x100, v39
	v_add_co_ci_u32_e64 v40, null, 0, v40, vcc_lo
	s_clause 0x1
	global_load_dwordx4 v[53:56], v[22:23], off
	global_load_dwordx4 v[57:60], v[22:23], off offset:16
	v_add_co_u32 v41, vcc_lo, v41, 4
	v_add_co_ci_u32_e64 v42, null, 0, v42, vcc_lo
	v_add_co_u32 v4, vcc_lo, v4, 1
	v_add_co_ci_u32_e64 v5, null, 0, v5, vcc_lo
	;; [unrolled: 2-line block ×3, first 2 shown]
	v_cmp_eq_u64_e32 vcc_lo, 0, v[4:5]
	s_or_b32 s8, vcc_lo, s8
	s_waitcnt vmcnt(1)
	v_fmac_f32_e32 v47, v18, v53
	v_fmac_f32_e32 v46, 0, v53
	;; [unrolled: 1-line block ×32, first 2 shown]
	s_waitcnt vmcnt(0)
	v_fmac_f32_e32 v47, v20, v57
	v_fmac_f32_e32 v46, 0, v57
	v_fmac_f32_e32 v49, v16, v57
	v_fmac_f32_e32 v48, 0, v57
	v_fmac_f32_e32 v52, v12, v57
	v_fmac_f32_e32 v50, 0, v57
	v_fmac_f32_e32 v36, v8, v57
	v_fmac_f32_e32 v51, 0, v57
	v_fmac_f32_e32 v47, 0x80000000, v58
	v_fmac_f32_e32 v46, v20, v58
	v_fmac_f32_e32 v49, 0x80000000, v58
	v_fmac_f32_e32 v48, v16, v58
	v_fmac_f32_e32 v52, 0x80000000, v58
	v_fmac_f32_e32 v50, v12, v58
	v_fmac_f32_e32 v36, 0x80000000, v58
	v_fmac_f32_e32 v51, v8, v58
	v_fmac_f32_e32 v47, v21, v59
	v_fmac_f32_e32 v46, 0, v59
	v_fmac_f32_e32 v49, v17, v59
	v_fmac_f32_e32 v48, 0, v59
	v_fmac_f32_e32 v52, v13, v59
	v_fmac_f32_e32 v50, 0, v59
	v_fmac_f32_e32 v36, v9, v59
	v_fmac_f32_e32 v51, 0, v59
	v_fmac_f32_e32 v47, 0x80000000, v60
	v_fmac_f32_e32 v46, v21, v60
	v_fmac_f32_e32 v49, 0x80000000, v60
	v_fmac_f32_e32 v48, v17, v60
	v_fmac_f32_e32 v52, 0x80000000, v60
	v_fmac_f32_e32 v50, v13, v60
	v_fmac_f32_e32 v36, 0x80000000, v60
	v_fmac_f32_e32 v51, v9, v60
	s_andn2_b32 exec_lo, exec_lo, s8
	s_cbranch_execnz .LBB125_15
; %bb.16:
	s_or_b32 exec_lo, exec_lo, s8
.LBB125_17:
	s_or_b32 exec_lo, exec_lo, s3
	s_mov_b32 s3, exec_lo
	v_cmpx_lt_u64_e32 11, v[0:1]
	s_cbranch_execz .LBB125_21
; %bb.18:
	v_lshlrev_b64 v[0:1], 2, v[41:42]
	s_mov_b32 s8, 0
	v_add_co_u32 v0, vcc_lo, s12, v0
	v_add_co_ci_u32_e64 v1, null, s13, v1, vcc_lo
	v_add_co_u32 v43, vcc_lo, v0, 32
	v_add_co_ci_u32_e64 v44, null, 0, v1, vcc_lo
.LBB125_19:                             ; =>This Inner Loop Header: Depth=1
	s_clause 0x3
	global_load_dword v35, v[43:44], off offset:-32
	global_load_dword v89, v[43:44], off offset:-16
	global_load_dword v90, v[43:44], off
	global_load_dword v91, v[43:44], off offset:16
	s_clause 0xe
	global_load_dwordx4 v[53:56], v[39:40], off offset:48
	global_load_dwordx4 v[57:60], v[39:40], off offset:32
	;; [unrolled: 1-line block ×3, first 2 shown]
	global_load_dwordx4 v[65:68], v[39:40], off
	global_load_dwordx4 v[69:72], v[39:40], off offset:304
	global_load_dwordx4 v[73:76], v[39:40], off offset:288
	;; [unrolled: 1-line block ×11, first 2 shown]
	s_waitcnt vmcnt(18)
	v_subrev_nc_u32_e32 v35, s2, v35
	s_waitcnt vmcnt(17)
	v_subrev_nc_u32_e32 v92, s2, v89
	;; [unrolled: 2-line block ×4, first 2 shown]
	v_lshlrev_b32_e32 v89, 2, v35
	v_lshlrev_b32_e32 v91, 2, v92
	;; [unrolled: 1-line block ×4, first 2 shown]
	v_ashrrev_i32_e32 v90, 31, v89
	v_ashrrev_i32_e32 v92, 31, v91
	v_ashrrev_i32_e32 v94, 31, v93
	v_ashrrev_i32_e32 v96, 31, v95
	v_lshlrev_b64 v[89:90], 3, v[89:90]
	v_lshlrev_b64 v[91:92], 3, v[91:92]
	v_lshlrev_b64 v[93:94], 3, v[93:94]
	v_lshlrev_b64 v[95:96], 3, v[95:96]
	v_add_co_u32 v97, vcc_lo, s6, v89
	v_add_co_ci_u32_e64 v98, null, s7, v90, vcc_lo
	v_add_co_u32 v99, vcc_lo, s6, v91
	v_add_co_ci_u32_e64 v100, null, s7, v92, vcc_lo
	v_add_co_u32 v101, vcc_lo, s6, v93
	v_add_co_ci_u32_e64 v102, null, s7, v94, vcc_lo
	v_add_co_u32 v103, vcc_lo, s6, v95
	v_add_co_ci_u32_e64 v104, null, s7, v96, vcc_lo
	s_clause 0x1
	global_load_dwordx4 v[89:92], v[97:98], off
	global_load_dwordx4 v[93:96], v[97:98], off offset:16
	v_add_co_u32 v41, vcc_lo, v41, 16
	v_add_co_ci_u32_e64 v42, null, 0, v42, vcc_lo
	s_waitcnt vmcnt(1)
	v_fmac_f32_e32 v46, 0, v89
	v_fmac_f32_e32 v47, v65, v89
	;; [unrolled: 1-line block ×20, first 2 shown]
	s_waitcnt vmcnt(0)
	v_fmac_f32_e32 v46, 0, v93
	v_fmac_f32_e32 v47, v67, v93
	;; [unrolled: 1-line block ×16, first 2 shown]
	global_load_dwordx4 v[65:68], v[99:100], off
	v_fmac_f32_e32 v48, v64, v96
	global_load_dwordx4 v[61:64], v[99:100], off offset:16
	v_fmac_f32_e32 v36, v53, v89
	v_fmac_f32_e32 v51, 0, v89
	;; [unrolled: 1-line block ×16, first 2 shown]
	global_load_dwordx4 v[89:92], v[39:40], off offset:768
	v_fmac_f32_e32 v52, v60, v95
	v_fmac_f32_e32 v50, v60, v96
	s_clause 0x1
	global_load_dwordx4 v[57:60], v[101:102], off
	global_load_dwordx4 v[97:100], v[101:102], off offset:16
	v_fmac_f32_e32 v51, 0, v93
	v_fmac_f32_e32 v36, v55, v93
	;; [unrolled: 1-line block ×3, first 2 shown]
	v_add_co_u32 v39, vcc_lo, 0x400, v39
	v_fmac_f32_e32 v51, v55, v94
	v_fmac_f32_e32 v36, 0x80000000, v94
	v_add_co_ci_u32_e64 v40, null, 0, v40, vcc_lo
	v_add_co_u32 v43, vcc_lo, v43, 64
	v_fmac_f32_e32 v51, 0, v95
	v_fmac_f32_e32 v36, v56, v95
	v_add_co_ci_u32_e64 v44, null, 0, v44, vcc_lo
	v_cmp_ge_i64_e32 vcc_lo, v[41:42], v[31:32]
	v_fmac_f32_e32 v51, v56, v96
	global_load_dwordx4 v[53:56], v[103:104], off
	v_fmac_f32_e32 v36, 0x80000000, v96
	global_load_dwordx4 v[93:96], v[103:104], off offset:16
	s_or_b32 s8, vcc_lo, s8
	s_waitcnt vmcnt(6)
	v_fmac_f32_e32 v47, v81, v65
	v_fmac_f32_e32 v46, 0, v65
	v_fmac_f32_e32 v49, v77, v65
	v_fmac_f32_e32 v48, 0, v65
	v_fmac_f32_e32 v52, v73, v65
	v_fmac_f32_e32 v50, 0, v65
	v_fmac_f32_e32 v36, v69, v65
	v_fmac_f32_e32 v51, 0, v65
	v_fmac_f32_e32 v47, 0x80000000, v66
	v_fmac_f32_e32 v46, v81, v66
	v_fmac_f32_e32 v49, 0x80000000, v66
	v_fmac_f32_e32 v48, v77, v66
	v_fmac_f32_e32 v52, 0x80000000, v66
	v_fmac_f32_e32 v50, v73, v66
	v_fmac_f32_e32 v36, 0x80000000, v66
	v_fmac_f32_e32 v51, v69, v66
	v_fmac_f32_e32 v47, v82, v67
	v_fmac_f32_e32 v46, 0, v67
	v_fmac_f32_e32 v49, v78, v67
	v_fmac_f32_e32 v48, 0, v67
	v_fmac_f32_e32 v52, v74, v67
	v_fmac_f32_e32 v50, 0, v67
	v_fmac_f32_e32 v36, v70, v67
	v_fmac_f32_e32 v51, 0, v67
	v_fmac_f32_e32 v47, 0x80000000, v68
	v_fmac_f32_e32 v46, v82, v68
	v_fmac_f32_e32 v49, 0x80000000, v68
	v_fmac_f32_e32 v48, v78, v68
	v_fmac_f32_e32 v52, 0x80000000, v68
	v_fmac_f32_e32 v50, v74, v68
	v_fmac_f32_e32 v36, 0x80000000, v68
	v_fmac_f32_e32 v51, v70, v68
	s_waitcnt vmcnt(5)
	v_fmac_f32_e32 v46, 0, v61
	v_fmac_f32_e32 v47, v83, v61
	v_fmac_f32_e32 v48, 0, v61
	v_fmac_f32_e32 v49, v79, v61
	v_fmac_f32_e32 v50, 0, v61
	v_fmac_f32_e32 v52, v75, v61
	v_fmac_f32_e32 v51, 0, v61
	v_fmac_f32_e32 v36, v71, v61
	v_fmac_f32_e32 v46, v83, v62
	v_fmac_f32_e32 v47, 0x80000000, v62
	v_fmac_f32_e32 v48, v79, v62
	v_fmac_f32_e32 v49, 0x80000000, v62
	v_fmac_f32_e32 v50, v75, v62
	v_fmac_f32_e32 v52, 0x80000000, v62
	v_fmac_f32_e32 v51, v71, v62
	v_fmac_f32_e32 v36, 0x80000000, v62
	v_fmac_f32_e32 v46, 0, v63
	v_fmac_f32_e32 v47, v84, v63
	v_fmac_f32_e32 v48, 0, v63
	v_fmac_f32_e32 v49, v80, v63
	v_fmac_f32_e32 v50, 0, v63
	v_fmac_f32_e32 v52, v76, v63
	v_fmac_f32_e32 v51, 0, v63
	v_fmac_f32_e32 v36, v72, v63
	v_fmac_f32_e32 v46, v84, v64
	v_fmac_f32_e32 v48, v80, v64
	v_fmac_f32_e32 v50, v76, v64
	v_fmac_f32_e32 v47, 0x80000000, v64
	v_fmac_f32_e32 v51, v72, v64
	v_fmac_f32_e32 v49, 0x80000000, v64
	v_fmac_f32_e32 v52, 0x80000000, v64
	v_fmac_f32_e32 v36, 0x80000000, v64
	;; [unrolled: 33-line block ×6, first 2 shown]
	s_andn2_b32 exec_lo, exec_lo, s8
	s_cbranch_execnz .LBB125_19
; %bb.20:
	s_or_b32 exec_lo, exec_lo, s8
.LBB125_21:
	s_or_b32 exec_lo, exec_lo, s3
.LBB125_22:
	s_or_b32 exec_lo, exec_lo, s1
	s_cbranch_execz .LBB125_24
	s_branch .LBB125_35
.LBB125_23:
                                        ; implicit-def: $vgpr46
                                        ; implicit-def: $vgpr47
                                        ; implicit-def: $vgpr48
                                        ; implicit-def: $vgpr49
                                        ; implicit-def: $vgpr50
                                        ; implicit-def: $vgpr52
                                        ; implicit-def: $vgpr51
                                        ; implicit-def: $vgpr36
.LBB125_24:
	v_mov_b32_e32 v46, 0
	v_mov_b32_e32 v47, 0
	v_mov_b32_e32 v48, 0
	v_mov_b32_e32 v49, 0
	v_mov_b32_e32 v50, 0
	v_mov_b32_e32 v52, 0
	v_mov_b32_e32 v51, 0
	v_mov_b32_e32 v36, 0
	s_and_saveexec_b32 s1, s0
	s_cbranch_execz .LBB125_34
; %bb.25:
	v_or_b32_e32 v0, 4, v45
	v_not_b32_e32 v3, v37
	v_not_b32_e32 v2, v38
	v_mov_b32_e32 v36, 0
	v_sub_co_u32 v0, s0, v0, s2
	v_sub_co_ci_u32_e64 v1, null, 0, 0, s0
	v_sub_co_u32 v4, s0, s2, v45
	v_add_co_u32 v0, vcc_lo, v0, v37
	v_add_co_ci_u32_e64 v1, null, v1, v38, vcc_lo
	v_sub_co_ci_u32_e64 v5, null, 0, 0, s0
	v_add_co_u32 v3, s0, v4, v3
	v_cmp_gt_i64_e32 vcc_lo, v[0:1], v[31:32]
	v_add_co_ci_u32_e64 v2, null, v5, v2, s0
	v_mov_b32_e32 v51, v36
	v_mov_b32_e32 v52, v36
	;; [unrolled: 1-line block ×3, first 2 shown]
	v_cndmask_b32_e32 v0, v31, v0, vcc_lo
	v_cndmask_b32_e32 v1, v32, v1, vcc_lo
	v_mov_b32_e32 v49, v36
	v_mov_b32_e32 v48, v36
	;; [unrolled: 1-line block ×3, first 2 shown]
	v_add_co_u32 v0, vcc_lo, v3, v0
	v_add_co_ci_u32_e64 v1, null, v2, v1, vcc_lo
	v_mov_b32_e32 v46, v36
	v_and_b32_e32 v35, 12, v0
	s_mov_b32 s0, exec_lo
	v_cmpx_ne_u64_e32 12, v[35:36]
	s_cbranch_execz .LBB125_29
; %bb.26:
	v_lshrrev_b32_e32 v2, 2, v0
	v_mov_b32_e32 v46, 0
	v_mov_b32_e32 v47, 0
	;; [unrolled: 1-line block ×4, first 2 shown]
	v_add_nc_u32_e32 v4, 1, v2
	v_lshlrev_b64 v[2:3], 2, v[29:30]
	v_mov_b32_e32 v50, 0
	v_mov_b32_e32 v52, 0
	;; [unrolled: 1-line block ×3, first 2 shown]
	v_and_b32_e32 v4, 3, v4
	v_mov_b32_e32 v36, 0
	v_add_co_u32 v2, vcc_lo, s12, v2
	v_add_co_ci_u32_e64 v3, null, s13, v3, vcc_lo
	v_sub_co_u32 v4, s3, 0, v4
	v_sub_co_ci_u32_e64 v5, null, 0, 0, s3
	s_mov_b32 s3, 0
.LBB125_27:                             ; =>This Inner Loop Header: Depth=1
	global_load_dword v14, v[2:3], off
	s_clause 0x1
	global_load_dwordx4 v[6:9], v[33:34], off offset:16
	global_load_dwordx4 v[10:13], v[33:34], off
	s_waitcnt vmcnt(2)
	v_subrev_nc_u32_e32 v14, s2, v14
	v_lshlrev_b32_e32 v14, 2, v14
	v_ashrrev_i32_e32 v15, 31, v14
	v_lshlrev_b64 v[14:15], 3, v[14:15]
	v_add_co_u32 v18, vcc_lo, s6, v14
	v_add_co_ci_u32_e64 v19, null, s7, v15, vcc_lo
	s_clause 0x1
	global_load_dwordx4 v[14:17], v[18:19], off
	global_load_dwordx4 v[18:21], v[18:19], off offset:16
	s_clause 0x1
	global_load_dwordx4 v[37:40], v[33:34], off offset:32
	global_load_dwordx4 v[41:44], v[33:34], off offset:48
	v_add_co_u32 v33, vcc_lo, 0x100, v33
	v_add_co_ci_u32_e64 v34, null, 0, v34, vcc_lo
	v_add_co_u32 v29, vcc_lo, v29, 4
	v_add_co_ci_u32_e64 v30, null, 0, v30, vcc_lo
	;; [unrolled: 2-line block ×4, first 2 shown]
	v_cmp_eq_u64_e32 vcc_lo, 0, v[4:5]
	s_or_b32 s3, vcc_lo, s3
	s_waitcnt vmcnt(3)
	v_fmac_f32_e32 v47, v10, v14
	v_fmac_f32_e32 v46, 0, v14
	;; [unrolled: 1-line block ×32, first 2 shown]
	s_waitcnt vmcnt(1)
	v_fmac_f32_e32 v47, v37, v18
	v_fmac_f32_e32 v46, 0, v18
	;; [unrolled: 1-line block ×16, first 2 shown]
	s_waitcnt vmcnt(0)
	v_fmac_f32_e32 v47, v41, v20
	v_fmac_f32_e32 v46, 0, v20
	;; [unrolled: 1-line block ×16, first 2 shown]
	s_andn2_b32 exec_lo, exec_lo, s3
	s_cbranch_execnz .LBB125_27
; %bb.28:
	s_or_b32 exec_lo, exec_lo, s3
.LBB125_29:
	s_or_b32 exec_lo, exec_lo, s0
	s_mov_b32 s0, exec_lo
	v_cmpx_lt_u64_e32 11, v[0:1]
	s_cbranch_execz .LBB125_33
; %bb.30:
	v_lshlrev_b64 v[0:1], 2, v[29:30]
	s_mov_b32 s3, 0
	v_add_co_u32 v0, vcc_lo, s12, v0
	v_add_co_ci_u32_e64 v1, null, s13, v1, vcc_lo
	v_add_co_u32 v8, vcc_lo, v0, 32
	v_add_co_ci_u32_e64 v9, null, 0, v1, vcc_lo
.LBB125_31:                             ; =>This Inner Loop Header: Depth=1
	s_clause 0x3
	global_load_dword v10, v[8:9], off offset:-32
	global_load_dword v23, v[8:9], off offset:-16
	global_load_dword v35, v[8:9], off
	global_load_dword v69, v[8:9], off offset:16
	s_clause 0xa
	global_load_dwordx4 v[11:14], v[33:34], off offset:48
	global_load_dwordx4 v[15:18], v[33:34], off offset:32
	;; [unrolled: 1-line block ×3, first 2 shown]
	global_load_dwordx4 v[37:40], v[33:34], off
	global_load_dwordx4 v[41:44], v[33:34], off offset:304
	global_load_dwordx4 v[53:56], v[33:34], off offset:288
	;; [unrolled: 1-line block ×7, first 2 shown]
	s_waitcnt vmcnt(14)
	v_subrev_nc_u32_e32 v10, s2, v10
	s_waitcnt vmcnt(13)
	v_subrev_nc_u32_e32 v23, s2, v23
	;; [unrolled: 2-line block ×4, first 2 shown]
	v_lshlrev_b32_e32 v69, 2, v10
	v_lshlrev_b32_e32 v71, 2, v23
	;; [unrolled: 1-line block ×4, first 2 shown]
	v_ashrrev_i32_e32 v70, 31, v69
	v_ashrrev_i32_e32 v72, 31, v71
	;; [unrolled: 1-line block ×4, first 2 shown]
	v_lshlrev_b64 v[69:70], 3, v[69:70]
	v_lshlrev_b64 v[71:72], 3, v[71:72]
	;; [unrolled: 1-line block ×4, first 2 shown]
	v_add_co_u32 v77, vcc_lo, s6, v69
	v_add_co_ci_u32_e64 v78, null, s7, v70, vcc_lo
	v_add_co_u32 v79, vcc_lo, s6, v71
	v_add_co_ci_u32_e64 v80, null, s7, v72, vcc_lo
	;; [unrolled: 2-line block ×4, first 2 shown]
	s_clause 0x1
	global_load_dwordx4 v[69:72], v[77:78], off
	global_load_dwordx4 v[73:76], v[77:78], off offset:16
	s_waitcnt vmcnt(1)
	v_fmac_f32_e32 v46, 0, v69
	v_fmac_f32_e32 v48, 0, v69
	;; [unrolled: 1-line block ×24, first 2 shown]
	s_waitcnt vmcnt(0)
	v_fmac_f32_e32 v46, 0, v73
	v_fmac_f32_e32 v48, 0, v73
	;; [unrolled: 1-line block ×21, first 2 shown]
	global_load_dwordx4 v[10:13], v[79:80], off
	v_fmac_f32_e32 v51, 0, v69
	v_fmac_f32_e32 v36, v40, v69
	;; [unrolled: 1-line block ×7, first 2 shown]
	global_load_dwordx4 v[37:40], v[33:34], off offset:512
	v_fmac_f32_e32 v51, 0, v71
	v_fmac_f32_e32 v36, v22, v71
	;; [unrolled: 1-line block ×4, first 2 shown]
	s_clause 0x1
	global_load_dwordx4 v[19:22], v[33:34], off offset:784
	global_load_dwordx4 v[69:72], v[33:34], off offset:768
	v_fmac_f32_e32 v51, 0, v73
	v_fmac_f32_e32 v36, v18, v73
	;; [unrolled: 1-line block ×4, first 2 shown]
	global_load_dwordx4 v[15:18], v[33:34], off offset:800
	v_fmac_f32_e32 v51, 0, v75
	v_fmac_f32_e32 v36, v14, v75
	;; [unrolled: 1-line block ×4, first 2 shown]
	global_load_dwordx4 v[73:76], v[79:80], off offset:16
	s_waitcnt vmcnt(5)
	v_fmac_f32_e32 v46, 0, v10
	v_fmac_f32_e32 v48, 0, v10
	;; [unrolled: 1-line block ×12, first 2 shown]
	s_clause 0x1
	global_load_dwordx4 v[61:64], v[81:82], off
	global_load_dwordx4 v[77:80], v[81:82], off offset:16
	v_fmac_f32_e32 v47, 0x80000000, v11
	v_fmac_f32_e32 v49, 0x80000000, v11
	v_fmac_f32_e32 v52, 0x80000000, v11
	v_fmac_f32_e32 v36, 0x80000000, v11
	v_fmac_f32_e32 v46, 0, v12
	v_fmac_f32_e32 v48, 0, v12
	v_fmac_f32_e32 v50, 0, v12
	v_fmac_f32_e32 v51, 0, v12
	v_fmac_f32_e32 v47, v57, v12
	v_fmac_f32_e32 v49, v58, v12
	v_fmac_f32_e32 v52, v59, v12
	v_fmac_f32_e32 v36, v60, v12
	v_fmac_f32_e32 v46, v57, v13
	v_fmac_f32_e32 v48, v58, v13
	v_fmac_f32_e32 v50, v59, v13
	v_fmac_f32_e32 v51, v60, v13
	global_load_dwordx4 v[57:60], v[83:84], off
	v_fmac_f32_e32 v47, 0x80000000, v13
	v_fmac_f32_e32 v49, 0x80000000, v13
	;; [unrolled: 1-line block ×4, first 2 shown]
	global_load_dwordx4 v[10:13], v[83:84], off offset:16
	s_waitcnt vmcnt(4)
	v_fmac_f32_e32 v46, 0, v73
	v_fmac_f32_e32 v48, 0, v73
	;; [unrolled: 1-line block ×12, first 2 shown]
	global_load_dwordx4 v[53:56], v[33:34], off offset:816
	v_fmac_f32_e32 v47, 0x80000000, v74
	v_fmac_f32_e32 v49, 0x80000000, v74
	;; [unrolled: 1-line block ×20, first 2 shown]
	v_add_co_u32 v33, vcc_lo, 0x400, v33
	v_add_co_ci_u32_e64 v34, null, 0, v34, vcc_lo
	v_add_co_u32 v29, vcc_lo, v29, 16
	v_add_co_ci_u32_e64 v30, null, 0, v30, vcc_lo
	;; [unrolled: 2-line block ×3, first 2 shown]
	v_cmp_ge_i64_e32 vcc_lo, v[29:30], v[31:32]
	s_or_b32 s3, vcc_lo, s3
	s_waitcnt vmcnt(4)
	v_fmac_f32_e32 v47, v37, v61
	v_fmac_f32_e32 v46, 0, v61
	v_fmac_f32_e32 v49, v38, v61
	v_fmac_f32_e32 v48, 0, v61
	v_fmac_f32_e32 v52, v39, v61
	v_fmac_f32_e32 v50, 0, v61
	v_fmac_f32_e32 v51, 0, v61
	v_fmac_f32_e32 v36, v40, v61
	v_fmac_f32_e32 v46, v37, v62
	v_fmac_f32_e32 v48, v38, v62
	v_fmac_f32_e32 v50, v39, v62
	v_fmac_f32_e32 v47, 0x80000000, v62
	v_fmac_f32_e32 v51, v40, v62
	v_fmac_f32_e32 v49, 0x80000000, v62
	v_fmac_f32_e32 v52, 0x80000000, v62
	v_fmac_f32_e32 v36, 0x80000000, v62
	v_fmac_f32_e32 v47, v65, v63
	v_fmac_f32_e32 v46, 0, v63
	v_fmac_f32_e32 v49, v66, v63
	v_fmac_f32_e32 v48, 0, v63
	v_fmac_f32_e32 v52, v67, v63
	v_fmac_f32_e32 v50, 0, v63
	v_fmac_f32_e32 v51, 0, v63
	v_fmac_f32_e32 v36, v68, v63
	v_fmac_f32_e32 v46, v65, v64
	v_fmac_f32_e32 v48, v66, v64
	v_fmac_f32_e32 v50, v67, v64
	v_fmac_f32_e32 v47, 0x80000000, v64
	v_fmac_f32_e32 v51, v68, v64
	v_fmac_f32_e32 v49, 0x80000000, v64
	v_fmac_f32_e32 v52, 0x80000000, v64
	v_fmac_f32_e32 v36, 0x80000000, v64
	s_waitcnt vmcnt(3)
	v_fmac_f32_e32 v47, v4, v77
	v_fmac_f32_e32 v46, 0, v77
	v_fmac_f32_e32 v49, v5, v77
	v_fmac_f32_e32 v48, 0, v77
	v_fmac_f32_e32 v52, v6, v77
	v_fmac_f32_e32 v50, 0, v77
	v_fmac_f32_e32 v36, v7, v77
	v_fmac_f32_e32 v51, 0, v77
	v_fmac_f32_e32 v47, 0x80000000, v78
	v_fmac_f32_e32 v46, v4, v78
	v_fmac_f32_e32 v49, 0x80000000, v78
	v_fmac_f32_e32 v48, v5, v78
	v_fmac_f32_e32 v52, 0x80000000, v78
	v_fmac_f32_e32 v50, v6, v78
	v_fmac_f32_e32 v36, 0x80000000, v78
	v_fmac_f32_e32 v51, v7, v78
	v_fmac_f32_e32 v47, v0, v79
	v_fmac_f32_e32 v46, 0, v79
	v_fmac_f32_e32 v49, v1, v79
	v_fmac_f32_e32 v48, 0, v79
	v_fmac_f32_e32 v52, v2, v79
	v_fmac_f32_e32 v50, 0, v79
	v_fmac_f32_e32 v36, v3, v79
	v_fmac_f32_e32 v51, 0, v79
	v_fmac_f32_e32 v47, 0x80000000, v80
	v_fmac_f32_e32 v46, v0, v80
	v_fmac_f32_e32 v49, 0x80000000, v80
	v_fmac_f32_e32 v48, v1, v80
	v_fmac_f32_e32 v52, 0x80000000, v80
	v_fmac_f32_e32 v50, v2, v80
	v_fmac_f32_e32 v36, 0x80000000, v80
	v_fmac_f32_e32 v51, v3, v80
	;; [unrolled: 33-line block ×3, first 2 shown]
	s_waitcnt vmcnt(1)
	v_fmac_f32_e32 v47, v15, v10
	v_fmac_f32_e32 v46, 0, v10
	;; [unrolled: 1-line block ×16, first 2 shown]
	s_waitcnt vmcnt(0)
	v_fmac_f32_e32 v47, v53, v12
	v_fmac_f32_e32 v46, 0, v12
	;; [unrolled: 1-line block ×16, first 2 shown]
	s_andn2_b32 exec_lo, exec_lo, s3
	s_cbranch_execnz .LBB125_31
; %bb.32:
	s_or_b32 exec_lo, exec_lo, s3
.LBB125_33:
	s_or_b32 exec_lo, exec_lo, s0
.LBB125_34:
	s_or_b32 exec_lo, exec_lo, s1
.LBB125_35:
	v_mbcnt_lo_u32_b32 v0, -1, 0
	v_xor_b32_e32 v1, 2, v0
	v_cmp_gt_i32_e32 vcc_lo, 32, v1
	v_cndmask_b32_e32 v1, v0, v1, vcc_lo
	v_lshlrev_b32_e32 v1, 2, v1
	ds_bpermute_b32 v2, v1, v47
	ds_bpermute_b32 v3, v1, v46
	;; [unrolled: 1-line block ×8, first 2 shown]
	v_xor_b32_e32 v1, 1, v0
	v_cmp_gt_i32_e32 vcc_lo, 32, v1
	v_cndmask_b32_e32 v0, v0, v1, vcc_lo
	v_cmp_eq_u32_e32 vcc_lo, 3, v45
	s_waitcnt lgkmcnt(6)
	v_add_f32_e32 v1, v46, v3
	v_lshlrev_b32_e32 v15, 2, v0
	v_add_f32_e32 v0, v47, v2
	s_waitcnt lgkmcnt(5)
	v_add_f32_e32 v2, v49, v4
	s_waitcnt lgkmcnt(4)
	;; [unrolled: 2-line block ×6, first 2 shown]
	v_add_f32_e32 v7, v51, v9
	ds_bpermute_b32 v8, v15, v0
	ds_bpermute_b32 v9, v15, v1
	ds_bpermute_b32 v10, v15, v2
	ds_bpermute_b32 v11, v15, v3
	ds_bpermute_b32 v12, v15, v4
	ds_bpermute_b32 v13, v15, v5
	ds_bpermute_b32 v14, v15, v6
	ds_bpermute_b32 v15, v15, v7
	s_and_b32 exec_lo, exec_lo, vcc_lo
	s_cbranch_execz .LBB125_8
; %bb.36:
	s_load_dwordx2 s[2:3], s[4:5], 0x50
	s_waitcnt lgkmcnt(0)
	v_add_f32_e32 v8, v0, v8
	v_add_f32_e32 v0, v1, v9
	;; [unrolled: 1-line block ×8, first 2 shown]
	v_mul_f32_e64 v4, v0, -v27
	v_mul_f32_e32 v5, v26, v0
	v_mul_f32_e64 v6, v1, -v27
	v_mul_f32_e32 v7, v26, v1
	;; [unrolled: 2-line block ×4, first 2 shown]
	v_cmp_eq_f32_e32 vcc_lo, 0, v24
	v_cmp_eq_f32_e64 s0, 0, v25
	v_fmac_f32_e32 v4, v26, v8
	v_fmac_f32_e32 v5, v27, v8
	v_lshlrev_b32_e32 v8, 2, v28
	v_fmac_f32_e32 v6, v26, v9
	v_fmac_f32_e32 v7, v27, v9
	;; [unrolled: 1-line block ×6, first 2 shown]
	s_and_b32 s0, vcc_lo, s0
	s_and_saveexec_b32 s1, s0
	s_xor_b32 s0, exec_lo, s1
	s_cbranch_execz .LBB125_38
; %bb.37:
	v_ashrrev_i32_e32 v9, 31, v8
                                        ; implicit-def: $vgpr24_vgpr25
	v_lshlrev_b64 v[8:9], 3, v[8:9]
	v_add_co_u32 v8, vcc_lo, s2, v8
	v_add_co_ci_u32_e64 v9, null, s3, v9, vcc_lo
	global_store_dwordx4 v[8:9], v[4:7], off
	global_store_dwordx4 v[8:9], v[0:3], off offset:16
                                        ; implicit-def: $vgpr4
                                        ; implicit-def: $vgpr8
                                        ; implicit-def: $vgpr0
.LBB125_38:
	s_andn2_saveexec_b32 s0, s0
	s_cbranch_execz .LBB125_8
; %bb.39:
	v_ashrrev_i32_e32 v9, 31, v8
	v_lshlrev_b64 v[8:9], 3, v[8:9]
	v_add_co_u32 v16, vcc_lo, s2, v8
	v_add_co_ci_u32_e64 v17, null, s3, v9, vcc_lo
	s_clause 0x1
	global_load_dwordx4 v[8:11], v[16:17], off
	global_load_dwordx4 v[12:15], v[16:17], off offset:16
	s_waitcnt vmcnt(1)
	v_fmac_f32_e32 v4, v24, v8
	v_fmac_f32_e32 v5, v25, v8
	;; [unrolled: 1-line block ×4, first 2 shown]
	s_waitcnt vmcnt(0)
	v_fmac_f32_e32 v0, v24, v12
	v_fmac_f32_e32 v1, v25, v12
	;; [unrolled: 1-line block ×4, first 2 shown]
	v_fma_f32 v4, -v25, v9, v4
	v_fmac_f32_e32 v5, v24, v9
	v_fma_f32 v6, -v25, v11, v6
	v_fmac_f32_e32 v7, v24, v11
	;; [unrolled: 2-line block ×4, first 2 shown]
	global_store_dwordx4 v[16:17], v[4:7], off
	global_store_dwordx4 v[16:17], v[0:3], off offset:16
	s_endpgm
	.section	.rodata,"a",@progbits
	.p2align	6, 0x0
	.amdhsa_kernel _ZN9rocsparseL18bsrxmvn_4x4_kernelILj128ELj4E21rocsparse_complex_numIfElifS2_S2_EEvT3_20rocsparse_direction_NS_24const_host_device_scalarIT1_EES3_PKS3_PKT2_SC_S9_PKT4_PKT5_S7_PT6_21rocsparse_index_base_b
		.amdhsa_group_segment_fixed_size 0
		.amdhsa_private_segment_fixed_size 0
		.amdhsa_kernarg_size 96
		.amdhsa_user_sgpr_count 6
		.amdhsa_user_sgpr_private_segment_buffer 1
		.amdhsa_user_sgpr_dispatch_ptr 0
		.amdhsa_user_sgpr_queue_ptr 0
		.amdhsa_user_sgpr_kernarg_segment_ptr 1
		.amdhsa_user_sgpr_dispatch_id 0
		.amdhsa_user_sgpr_flat_scratch_init 0
		.amdhsa_user_sgpr_private_segment_size 0
		.amdhsa_wavefront_size32 1
		.amdhsa_uses_dynamic_stack 0
		.amdhsa_system_sgpr_private_segment_wavefront_offset 0
		.amdhsa_system_sgpr_workgroup_id_x 1
		.amdhsa_system_sgpr_workgroup_id_y 0
		.amdhsa_system_sgpr_workgroup_id_z 0
		.amdhsa_system_sgpr_workgroup_info 0
		.amdhsa_system_vgpr_workitem_id 0
		.amdhsa_next_free_vgpr 105
		.amdhsa_next_free_sgpr 16
		.amdhsa_reserve_vcc 1
		.amdhsa_reserve_flat_scratch 0
		.amdhsa_float_round_mode_32 0
		.amdhsa_float_round_mode_16_64 0
		.amdhsa_float_denorm_mode_32 3
		.amdhsa_float_denorm_mode_16_64 3
		.amdhsa_dx10_clamp 1
		.amdhsa_ieee_mode 1
		.amdhsa_fp16_overflow 0
		.amdhsa_workgroup_processor_mode 1
		.amdhsa_memory_ordered 1
		.amdhsa_forward_progress 1
		.amdhsa_shared_vgpr_count 0
		.amdhsa_exception_fp_ieee_invalid_op 0
		.amdhsa_exception_fp_denorm_src 0
		.amdhsa_exception_fp_ieee_div_zero 0
		.amdhsa_exception_fp_ieee_overflow 0
		.amdhsa_exception_fp_ieee_underflow 0
		.amdhsa_exception_fp_ieee_inexact 0
		.amdhsa_exception_int_div_zero 0
	.end_amdhsa_kernel
	.section	.text._ZN9rocsparseL18bsrxmvn_4x4_kernelILj128ELj4E21rocsparse_complex_numIfElifS2_S2_EEvT3_20rocsparse_direction_NS_24const_host_device_scalarIT1_EES3_PKS3_PKT2_SC_S9_PKT4_PKT5_S7_PT6_21rocsparse_index_base_b,"axG",@progbits,_ZN9rocsparseL18bsrxmvn_4x4_kernelILj128ELj4E21rocsparse_complex_numIfElifS2_S2_EEvT3_20rocsparse_direction_NS_24const_host_device_scalarIT1_EES3_PKS3_PKT2_SC_S9_PKT4_PKT5_S7_PT6_21rocsparse_index_base_b,comdat
.Lfunc_end125:
	.size	_ZN9rocsparseL18bsrxmvn_4x4_kernelILj128ELj4E21rocsparse_complex_numIfElifS2_S2_EEvT3_20rocsparse_direction_NS_24const_host_device_scalarIT1_EES3_PKS3_PKT2_SC_S9_PKT4_PKT5_S7_PT6_21rocsparse_index_base_b, .Lfunc_end125-_ZN9rocsparseL18bsrxmvn_4x4_kernelILj128ELj4E21rocsparse_complex_numIfElifS2_S2_EEvT3_20rocsparse_direction_NS_24const_host_device_scalarIT1_EES3_PKS3_PKT2_SC_S9_PKT4_PKT5_S7_PT6_21rocsparse_index_base_b
                                        ; -- End function
	.set _ZN9rocsparseL18bsrxmvn_4x4_kernelILj128ELj4E21rocsparse_complex_numIfElifS2_S2_EEvT3_20rocsparse_direction_NS_24const_host_device_scalarIT1_EES3_PKS3_PKT2_SC_S9_PKT4_PKT5_S7_PT6_21rocsparse_index_base_b.num_vgpr, 105
	.set _ZN9rocsparseL18bsrxmvn_4x4_kernelILj128ELj4E21rocsparse_complex_numIfElifS2_S2_EEvT3_20rocsparse_direction_NS_24const_host_device_scalarIT1_EES3_PKS3_PKT2_SC_S9_PKT4_PKT5_S7_PT6_21rocsparse_index_base_b.num_agpr, 0
	.set _ZN9rocsparseL18bsrxmvn_4x4_kernelILj128ELj4E21rocsparse_complex_numIfElifS2_S2_EEvT3_20rocsparse_direction_NS_24const_host_device_scalarIT1_EES3_PKS3_PKT2_SC_S9_PKT4_PKT5_S7_PT6_21rocsparse_index_base_b.numbered_sgpr, 16
	.set _ZN9rocsparseL18bsrxmvn_4x4_kernelILj128ELj4E21rocsparse_complex_numIfElifS2_S2_EEvT3_20rocsparse_direction_NS_24const_host_device_scalarIT1_EES3_PKS3_PKT2_SC_S9_PKT4_PKT5_S7_PT6_21rocsparse_index_base_b.num_named_barrier, 0
	.set _ZN9rocsparseL18bsrxmvn_4x4_kernelILj128ELj4E21rocsparse_complex_numIfElifS2_S2_EEvT3_20rocsparse_direction_NS_24const_host_device_scalarIT1_EES3_PKS3_PKT2_SC_S9_PKT4_PKT5_S7_PT6_21rocsparse_index_base_b.private_seg_size, 0
	.set _ZN9rocsparseL18bsrxmvn_4x4_kernelILj128ELj4E21rocsparse_complex_numIfElifS2_S2_EEvT3_20rocsparse_direction_NS_24const_host_device_scalarIT1_EES3_PKS3_PKT2_SC_S9_PKT4_PKT5_S7_PT6_21rocsparse_index_base_b.uses_vcc, 1
	.set _ZN9rocsparseL18bsrxmvn_4x4_kernelILj128ELj4E21rocsparse_complex_numIfElifS2_S2_EEvT3_20rocsparse_direction_NS_24const_host_device_scalarIT1_EES3_PKS3_PKT2_SC_S9_PKT4_PKT5_S7_PT6_21rocsparse_index_base_b.uses_flat_scratch, 0
	.set _ZN9rocsparseL18bsrxmvn_4x4_kernelILj128ELj4E21rocsparse_complex_numIfElifS2_S2_EEvT3_20rocsparse_direction_NS_24const_host_device_scalarIT1_EES3_PKS3_PKT2_SC_S9_PKT4_PKT5_S7_PT6_21rocsparse_index_base_b.has_dyn_sized_stack, 0
	.set _ZN9rocsparseL18bsrxmvn_4x4_kernelILj128ELj4E21rocsparse_complex_numIfElifS2_S2_EEvT3_20rocsparse_direction_NS_24const_host_device_scalarIT1_EES3_PKS3_PKT2_SC_S9_PKT4_PKT5_S7_PT6_21rocsparse_index_base_b.has_recursion, 0
	.set _ZN9rocsparseL18bsrxmvn_4x4_kernelILj128ELj4E21rocsparse_complex_numIfElifS2_S2_EEvT3_20rocsparse_direction_NS_24const_host_device_scalarIT1_EES3_PKS3_PKT2_SC_S9_PKT4_PKT5_S7_PT6_21rocsparse_index_base_b.has_indirect_call, 0
	.section	.AMDGPU.csdata,"",@progbits
; Kernel info:
; codeLenInByte = 6536
; TotalNumSgprs: 18
; NumVgprs: 105
; ScratchSize: 0
; MemoryBound: 0
; FloatMode: 240
; IeeeMode: 1
; LDSByteSize: 0 bytes/workgroup (compile time only)
; SGPRBlocks: 0
; VGPRBlocks: 13
; NumSGPRsForWavesPerEU: 18
; NumVGPRsForWavesPerEU: 105
; Occupancy: 9
; WaveLimiterHint : 1
; COMPUTE_PGM_RSRC2:SCRATCH_EN: 0
; COMPUTE_PGM_RSRC2:USER_SGPR: 6
; COMPUTE_PGM_RSRC2:TRAP_HANDLER: 0
; COMPUTE_PGM_RSRC2:TGID_X_EN: 1
; COMPUTE_PGM_RSRC2:TGID_Y_EN: 0
; COMPUTE_PGM_RSRC2:TGID_Z_EN: 0
; COMPUTE_PGM_RSRC2:TIDIG_COMP_CNT: 0
	.section	.text._ZN9rocsparseL18bsrxmvn_4x4_kernelILj128ELj8E21rocsparse_complex_numIfElifS2_S2_EEvT3_20rocsparse_direction_NS_24const_host_device_scalarIT1_EES3_PKS3_PKT2_SC_S9_PKT4_PKT5_S7_PT6_21rocsparse_index_base_b,"axG",@progbits,_ZN9rocsparseL18bsrxmvn_4x4_kernelILj128ELj8E21rocsparse_complex_numIfElifS2_S2_EEvT3_20rocsparse_direction_NS_24const_host_device_scalarIT1_EES3_PKS3_PKT2_SC_S9_PKT4_PKT5_S7_PT6_21rocsparse_index_base_b,comdat
	.globl	_ZN9rocsparseL18bsrxmvn_4x4_kernelILj128ELj8E21rocsparse_complex_numIfElifS2_S2_EEvT3_20rocsparse_direction_NS_24const_host_device_scalarIT1_EES3_PKS3_PKT2_SC_S9_PKT4_PKT5_S7_PT6_21rocsparse_index_base_b ; -- Begin function _ZN9rocsparseL18bsrxmvn_4x4_kernelILj128ELj8E21rocsparse_complex_numIfElifS2_S2_EEvT3_20rocsparse_direction_NS_24const_host_device_scalarIT1_EES3_PKS3_PKT2_SC_S9_PKT4_PKT5_S7_PT6_21rocsparse_index_base_b
	.p2align	8
	.type	_ZN9rocsparseL18bsrxmvn_4x4_kernelILj128ELj8E21rocsparse_complex_numIfElifS2_S2_EEvT3_20rocsparse_direction_NS_24const_host_device_scalarIT1_EES3_PKS3_PKT2_SC_S9_PKT4_PKT5_S7_PT6_21rocsparse_index_base_b,@function
_ZN9rocsparseL18bsrxmvn_4x4_kernelILj128ELj8E21rocsparse_complex_numIfElifS2_S2_EEvT3_20rocsparse_direction_NS_24const_host_device_scalarIT1_EES3_PKS3_PKT2_SC_S9_PKT4_PKT5_S7_PT6_21rocsparse_index_base_b: ; @_ZN9rocsparseL18bsrxmvn_4x4_kernelILj128ELj8E21rocsparse_complex_numIfElifS2_S2_EEvT3_20rocsparse_direction_NS_24const_host_device_scalarIT1_EES3_PKS3_PKT2_SC_S9_PKT4_PKT5_S7_PT6_21rocsparse_index_base_b
; %bb.0:
	s_clause 0x2
	s_load_dwordx2 s[2:3], s[4:5], 0x58
	s_load_dwordx2 s[0:1], s[4:5], 0x8
	;; [unrolled: 1-line block ×3, first 2 shown]
	s_add_u32 s7, s4, 8
	s_addc_u32 s10, s5, 0
	s_add_u32 s11, s4, 0x48
	s_addc_u32 s12, s5, 0
	s_waitcnt lgkmcnt(0)
	s_bitcmp1_b32 s3, 0
	s_cselect_b32 s0, s7, s0
	s_cselect_b32 s1, s10, s1
	v_mov_b32_e32 v1, s0
	v_mov_b32_e32 v2, s1
	s_cselect_b32 s0, s11, s8
	s_cselect_b32 s1, s12, s9
	flat_load_dwordx2 v[26:27], v[1:2]
	v_mov_b32_e32 v1, s0
	v_mov_b32_e32 v2, s1
	flat_load_dwordx2 v[24:25], v[1:2]
	s_waitcnt vmcnt(1) lgkmcnt(1)
	v_cmp_eq_f32_e32 vcc_lo, 0, v26
	v_cmp_eq_f32_e64 s0, 0, v27
	s_and_b32 s3, vcc_lo, s0
	s_mov_b32 s0, -1
	s_and_saveexec_b32 s1, s3
	s_cbranch_execz .LBB126_2
; %bb.1:
	s_waitcnt vmcnt(0) lgkmcnt(0)
	v_cmp_neq_f32_e32 vcc_lo, 1.0, v24
	v_cmp_neq_f32_e64 s0, 0, v25
	s_or_b32 s0, vcc_lo, s0
	s_orn2_b32 s0, s0, exec_lo
.LBB126_2:
	s_or_b32 exec_lo, exec_lo, s1
	s_and_saveexec_b32 s1, s0
	s_cbranch_execz .LBB126_8
; %bb.3:
	s_clause 0x1
	s_load_dwordx2 s[8:9], s[4:5], 0x18
	s_load_dwordx2 s[0:1], s[4:5], 0x0
	v_lshrrev_b32_e32 v1, 3, v0
	v_lshl_or_b32 v28, s6, 4, v1
	s_waitcnt lgkmcnt(0)
	s_cmp_lg_u64 s[8:9], 0
	s_cbranch_scc0 .LBB126_9
; %bb.4:
	s_load_dword s3, s[4:5], 0x10
	s_mov_b32 s6, 0
                                        ; implicit-def: $vgpr1
	s_waitcnt lgkmcnt(0)
	v_cmp_gt_i32_e32 vcc_lo, s3, v28
	s_mov_b32 s3, 0
	s_and_saveexec_b32 s7, vcc_lo
	s_xor_b32 s7, exec_lo, s7
	s_cbranch_execz .LBB126_6
; %bb.5:
	v_ashrrev_i32_e32 v29, 31, v28
	s_mov_b32 s3, exec_lo
	v_lshlrev_b64 v[1:2], 2, v[28:29]
	v_add_co_u32 v1, vcc_lo, s8, v1
	v_add_co_ci_u32_e64 v2, null, s9, v2, vcc_lo
	global_load_dword v1, v[1:2], off
	s_waitcnt vmcnt(0)
	v_subrev_nc_u32_e32 v1, s2, v1
.LBB126_6:
	s_or_b32 exec_lo, exec_lo, s7
	s_and_b32 vcc_lo, exec_lo, s6
	s_cbranch_vccz .LBB126_10
.LBB126_7:
	v_cmp_gt_i32_e32 vcc_lo, s0, v28
	s_andn2_b32 s0, s3, exec_lo
	s_and_b32 s3, vcc_lo, exec_lo
	s_or_b32 s3, s0, s3
	s_and_b32 exec_lo, exec_lo, s3
	s_cbranch_execnz .LBB126_11
.LBB126_8:
	s_endpgm
.LBB126_9:
	s_mov_b32 s3, 0
                                        ; implicit-def: $vgpr1
	s_cbranch_execnz .LBB126_7
.LBB126_10:
	v_mov_b32_e32 v28, v1
	s_and_b32 exec_lo, exec_lo, s3
	s_cbranch_execz .LBB126_8
.LBB126_11:
	s_load_dwordx8 s[8:15], s[4:5], 0x20
	v_ashrrev_i32_e32 v29, 31, v28
	v_and_b32_e32 v45, 7, v0
	s_load_dwordx2 s[6:7], s[4:5], 0x40
	v_mov_b32_e32 v46, 0
	v_lshlrev_b64 v[1:2], 3, v[28:29]
	s_waitcnt lgkmcnt(0)
	v_add_co_u32 v3, vcc_lo, s8, v1
	v_add_co_ci_u32_e64 v4, null, s9, v2, vcc_lo
	v_add_co_u32 v1, vcc_lo, s10, v1
	v_add_co_ci_u32_e64 v2, null, s11, v2, vcc_lo
	v_add_co_u32 v5, vcc_lo, v3, 8
	global_load_dwordx2 v[37:38], v[3:4], off
	v_add_co_ci_u32_e64 v6, null, 0, v4, vcc_lo
	s_cmp_eq_u64 s[10:11], 0
	s_cselect_b32 vcc_lo, -1, 0
	s_cmp_eq_u32 s1, 1
	v_cndmask_b32_e32 v2, v2, v6, vcc_lo
	v_cndmask_b32_e32 v1, v1, v5, vcc_lo
	global_load_dwordx2 v[1:2], v[1:2], off
	s_waitcnt vmcnt(1)
	v_sub_co_u32 v0, vcc_lo, v37, s2
	v_subrev_co_ci_u32_e64 v3, null, 0, v38, vcc_lo
	v_add_co_u32 v29, vcc_lo, v0, v45
	v_add_co_ci_u32_e64 v30, null, 0, v3, vcc_lo
	s_waitcnt vmcnt(0)
	v_sub_co_u32 v31, vcc_lo, v1, s2
	v_lshlrev_b64 v[0:1], 6, v[29:30]
	v_subrev_co_ci_u32_e64 v32, null, 0, v2, vcc_lo
	v_add_co_u32 v33, vcc_lo, s14, v0
	v_cmp_lt_i64_e64 s0, v[29:30], v[31:32]
	v_add_co_ci_u32_e64 v34, null, s15, v1, vcc_lo
	s_cbranch_scc1 .LBB126_23
; %bb.12:
	v_mov_b32_e32 v47, 0
	v_mov_b32_e32 v48, 0
	;; [unrolled: 1-line block ×7, first 2 shown]
	s_and_saveexec_b32 s1, s0
	s_cbranch_execz .LBB126_22
; %bb.13:
	v_or_b32_e32 v0, 8, v45
	v_not_b32_e32 v3, v37
	v_not_b32_e32 v2, v38
	v_mov_b32_e32 v36, 0
	v_mov_b32_e32 v40, v34
	v_sub_co_u32 v0, s3, v0, s2
	v_sub_co_ci_u32_e64 v1, null, 0, 0, s3
	v_sub_co_u32 v4, s3, s2, v45
	v_add_co_u32 v0, vcc_lo, v0, v37
	v_add_co_ci_u32_e64 v1, null, v1, v38, vcc_lo
	v_sub_co_ci_u32_e64 v5, null, 0, 0, s3
	v_mov_b32_e32 v42, v30
	v_cmp_gt_i64_e32 vcc_lo, v[0:1], v[31:32]
	v_mov_b32_e32 v51, v36
	v_mov_b32_e32 v52, v36
	;; [unrolled: 1-line block ×5, first 2 shown]
	v_cndmask_b32_e32 v1, v32, v1, vcc_lo
	v_cndmask_b32_e32 v0, v31, v0, vcc_lo
	v_add_co_u32 v3, vcc_lo, v4, v3
	v_add_co_ci_u32_e64 v2, null, v5, v2, vcc_lo
	v_mov_b32_e32 v47, v36
	v_add_co_u32 v0, vcc_lo, v3, v0
	v_add_co_ci_u32_e64 v1, null, v2, v1, vcc_lo
	v_mov_b32_e32 v46, v36
	v_and_b32_e32 v35, 24, v0
	v_mov_b32_e32 v39, v33
	v_mov_b32_e32 v41, v29
	s_mov_b32 s3, exec_lo
	v_cmpx_ne_u64_e32 24, v[35:36]
	s_cbranch_execz .LBB126_17
; %bb.14:
	v_lshrrev_b32_e32 v2, 3, v0
	v_mov_b32_e32 v42, v30
	v_mov_b32_e32 v40, v34
	;; [unrolled: 1-line block ×4, first 2 shown]
	v_add_nc_u32_e32 v4, 1, v2
	v_lshlrev_b64 v[2:3], 2, v[29:30]
	v_mov_b32_e32 v39, v33
	v_mov_b32_e32 v47, 0
	;; [unrolled: 1-line block ×3, first 2 shown]
	v_and_b32_e32 v4, 3, v4
	v_mov_b32_e32 v49, 0
	v_add_co_u32 v2, vcc_lo, s12, v2
	v_add_co_ci_u32_e64 v3, null, s13, v3, vcc_lo
	v_sub_co_u32 v4, s8, 0, v4
	v_sub_co_ci_u32_e64 v5, null, 0, 0, s8
	v_mov_b32_e32 v50, 0
	v_mov_b32_e32 v52, 0
	;; [unrolled: 1-line block ×4, first 2 shown]
	s_mov_b32 s8, 0
.LBB126_15:                             ; =>This Inner Loop Header: Depth=1
	global_load_dword v22, v[2:3], off
	s_clause 0x3
	global_load_dwordx4 v[6:9], v[39:40], off offset:48
	global_load_dwordx4 v[10:13], v[39:40], off offset:32
	;; [unrolled: 1-line block ×3, first 2 shown]
	global_load_dwordx4 v[18:21], v[39:40], off
	s_waitcnt vmcnt(4)
	v_subrev_nc_u32_e32 v22, s2, v22
	v_lshlrev_b32_e32 v22, 2, v22
	v_ashrrev_i32_e32 v23, 31, v22
	v_lshlrev_b64 v[22:23], 3, v[22:23]
	v_add_co_u32 v22, vcc_lo, s6, v22
	v_add_co_ci_u32_e64 v23, null, s7, v23, vcc_lo
	v_add_co_u32 v39, vcc_lo, 0x200, v39
	v_add_co_ci_u32_e64 v40, null, 0, v40, vcc_lo
	s_clause 0x1
	global_load_dwordx4 v[53:56], v[22:23], off
	global_load_dwordx4 v[57:60], v[22:23], off offset:16
	v_add_co_u32 v41, vcc_lo, v41, 8
	v_add_co_ci_u32_e64 v42, null, 0, v42, vcc_lo
	v_add_co_u32 v4, vcc_lo, v4, 1
	v_add_co_ci_u32_e64 v5, null, 0, v5, vcc_lo
	;; [unrolled: 2-line block ×3, first 2 shown]
	v_cmp_eq_u64_e32 vcc_lo, 0, v[4:5]
	s_or_b32 s8, vcc_lo, s8
	s_waitcnt vmcnt(1)
	v_fmac_f32_e32 v47, v18, v53
	v_fmac_f32_e32 v46, 0, v53
	;; [unrolled: 1-line block ×32, first 2 shown]
	s_waitcnt vmcnt(0)
	v_fmac_f32_e32 v47, v20, v57
	v_fmac_f32_e32 v46, 0, v57
	v_fmac_f32_e32 v49, v16, v57
	v_fmac_f32_e32 v48, 0, v57
	v_fmac_f32_e32 v52, v12, v57
	v_fmac_f32_e32 v50, 0, v57
	v_fmac_f32_e32 v36, v8, v57
	v_fmac_f32_e32 v51, 0, v57
	v_fmac_f32_e32 v47, 0x80000000, v58
	v_fmac_f32_e32 v46, v20, v58
	v_fmac_f32_e32 v49, 0x80000000, v58
	v_fmac_f32_e32 v48, v16, v58
	v_fmac_f32_e32 v52, 0x80000000, v58
	v_fmac_f32_e32 v50, v12, v58
	v_fmac_f32_e32 v36, 0x80000000, v58
	v_fmac_f32_e32 v51, v8, v58
	v_fmac_f32_e32 v47, v21, v59
	v_fmac_f32_e32 v46, 0, v59
	v_fmac_f32_e32 v49, v17, v59
	v_fmac_f32_e32 v48, 0, v59
	v_fmac_f32_e32 v52, v13, v59
	v_fmac_f32_e32 v50, 0, v59
	v_fmac_f32_e32 v36, v9, v59
	v_fmac_f32_e32 v51, 0, v59
	v_fmac_f32_e32 v47, 0x80000000, v60
	v_fmac_f32_e32 v46, v21, v60
	v_fmac_f32_e32 v49, 0x80000000, v60
	v_fmac_f32_e32 v48, v17, v60
	v_fmac_f32_e32 v52, 0x80000000, v60
	v_fmac_f32_e32 v50, v13, v60
	v_fmac_f32_e32 v36, 0x80000000, v60
	v_fmac_f32_e32 v51, v9, v60
	s_andn2_b32 exec_lo, exec_lo, s8
	s_cbranch_execnz .LBB126_15
; %bb.16:
	s_or_b32 exec_lo, exec_lo, s8
.LBB126_17:
	s_or_b32 exec_lo, exec_lo, s3
	s_mov_b32 s3, exec_lo
	v_cmpx_lt_u64_e32 23, v[0:1]
	s_cbranch_execz .LBB126_21
; %bb.18:
	v_lshlrev_b64 v[0:1], 2, v[41:42]
	s_mov_b32 s8, 0
	v_add_co_u32 v0, vcc_lo, s12, v0
	v_add_co_ci_u32_e64 v1, null, s13, v1, vcc_lo
	v_add_co_u32 v43, vcc_lo, v0, 64
	v_add_co_ci_u32_e64 v44, null, 0, v1, vcc_lo
.LBB126_19:                             ; =>This Inner Loop Header: Depth=1
	s_clause 0x3
	global_load_dword v35, v[43:44], off offset:-64
	global_load_dword v89, v[43:44], off offset:-32
	global_load_dword v90, v[43:44], off
	global_load_dword v91, v[43:44], off offset:32
	s_clause 0xe
	global_load_dwordx4 v[53:56], v[39:40], off offset:48
	global_load_dwordx4 v[57:60], v[39:40], off offset:32
	;; [unrolled: 1-line block ×3, first 2 shown]
	global_load_dwordx4 v[65:68], v[39:40], off
	global_load_dwordx4 v[69:72], v[39:40], off offset:560
	global_load_dwordx4 v[73:76], v[39:40], off offset:544
	;; [unrolled: 1-line block ×11, first 2 shown]
	s_waitcnt vmcnt(18)
	v_subrev_nc_u32_e32 v35, s2, v35
	s_waitcnt vmcnt(17)
	v_subrev_nc_u32_e32 v92, s2, v89
	;; [unrolled: 2-line block ×4, first 2 shown]
	v_lshlrev_b32_e32 v89, 2, v35
	v_lshlrev_b32_e32 v91, 2, v92
	;; [unrolled: 1-line block ×4, first 2 shown]
	v_ashrrev_i32_e32 v90, 31, v89
	v_ashrrev_i32_e32 v92, 31, v91
	;; [unrolled: 1-line block ×4, first 2 shown]
	v_lshlrev_b64 v[89:90], 3, v[89:90]
	v_lshlrev_b64 v[91:92], 3, v[91:92]
	v_lshlrev_b64 v[93:94], 3, v[93:94]
	v_lshlrev_b64 v[95:96], 3, v[95:96]
	v_add_co_u32 v97, vcc_lo, s6, v89
	v_add_co_ci_u32_e64 v98, null, s7, v90, vcc_lo
	v_add_co_u32 v99, vcc_lo, s6, v91
	v_add_co_ci_u32_e64 v100, null, s7, v92, vcc_lo
	;; [unrolled: 2-line block ×4, first 2 shown]
	s_clause 0x1
	global_load_dwordx4 v[89:92], v[97:98], off
	global_load_dwordx4 v[93:96], v[97:98], off offset:16
	v_add_co_u32 v41, vcc_lo, v41, 32
	v_add_co_ci_u32_e64 v42, null, 0, v42, vcc_lo
	s_waitcnt vmcnt(1)
	v_fmac_f32_e32 v46, 0, v89
	v_fmac_f32_e32 v47, v65, v89
	;; [unrolled: 1-line block ×20, first 2 shown]
	s_waitcnt vmcnt(0)
	v_fmac_f32_e32 v46, 0, v93
	v_fmac_f32_e32 v47, v67, v93
	;; [unrolled: 1-line block ×16, first 2 shown]
	global_load_dwordx4 v[65:68], v[99:100], off
	v_fmac_f32_e32 v48, v64, v96
	global_load_dwordx4 v[61:64], v[99:100], off offset:16
	v_fmac_f32_e32 v36, v53, v89
	v_fmac_f32_e32 v51, 0, v89
	v_fmac_f32_e32 v52, 0x80000000, v92
	v_fmac_f32_e32 v50, 0, v93
	v_fmac_f32_e32 v47, 0x80000000, v96
	v_fmac_f32_e32 v36, 0x80000000, v90
	v_fmac_f32_e32 v51, v53, v90
	v_fmac_f32_e32 v52, v59, v93
	v_fmac_f32_e32 v50, v59, v94
	v_fmac_f32_e32 v49, 0x80000000, v96
	v_fmac_f32_e32 v36, v54, v91
	v_fmac_f32_e32 v51, 0, v91
	v_fmac_f32_e32 v52, 0x80000000, v94
	v_fmac_f32_e32 v50, 0, v95
	v_fmac_f32_e32 v36, 0x80000000, v92
	v_fmac_f32_e32 v51, v54, v92
	global_load_dwordx4 v[89:92], v[39:40], off offset:1536
	v_fmac_f32_e32 v52, v60, v95
	v_fmac_f32_e32 v50, v60, v96
	s_clause 0x1
	global_load_dwordx4 v[57:60], v[101:102], off
	global_load_dwordx4 v[97:100], v[101:102], off offset:16
	v_fmac_f32_e32 v51, 0, v93
	v_fmac_f32_e32 v36, v55, v93
	;; [unrolled: 1-line block ×3, first 2 shown]
	v_add_co_u32 v39, vcc_lo, 0x800, v39
	v_fmac_f32_e32 v51, v55, v94
	v_fmac_f32_e32 v36, 0x80000000, v94
	v_add_co_ci_u32_e64 v40, null, 0, v40, vcc_lo
	v_add_co_u32 v43, vcc_lo, 0x80, v43
	v_fmac_f32_e32 v51, 0, v95
	v_fmac_f32_e32 v36, v56, v95
	v_add_co_ci_u32_e64 v44, null, 0, v44, vcc_lo
	v_cmp_ge_i64_e32 vcc_lo, v[41:42], v[31:32]
	v_fmac_f32_e32 v51, v56, v96
	global_load_dwordx4 v[53:56], v[103:104], off
	v_fmac_f32_e32 v36, 0x80000000, v96
	global_load_dwordx4 v[93:96], v[103:104], off offset:16
	s_or_b32 s8, vcc_lo, s8
	s_waitcnt vmcnt(6)
	v_fmac_f32_e32 v47, v81, v65
	v_fmac_f32_e32 v46, 0, v65
	v_fmac_f32_e32 v49, v77, v65
	v_fmac_f32_e32 v48, 0, v65
	v_fmac_f32_e32 v52, v73, v65
	v_fmac_f32_e32 v50, 0, v65
	v_fmac_f32_e32 v36, v69, v65
	v_fmac_f32_e32 v51, 0, v65
	v_fmac_f32_e32 v47, 0x80000000, v66
	v_fmac_f32_e32 v46, v81, v66
	v_fmac_f32_e32 v49, 0x80000000, v66
	v_fmac_f32_e32 v48, v77, v66
	v_fmac_f32_e32 v52, 0x80000000, v66
	v_fmac_f32_e32 v50, v73, v66
	v_fmac_f32_e32 v36, 0x80000000, v66
	v_fmac_f32_e32 v51, v69, v66
	v_fmac_f32_e32 v47, v82, v67
	v_fmac_f32_e32 v46, 0, v67
	v_fmac_f32_e32 v49, v78, v67
	v_fmac_f32_e32 v48, 0, v67
	v_fmac_f32_e32 v52, v74, v67
	v_fmac_f32_e32 v50, 0, v67
	v_fmac_f32_e32 v36, v70, v67
	v_fmac_f32_e32 v51, 0, v67
	v_fmac_f32_e32 v47, 0x80000000, v68
	v_fmac_f32_e32 v46, v82, v68
	v_fmac_f32_e32 v49, 0x80000000, v68
	v_fmac_f32_e32 v48, v78, v68
	v_fmac_f32_e32 v52, 0x80000000, v68
	v_fmac_f32_e32 v50, v74, v68
	v_fmac_f32_e32 v36, 0x80000000, v68
	v_fmac_f32_e32 v51, v70, v68
	s_waitcnt vmcnt(5)
	v_fmac_f32_e32 v46, 0, v61
	v_fmac_f32_e32 v47, v83, v61
	v_fmac_f32_e32 v48, 0, v61
	v_fmac_f32_e32 v49, v79, v61
	v_fmac_f32_e32 v50, 0, v61
	v_fmac_f32_e32 v52, v75, v61
	v_fmac_f32_e32 v51, 0, v61
	v_fmac_f32_e32 v36, v71, v61
	v_fmac_f32_e32 v46, v83, v62
	v_fmac_f32_e32 v47, 0x80000000, v62
	v_fmac_f32_e32 v48, v79, v62
	v_fmac_f32_e32 v49, 0x80000000, v62
	v_fmac_f32_e32 v50, v75, v62
	v_fmac_f32_e32 v52, 0x80000000, v62
	v_fmac_f32_e32 v51, v71, v62
	v_fmac_f32_e32 v36, 0x80000000, v62
	v_fmac_f32_e32 v46, 0, v63
	v_fmac_f32_e32 v47, v84, v63
	v_fmac_f32_e32 v48, 0, v63
	v_fmac_f32_e32 v49, v80, v63
	v_fmac_f32_e32 v50, 0, v63
	v_fmac_f32_e32 v52, v76, v63
	v_fmac_f32_e32 v51, 0, v63
	v_fmac_f32_e32 v36, v72, v63
	v_fmac_f32_e32 v46, v84, v64
	v_fmac_f32_e32 v48, v80, v64
	v_fmac_f32_e32 v50, v76, v64
	v_fmac_f32_e32 v47, 0x80000000, v64
	v_fmac_f32_e32 v51, v72, v64
	v_fmac_f32_e32 v49, 0x80000000, v64
	v_fmac_f32_e32 v52, 0x80000000, v64
	v_fmac_f32_e32 v36, 0x80000000, v64
	s_waitcnt vmcnt(3)
	v_fmac_f32_e32 v47, v85, v57
	v_fmac_f32_e32 v46, 0, v57
	v_fmac_f32_e32 v49, v20, v57
	v_fmac_f32_e32 v48, 0, v57
	v_fmac_f32_e32 v52, v4, v57
	v_fmac_f32_e32 v50, 0, v57
	v_fmac_f32_e32 v36, v0, v57
	v_fmac_f32_e32 v51, 0, v57
	v_fmac_f32_e32 v47, 0x80000000, v58
	v_fmac_f32_e32 v46, v85, v58
	v_fmac_f32_e32 v49, 0x80000000, v58
	v_fmac_f32_e32 v48, v20, v58
	v_fmac_f32_e32 v52, 0x80000000, v58
	v_fmac_f32_e32 v50, v4, v58
	v_fmac_f32_e32 v36, 0x80000000, v58
	v_fmac_f32_e32 v51, v0, v58
	v_fmac_f32_e32 v47, v86, v59
	v_fmac_f32_e32 v46, 0, v59
	v_fmac_f32_e32 v49, v21, v59
	v_fmac_f32_e32 v48, 0, v59
	v_fmac_f32_e32 v52, v5, v59
	v_fmac_f32_e32 v50, 0, v59
	v_fmac_f32_e32 v36, v1, v59
	v_fmac_f32_e32 v51, 0, v59
	v_fmac_f32_e32 v47, 0x80000000, v60
	v_fmac_f32_e32 v46, v86, v60
	v_fmac_f32_e32 v49, 0x80000000, v60
	v_fmac_f32_e32 v48, v21, v60
	v_fmac_f32_e32 v52, 0x80000000, v60
	v_fmac_f32_e32 v50, v5, v60
	v_fmac_f32_e32 v36, 0x80000000, v60
	v_fmac_f32_e32 v51, v1, v60
	s_waitcnt vmcnt(2)
	v_fmac_f32_e32 v47, v87, v97
	v_fmac_f32_e32 v46, 0, v97
	v_fmac_f32_e32 v49, v22, v97
	v_fmac_f32_e32 v48, 0, v97
	v_fmac_f32_e32 v52, v6, v97
	v_fmac_f32_e32 v50, 0, v97
	v_fmac_f32_e32 v36, v2, v97
	v_fmac_f32_e32 v51, 0, v97
	v_fmac_f32_e32 v47, 0x80000000, v98
	v_fmac_f32_e32 v46, v87, v98
	v_fmac_f32_e32 v49, 0x80000000, v98
	v_fmac_f32_e32 v48, v22, v98
	v_fmac_f32_e32 v52, 0x80000000, v98
	v_fmac_f32_e32 v50, v6, v98
	v_fmac_f32_e32 v36, 0x80000000, v98
	v_fmac_f32_e32 v51, v2, v98
	v_fmac_f32_e32 v47, v88, v99
	v_fmac_f32_e32 v46, 0, v99
	v_fmac_f32_e32 v49, v23, v99
	v_fmac_f32_e32 v48, 0, v99
	v_fmac_f32_e32 v52, v7, v99
	v_fmac_f32_e32 v50, 0, v99
	v_fmac_f32_e32 v36, v3, v99
	v_fmac_f32_e32 v51, 0, v99
	v_fmac_f32_e32 v47, 0x80000000, v100
	v_fmac_f32_e32 v46, v88, v100
	v_fmac_f32_e32 v49, 0x80000000, v100
	v_fmac_f32_e32 v48, v23, v100
	v_fmac_f32_e32 v52, 0x80000000, v100
	v_fmac_f32_e32 v50, v7, v100
	v_fmac_f32_e32 v36, 0x80000000, v100
	v_fmac_f32_e32 v51, v3, v100
	s_waitcnt vmcnt(1)
	v_fmac_f32_e32 v47, v89, v53
	v_fmac_f32_e32 v46, 0, v53
	v_fmac_f32_e32 v49, v16, v53
	v_fmac_f32_e32 v48, 0, v53
	v_fmac_f32_e32 v52, v12, v53
	v_fmac_f32_e32 v50, 0, v53
	v_fmac_f32_e32 v36, v8, v53
	v_fmac_f32_e32 v51, 0, v53
	v_fmac_f32_e32 v47, 0x80000000, v54
	v_fmac_f32_e32 v46, v89, v54
	v_fmac_f32_e32 v49, 0x80000000, v54
	v_fmac_f32_e32 v48, v16, v54
	v_fmac_f32_e32 v52, 0x80000000, v54
	v_fmac_f32_e32 v50, v12, v54
	v_fmac_f32_e32 v36, 0x80000000, v54
	v_fmac_f32_e32 v51, v8, v54
	v_fmac_f32_e32 v47, v90, v55
	v_fmac_f32_e32 v46, 0, v55
	v_fmac_f32_e32 v49, v17, v55
	v_fmac_f32_e32 v48, 0, v55
	v_fmac_f32_e32 v52, v13, v55
	v_fmac_f32_e32 v50, 0, v55
	v_fmac_f32_e32 v36, v9, v55
	v_fmac_f32_e32 v51, 0, v55
	v_fmac_f32_e32 v47, 0x80000000, v56
	v_fmac_f32_e32 v46, v90, v56
	v_fmac_f32_e32 v49, 0x80000000, v56
	v_fmac_f32_e32 v48, v17, v56
	v_fmac_f32_e32 v52, 0x80000000, v56
	v_fmac_f32_e32 v50, v13, v56
	v_fmac_f32_e32 v36, 0x80000000, v56
	v_fmac_f32_e32 v51, v9, v56
	s_waitcnt vmcnt(0)
	v_fmac_f32_e32 v47, v91, v93
	v_fmac_f32_e32 v46, 0, v93
	v_fmac_f32_e32 v49, v18, v93
	v_fmac_f32_e32 v48, 0, v93
	v_fmac_f32_e32 v52, v14, v93
	v_fmac_f32_e32 v50, 0, v93
	v_fmac_f32_e32 v36, v10, v93
	v_fmac_f32_e32 v51, 0, v93
	v_fmac_f32_e32 v47, 0x80000000, v94
	v_fmac_f32_e32 v46, v91, v94
	v_fmac_f32_e32 v49, 0x80000000, v94
	v_fmac_f32_e32 v48, v18, v94
	v_fmac_f32_e32 v52, 0x80000000, v94
	v_fmac_f32_e32 v50, v14, v94
	v_fmac_f32_e32 v36, 0x80000000, v94
	v_fmac_f32_e32 v51, v10, v94
	v_fmac_f32_e32 v47, v92, v95
	v_fmac_f32_e32 v46, 0, v95
	v_fmac_f32_e32 v49, v19, v95
	v_fmac_f32_e32 v48, 0, v95
	v_fmac_f32_e32 v52, v15, v95
	v_fmac_f32_e32 v50, 0, v95
	v_fmac_f32_e32 v36, v11, v95
	v_fmac_f32_e32 v51, 0, v95
	v_fmac_f32_e32 v47, 0x80000000, v96
	v_fmac_f32_e32 v46, v92, v96
	v_fmac_f32_e32 v49, 0x80000000, v96
	v_fmac_f32_e32 v48, v19, v96
	v_fmac_f32_e32 v52, 0x80000000, v96
	v_fmac_f32_e32 v50, v15, v96
	v_fmac_f32_e32 v36, 0x80000000, v96
	v_fmac_f32_e32 v51, v11, v96
	s_andn2_b32 exec_lo, exec_lo, s8
	s_cbranch_execnz .LBB126_19
; %bb.20:
	s_or_b32 exec_lo, exec_lo, s8
.LBB126_21:
	s_or_b32 exec_lo, exec_lo, s3
.LBB126_22:
	s_or_b32 exec_lo, exec_lo, s1
	s_cbranch_execz .LBB126_24
	s_branch .LBB126_35
.LBB126_23:
                                        ; implicit-def: $vgpr46
                                        ; implicit-def: $vgpr47
                                        ; implicit-def: $vgpr48
                                        ; implicit-def: $vgpr49
                                        ; implicit-def: $vgpr50
                                        ; implicit-def: $vgpr52
                                        ; implicit-def: $vgpr51
                                        ; implicit-def: $vgpr36
.LBB126_24:
	v_mov_b32_e32 v46, 0
	v_mov_b32_e32 v47, 0
	;; [unrolled: 1-line block ×8, first 2 shown]
	s_and_saveexec_b32 s1, s0
	s_cbranch_execz .LBB126_34
; %bb.25:
	v_or_b32_e32 v0, 8, v45
	v_not_b32_e32 v3, v37
	v_not_b32_e32 v2, v38
	v_mov_b32_e32 v36, 0
	v_sub_co_u32 v0, s0, v0, s2
	v_sub_co_ci_u32_e64 v1, null, 0, 0, s0
	v_sub_co_u32 v4, s0, s2, v45
	v_add_co_u32 v0, vcc_lo, v0, v37
	v_add_co_ci_u32_e64 v1, null, v1, v38, vcc_lo
	v_sub_co_ci_u32_e64 v5, null, 0, 0, s0
	v_add_co_u32 v3, s0, v4, v3
	v_cmp_gt_i64_e32 vcc_lo, v[0:1], v[31:32]
	v_add_co_ci_u32_e64 v2, null, v5, v2, s0
	v_mov_b32_e32 v51, v36
	v_mov_b32_e32 v52, v36
	;; [unrolled: 1-line block ×3, first 2 shown]
	v_cndmask_b32_e32 v0, v31, v0, vcc_lo
	v_cndmask_b32_e32 v1, v32, v1, vcc_lo
	v_mov_b32_e32 v49, v36
	v_mov_b32_e32 v48, v36
	;; [unrolled: 1-line block ×3, first 2 shown]
	v_add_co_u32 v0, vcc_lo, v3, v0
	v_add_co_ci_u32_e64 v1, null, v2, v1, vcc_lo
	v_mov_b32_e32 v46, v36
	v_and_b32_e32 v35, 24, v0
	s_mov_b32 s0, exec_lo
	v_cmpx_ne_u64_e32 24, v[35:36]
	s_cbranch_execz .LBB126_29
; %bb.26:
	v_lshrrev_b32_e32 v2, 3, v0
	v_mov_b32_e32 v46, 0
	v_mov_b32_e32 v47, 0
	;; [unrolled: 1-line block ×4, first 2 shown]
	v_add_nc_u32_e32 v4, 1, v2
	v_lshlrev_b64 v[2:3], 2, v[29:30]
	v_mov_b32_e32 v50, 0
	v_mov_b32_e32 v52, 0
	;; [unrolled: 1-line block ×3, first 2 shown]
	v_and_b32_e32 v4, 3, v4
	v_mov_b32_e32 v36, 0
	v_add_co_u32 v2, vcc_lo, s12, v2
	v_add_co_ci_u32_e64 v3, null, s13, v3, vcc_lo
	v_sub_co_u32 v4, s3, 0, v4
	v_sub_co_ci_u32_e64 v5, null, 0, 0, s3
	s_mov_b32 s3, 0
.LBB126_27:                             ; =>This Inner Loop Header: Depth=1
	global_load_dword v14, v[2:3], off
	s_clause 0x1
	global_load_dwordx4 v[6:9], v[33:34], off offset:16
	global_load_dwordx4 v[10:13], v[33:34], off
	s_waitcnt vmcnt(2)
	v_subrev_nc_u32_e32 v14, s2, v14
	v_lshlrev_b32_e32 v14, 2, v14
	v_ashrrev_i32_e32 v15, 31, v14
	v_lshlrev_b64 v[14:15], 3, v[14:15]
	v_add_co_u32 v18, vcc_lo, s6, v14
	v_add_co_ci_u32_e64 v19, null, s7, v15, vcc_lo
	s_clause 0x1
	global_load_dwordx4 v[14:17], v[18:19], off
	global_load_dwordx4 v[18:21], v[18:19], off offset:16
	s_clause 0x1
	global_load_dwordx4 v[37:40], v[33:34], off offset:32
	global_load_dwordx4 v[41:44], v[33:34], off offset:48
	v_add_co_u32 v33, vcc_lo, 0x200, v33
	v_add_co_ci_u32_e64 v34, null, 0, v34, vcc_lo
	v_add_co_u32 v29, vcc_lo, v29, 8
	v_add_co_ci_u32_e64 v30, null, 0, v30, vcc_lo
	;; [unrolled: 2-line block ×4, first 2 shown]
	v_cmp_eq_u64_e32 vcc_lo, 0, v[4:5]
	s_or_b32 s3, vcc_lo, s3
	s_waitcnt vmcnt(3)
	v_fmac_f32_e32 v47, v10, v14
	v_fmac_f32_e32 v46, 0, v14
	;; [unrolled: 1-line block ×32, first 2 shown]
	s_waitcnt vmcnt(1)
	v_fmac_f32_e32 v47, v37, v18
	v_fmac_f32_e32 v46, 0, v18
	;; [unrolled: 1-line block ×16, first 2 shown]
	s_waitcnt vmcnt(0)
	v_fmac_f32_e32 v47, v41, v20
	v_fmac_f32_e32 v46, 0, v20
	;; [unrolled: 1-line block ×16, first 2 shown]
	s_andn2_b32 exec_lo, exec_lo, s3
	s_cbranch_execnz .LBB126_27
; %bb.28:
	s_or_b32 exec_lo, exec_lo, s3
.LBB126_29:
	s_or_b32 exec_lo, exec_lo, s0
	s_mov_b32 s0, exec_lo
	v_cmpx_lt_u64_e32 23, v[0:1]
	s_cbranch_execz .LBB126_33
; %bb.30:
	v_lshlrev_b64 v[0:1], 2, v[29:30]
	s_mov_b32 s3, 0
	v_add_co_u32 v0, vcc_lo, s12, v0
	v_add_co_ci_u32_e64 v1, null, s13, v1, vcc_lo
	v_add_co_u32 v8, vcc_lo, v0, 64
	v_add_co_ci_u32_e64 v9, null, 0, v1, vcc_lo
.LBB126_31:                             ; =>This Inner Loop Header: Depth=1
	s_clause 0x3
	global_load_dword v10, v[8:9], off offset:-64
	global_load_dword v23, v[8:9], off offset:-32
	global_load_dword v35, v[8:9], off
	global_load_dword v69, v[8:9], off offset:32
	s_clause 0xa
	global_load_dwordx4 v[11:14], v[33:34], off offset:48
	global_load_dwordx4 v[15:18], v[33:34], off offset:32
	;; [unrolled: 1-line block ×3, first 2 shown]
	global_load_dwordx4 v[37:40], v[33:34], off
	global_load_dwordx4 v[41:44], v[33:34], off offset:560
	global_load_dwordx4 v[53:56], v[33:34], off offset:544
	;; [unrolled: 1-line block ×7, first 2 shown]
	s_waitcnt vmcnt(14)
	v_subrev_nc_u32_e32 v10, s2, v10
	s_waitcnt vmcnt(13)
	v_subrev_nc_u32_e32 v23, s2, v23
	;; [unrolled: 2-line block ×4, first 2 shown]
	v_lshlrev_b32_e32 v69, 2, v10
	v_lshlrev_b32_e32 v71, 2, v23
	;; [unrolled: 1-line block ×4, first 2 shown]
	v_ashrrev_i32_e32 v70, 31, v69
	v_ashrrev_i32_e32 v72, 31, v71
	;; [unrolled: 1-line block ×4, first 2 shown]
	v_lshlrev_b64 v[69:70], 3, v[69:70]
	v_lshlrev_b64 v[71:72], 3, v[71:72]
	v_lshlrev_b64 v[73:74], 3, v[73:74]
	v_lshlrev_b64 v[75:76], 3, v[75:76]
	v_add_co_u32 v77, vcc_lo, s6, v69
	v_add_co_ci_u32_e64 v78, null, s7, v70, vcc_lo
	v_add_co_u32 v79, vcc_lo, s6, v71
	v_add_co_ci_u32_e64 v80, null, s7, v72, vcc_lo
	;; [unrolled: 2-line block ×4, first 2 shown]
	s_clause 0x1
	global_load_dwordx4 v[69:72], v[77:78], off
	global_load_dwordx4 v[73:76], v[77:78], off offset:16
	s_waitcnt vmcnt(1)
	v_fmac_f32_e32 v46, 0, v69
	v_fmac_f32_e32 v48, 0, v69
	v_fmac_f32_e32 v50, 0, v69
	v_fmac_f32_e32 v47, v37, v69
	v_fmac_f32_e32 v49, v38, v69
	v_fmac_f32_e32 v52, v39, v69
	v_fmac_f32_e32 v46, v37, v70
	v_fmac_f32_e32 v48, v38, v70
	v_fmac_f32_e32 v50, v39, v70
	v_fmac_f32_e32 v47, 0x80000000, v70
	v_fmac_f32_e32 v49, 0x80000000, v70
	v_fmac_f32_e32 v52, 0x80000000, v70
	v_fmac_f32_e32 v46, 0, v71
	v_fmac_f32_e32 v48, 0, v71
	v_fmac_f32_e32 v50, 0, v71
	v_fmac_f32_e32 v47, v19, v71
	v_fmac_f32_e32 v49, v20, v71
	v_fmac_f32_e32 v52, v21, v71
	v_fmac_f32_e32 v46, v19, v72
	v_fmac_f32_e32 v48, v20, v72
	v_fmac_f32_e32 v50, v21, v72
	v_fmac_f32_e32 v47, 0x80000000, v72
	v_fmac_f32_e32 v49, 0x80000000, v72
	v_fmac_f32_e32 v52, 0x80000000, v72
	s_waitcnt vmcnt(0)
	v_fmac_f32_e32 v46, 0, v73
	v_fmac_f32_e32 v48, 0, v73
	;; [unrolled: 1-line block ×21, first 2 shown]
	global_load_dwordx4 v[10:13], v[79:80], off
	v_fmac_f32_e32 v51, 0, v69
	v_fmac_f32_e32 v36, v40, v69
	;; [unrolled: 1-line block ×7, first 2 shown]
	global_load_dwordx4 v[37:40], v[33:34], off offset:1024
	v_fmac_f32_e32 v51, 0, v71
	v_fmac_f32_e32 v36, v22, v71
	;; [unrolled: 1-line block ×4, first 2 shown]
	s_clause 0x1
	global_load_dwordx4 v[19:22], v[33:34], off offset:1552
	global_load_dwordx4 v[69:72], v[33:34], off offset:1536
	v_fmac_f32_e32 v51, 0, v73
	v_fmac_f32_e32 v36, v18, v73
	;; [unrolled: 1-line block ×4, first 2 shown]
	global_load_dwordx4 v[15:18], v[33:34], off offset:1568
	v_fmac_f32_e32 v51, 0, v75
	v_fmac_f32_e32 v36, v14, v75
	;; [unrolled: 1-line block ×4, first 2 shown]
	global_load_dwordx4 v[73:76], v[79:80], off offset:16
	s_waitcnt vmcnt(5)
	v_fmac_f32_e32 v46, 0, v10
	v_fmac_f32_e32 v48, 0, v10
	;; [unrolled: 1-line block ×12, first 2 shown]
	s_clause 0x1
	global_load_dwordx4 v[61:64], v[81:82], off
	global_load_dwordx4 v[77:80], v[81:82], off offset:16
	v_fmac_f32_e32 v47, 0x80000000, v11
	v_fmac_f32_e32 v49, 0x80000000, v11
	;; [unrolled: 1-line block ×16, first 2 shown]
	global_load_dwordx4 v[57:60], v[83:84], off
	v_fmac_f32_e32 v47, 0x80000000, v13
	v_fmac_f32_e32 v49, 0x80000000, v13
	;; [unrolled: 1-line block ×4, first 2 shown]
	global_load_dwordx4 v[10:13], v[83:84], off offset:16
	s_waitcnt vmcnt(4)
	v_fmac_f32_e32 v46, 0, v73
	v_fmac_f32_e32 v48, 0, v73
	;; [unrolled: 1-line block ×12, first 2 shown]
	global_load_dwordx4 v[53:56], v[33:34], off offset:1584
	v_fmac_f32_e32 v47, 0x80000000, v74
	v_fmac_f32_e32 v49, 0x80000000, v74
	;; [unrolled: 1-line block ×20, first 2 shown]
	v_add_co_u32 v33, vcc_lo, 0x800, v33
	v_add_co_ci_u32_e64 v34, null, 0, v34, vcc_lo
	v_add_co_u32 v29, vcc_lo, v29, 32
	v_add_co_ci_u32_e64 v30, null, 0, v30, vcc_lo
	;; [unrolled: 2-line block ×3, first 2 shown]
	v_cmp_ge_i64_e32 vcc_lo, v[29:30], v[31:32]
	s_or_b32 s3, vcc_lo, s3
	s_waitcnt vmcnt(4)
	v_fmac_f32_e32 v47, v37, v61
	v_fmac_f32_e32 v46, 0, v61
	v_fmac_f32_e32 v49, v38, v61
	v_fmac_f32_e32 v48, 0, v61
	v_fmac_f32_e32 v52, v39, v61
	v_fmac_f32_e32 v50, 0, v61
	v_fmac_f32_e32 v51, 0, v61
	v_fmac_f32_e32 v36, v40, v61
	v_fmac_f32_e32 v46, v37, v62
	v_fmac_f32_e32 v48, v38, v62
	v_fmac_f32_e32 v50, v39, v62
	v_fmac_f32_e32 v47, 0x80000000, v62
	v_fmac_f32_e32 v51, v40, v62
	v_fmac_f32_e32 v49, 0x80000000, v62
	v_fmac_f32_e32 v52, 0x80000000, v62
	v_fmac_f32_e32 v36, 0x80000000, v62
	v_fmac_f32_e32 v47, v65, v63
	v_fmac_f32_e32 v46, 0, v63
	v_fmac_f32_e32 v49, v66, v63
	v_fmac_f32_e32 v48, 0, v63
	v_fmac_f32_e32 v52, v67, v63
	v_fmac_f32_e32 v50, 0, v63
	v_fmac_f32_e32 v51, 0, v63
	v_fmac_f32_e32 v36, v68, v63
	v_fmac_f32_e32 v46, v65, v64
	v_fmac_f32_e32 v48, v66, v64
	v_fmac_f32_e32 v50, v67, v64
	v_fmac_f32_e32 v47, 0x80000000, v64
	v_fmac_f32_e32 v51, v68, v64
	v_fmac_f32_e32 v49, 0x80000000, v64
	v_fmac_f32_e32 v52, 0x80000000, v64
	v_fmac_f32_e32 v36, 0x80000000, v64
	s_waitcnt vmcnt(3)
	v_fmac_f32_e32 v47, v4, v77
	v_fmac_f32_e32 v46, 0, v77
	v_fmac_f32_e32 v49, v5, v77
	v_fmac_f32_e32 v48, 0, v77
	v_fmac_f32_e32 v52, v6, v77
	v_fmac_f32_e32 v50, 0, v77
	v_fmac_f32_e32 v36, v7, v77
	v_fmac_f32_e32 v51, 0, v77
	v_fmac_f32_e32 v47, 0x80000000, v78
	v_fmac_f32_e32 v46, v4, v78
	v_fmac_f32_e32 v49, 0x80000000, v78
	v_fmac_f32_e32 v48, v5, v78
	v_fmac_f32_e32 v52, 0x80000000, v78
	v_fmac_f32_e32 v50, v6, v78
	v_fmac_f32_e32 v36, 0x80000000, v78
	v_fmac_f32_e32 v51, v7, v78
	v_fmac_f32_e32 v47, v0, v79
	v_fmac_f32_e32 v46, 0, v79
	v_fmac_f32_e32 v49, v1, v79
	v_fmac_f32_e32 v48, 0, v79
	v_fmac_f32_e32 v52, v2, v79
	v_fmac_f32_e32 v50, 0, v79
	v_fmac_f32_e32 v36, v3, v79
	v_fmac_f32_e32 v51, 0, v79
	v_fmac_f32_e32 v47, 0x80000000, v80
	v_fmac_f32_e32 v46, v0, v80
	v_fmac_f32_e32 v49, 0x80000000, v80
	v_fmac_f32_e32 v48, v1, v80
	v_fmac_f32_e32 v52, 0x80000000, v80
	v_fmac_f32_e32 v50, v2, v80
	v_fmac_f32_e32 v36, 0x80000000, v80
	v_fmac_f32_e32 v51, v3, v80
	;; [unrolled: 33-line block ×3, first 2 shown]
	s_waitcnt vmcnt(1)
	v_fmac_f32_e32 v47, v15, v10
	v_fmac_f32_e32 v46, 0, v10
	;; [unrolled: 1-line block ×16, first 2 shown]
	s_waitcnt vmcnt(0)
	v_fmac_f32_e32 v47, v53, v12
	v_fmac_f32_e32 v46, 0, v12
	;; [unrolled: 1-line block ×16, first 2 shown]
	s_andn2_b32 exec_lo, exec_lo, s3
	s_cbranch_execnz .LBB126_31
; %bb.32:
	s_or_b32 exec_lo, exec_lo, s3
.LBB126_33:
	s_or_b32 exec_lo, exec_lo, s0
.LBB126_34:
	s_or_b32 exec_lo, exec_lo, s1
.LBB126_35:
	v_mbcnt_lo_u32_b32 v0, -1, 0
	v_xor_b32_e32 v1, 4, v0
	v_xor_b32_e32 v9, 2, v0
	;; [unrolled: 1-line block ×3, first 2 shown]
	v_cmp_gt_i32_e32 vcc_lo, 32, v1
	v_cndmask_b32_e32 v1, v0, v1, vcc_lo
	v_cmp_gt_i32_e32 vcc_lo, 32, v9
	v_lshlrev_b32_e32 v1, 2, v1
	v_cndmask_b32_e32 v9, v0, v9, vcc_lo
	v_cmp_gt_i32_e32 vcc_lo, 32, v17
	ds_bpermute_b32 v2, v1, v47
	ds_bpermute_b32 v3, v1, v46
	ds_bpermute_b32 v4, v1, v49
	ds_bpermute_b32 v5, v1, v48
	ds_bpermute_b32 v6, v1, v52
	ds_bpermute_b32 v7, v1, v50
	ds_bpermute_b32 v8, v1, v36
	ds_bpermute_b32 v1, v1, v51
	v_lshlrev_b32_e32 v9, 2, v9
	v_cndmask_b32_e32 v0, v0, v17, vcc_lo
	v_cmp_eq_u32_e32 vcc_lo, 7, v45
	v_lshlrev_b32_e32 v17, 2, v0
	s_waitcnt lgkmcnt(7)
	v_add_f32_e32 v2, v47, v2
	s_waitcnt lgkmcnt(6)
	v_add_f32_e32 v3, v46, v3
	;; [unrolled: 2-line block ×8, first 2 shown]
	ds_bpermute_b32 v1, v9, v2
	ds_bpermute_b32 v11, v9, v3
	;; [unrolled: 1-line block ×8, first 2 shown]
	s_waitcnt lgkmcnt(7)
	v_add_f32_e32 v0, v2, v1
	s_waitcnt lgkmcnt(6)
	v_add_f32_e32 v1, v3, v11
	;; [unrolled: 2-line block ×8, first 2 shown]
	ds_bpermute_b32 v8, v17, v0
	ds_bpermute_b32 v9, v17, v1
	;; [unrolled: 1-line block ×8, first 2 shown]
	s_and_b32 exec_lo, exec_lo, vcc_lo
	s_cbranch_execz .LBB126_8
; %bb.36:
	s_load_dwordx2 s[2:3], s[4:5], 0x50
	s_waitcnt lgkmcnt(0)
	v_add_f32_e32 v8, v0, v8
	v_add_f32_e32 v0, v1, v9
	;; [unrolled: 1-line block ×8, first 2 shown]
	v_mul_f32_e64 v4, v0, -v27
	v_mul_f32_e32 v5, v26, v0
	v_mul_f32_e64 v6, v1, -v27
	v_mul_f32_e32 v7, v26, v1
	;; [unrolled: 2-line block ×4, first 2 shown]
	v_cmp_eq_f32_e32 vcc_lo, 0, v24
	v_cmp_eq_f32_e64 s0, 0, v25
	v_fmac_f32_e32 v4, v26, v8
	v_fmac_f32_e32 v5, v27, v8
	v_lshlrev_b32_e32 v8, 2, v28
	v_fmac_f32_e32 v6, v26, v9
	v_fmac_f32_e32 v7, v27, v9
	;; [unrolled: 1-line block ×6, first 2 shown]
	s_and_b32 s0, vcc_lo, s0
	s_and_saveexec_b32 s1, s0
	s_xor_b32 s0, exec_lo, s1
	s_cbranch_execz .LBB126_38
; %bb.37:
	v_ashrrev_i32_e32 v9, 31, v8
                                        ; implicit-def: $vgpr24_vgpr25
	v_lshlrev_b64 v[8:9], 3, v[8:9]
	v_add_co_u32 v8, vcc_lo, s2, v8
	v_add_co_ci_u32_e64 v9, null, s3, v9, vcc_lo
	global_store_dwordx4 v[8:9], v[4:7], off
	global_store_dwordx4 v[8:9], v[0:3], off offset:16
                                        ; implicit-def: $vgpr4
                                        ; implicit-def: $vgpr8
                                        ; implicit-def: $vgpr0
.LBB126_38:
	s_andn2_saveexec_b32 s0, s0
	s_cbranch_execz .LBB126_8
; %bb.39:
	v_ashrrev_i32_e32 v9, 31, v8
	v_lshlrev_b64 v[8:9], 3, v[8:9]
	v_add_co_u32 v16, vcc_lo, s2, v8
	v_add_co_ci_u32_e64 v17, null, s3, v9, vcc_lo
	s_clause 0x1
	global_load_dwordx4 v[8:11], v[16:17], off
	global_load_dwordx4 v[12:15], v[16:17], off offset:16
	s_waitcnt vmcnt(1)
	v_fmac_f32_e32 v4, v24, v8
	v_fmac_f32_e32 v5, v25, v8
	;; [unrolled: 1-line block ×4, first 2 shown]
	s_waitcnt vmcnt(0)
	v_fmac_f32_e32 v0, v24, v12
	v_fmac_f32_e32 v1, v25, v12
	;; [unrolled: 1-line block ×4, first 2 shown]
	v_fma_f32 v4, -v25, v9, v4
	v_fmac_f32_e32 v5, v24, v9
	v_fma_f32 v6, -v25, v11, v6
	v_fmac_f32_e32 v7, v24, v11
	;; [unrolled: 2-line block ×4, first 2 shown]
	global_store_dwordx4 v[16:17], v[4:7], off
	global_store_dwordx4 v[16:17], v[0:3], off offset:16
	s_endpgm
	.section	.rodata,"a",@progbits
	.p2align	6, 0x0
	.amdhsa_kernel _ZN9rocsparseL18bsrxmvn_4x4_kernelILj128ELj8E21rocsparse_complex_numIfElifS2_S2_EEvT3_20rocsparse_direction_NS_24const_host_device_scalarIT1_EES3_PKS3_PKT2_SC_S9_PKT4_PKT5_S7_PT6_21rocsparse_index_base_b
		.amdhsa_group_segment_fixed_size 0
		.amdhsa_private_segment_fixed_size 0
		.amdhsa_kernarg_size 96
		.amdhsa_user_sgpr_count 6
		.amdhsa_user_sgpr_private_segment_buffer 1
		.amdhsa_user_sgpr_dispatch_ptr 0
		.amdhsa_user_sgpr_queue_ptr 0
		.amdhsa_user_sgpr_kernarg_segment_ptr 1
		.amdhsa_user_sgpr_dispatch_id 0
		.amdhsa_user_sgpr_flat_scratch_init 0
		.amdhsa_user_sgpr_private_segment_size 0
		.amdhsa_wavefront_size32 1
		.amdhsa_uses_dynamic_stack 0
		.amdhsa_system_sgpr_private_segment_wavefront_offset 0
		.amdhsa_system_sgpr_workgroup_id_x 1
		.amdhsa_system_sgpr_workgroup_id_y 0
		.amdhsa_system_sgpr_workgroup_id_z 0
		.amdhsa_system_sgpr_workgroup_info 0
		.amdhsa_system_vgpr_workitem_id 0
		.amdhsa_next_free_vgpr 105
		.amdhsa_next_free_sgpr 16
		.amdhsa_reserve_vcc 1
		.amdhsa_reserve_flat_scratch 0
		.amdhsa_float_round_mode_32 0
		.amdhsa_float_round_mode_16_64 0
		.amdhsa_float_denorm_mode_32 3
		.amdhsa_float_denorm_mode_16_64 3
		.amdhsa_dx10_clamp 1
		.amdhsa_ieee_mode 1
		.amdhsa_fp16_overflow 0
		.amdhsa_workgroup_processor_mode 1
		.amdhsa_memory_ordered 1
		.amdhsa_forward_progress 1
		.amdhsa_shared_vgpr_count 0
		.amdhsa_exception_fp_ieee_invalid_op 0
		.amdhsa_exception_fp_denorm_src 0
		.amdhsa_exception_fp_ieee_div_zero 0
		.amdhsa_exception_fp_ieee_overflow 0
		.amdhsa_exception_fp_ieee_underflow 0
		.amdhsa_exception_fp_ieee_inexact 0
		.amdhsa_exception_int_div_zero 0
	.end_amdhsa_kernel
	.section	.text._ZN9rocsparseL18bsrxmvn_4x4_kernelILj128ELj8E21rocsparse_complex_numIfElifS2_S2_EEvT3_20rocsparse_direction_NS_24const_host_device_scalarIT1_EES3_PKS3_PKT2_SC_S9_PKT4_PKT5_S7_PT6_21rocsparse_index_base_b,"axG",@progbits,_ZN9rocsparseL18bsrxmvn_4x4_kernelILj128ELj8E21rocsparse_complex_numIfElifS2_S2_EEvT3_20rocsparse_direction_NS_24const_host_device_scalarIT1_EES3_PKS3_PKT2_SC_S9_PKT4_PKT5_S7_PT6_21rocsparse_index_base_b,comdat
.Lfunc_end126:
	.size	_ZN9rocsparseL18bsrxmvn_4x4_kernelILj128ELj8E21rocsparse_complex_numIfElifS2_S2_EEvT3_20rocsparse_direction_NS_24const_host_device_scalarIT1_EES3_PKS3_PKT2_SC_S9_PKT4_PKT5_S7_PT6_21rocsparse_index_base_b, .Lfunc_end126-_ZN9rocsparseL18bsrxmvn_4x4_kernelILj128ELj8E21rocsparse_complex_numIfElifS2_S2_EEvT3_20rocsparse_direction_NS_24const_host_device_scalarIT1_EES3_PKS3_PKT2_SC_S9_PKT4_PKT5_S7_PT6_21rocsparse_index_base_b
                                        ; -- End function
	.set _ZN9rocsparseL18bsrxmvn_4x4_kernelILj128ELj8E21rocsparse_complex_numIfElifS2_S2_EEvT3_20rocsparse_direction_NS_24const_host_device_scalarIT1_EES3_PKS3_PKT2_SC_S9_PKT4_PKT5_S7_PT6_21rocsparse_index_base_b.num_vgpr, 105
	.set _ZN9rocsparseL18bsrxmvn_4x4_kernelILj128ELj8E21rocsparse_complex_numIfElifS2_S2_EEvT3_20rocsparse_direction_NS_24const_host_device_scalarIT1_EES3_PKS3_PKT2_SC_S9_PKT4_PKT5_S7_PT6_21rocsparse_index_base_b.num_agpr, 0
	.set _ZN9rocsparseL18bsrxmvn_4x4_kernelILj128ELj8E21rocsparse_complex_numIfElifS2_S2_EEvT3_20rocsparse_direction_NS_24const_host_device_scalarIT1_EES3_PKS3_PKT2_SC_S9_PKT4_PKT5_S7_PT6_21rocsparse_index_base_b.numbered_sgpr, 16
	.set _ZN9rocsparseL18bsrxmvn_4x4_kernelILj128ELj8E21rocsparse_complex_numIfElifS2_S2_EEvT3_20rocsparse_direction_NS_24const_host_device_scalarIT1_EES3_PKS3_PKT2_SC_S9_PKT4_PKT5_S7_PT6_21rocsparse_index_base_b.num_named_barrier, 0
	.set _ZN9rocsparseL18bsrxmvn_4x4_kernelILj128ELj8E21rocsparse_complex_numIfElifS2_S2_EEvT3_20rocsparse_direction_NS_24const_host_device_scalarIT1_EES3_PKS3_PKT2_SC_S9_PKT4_PKT5_S7_PT6_21rocsparse_index_base_b.private_seg_size, 0
	.set _ZN9rocsparseL18bsrxmvn_4x4_kernelILj128ELj8E21rocsparse_complex_numIfElifS2_S2_EEvT3_20rocsparse_direction_NS_24const_host_device_scalarIT1_EES3_PKS3_PKT2_SC_S9_PKT4_PKT5_S7_PT6_21rocsparse_index_base_b.uses_vcc, 1
	.set _ZN9rocsparseL18bsrxmvn_4x4_kernelILj128ELj8E21rocsparse_complex_numIfElifS2_S2_EEvT3_20rocsparse_direction_NS_24const_host_device_scalarIT1_EES3_PKS3_PKT2_SC_S9_PKT4_PKT5_S7_PT6_21rocsparse_index_base_b.uses_flat_scratch, 0
	.set _ZN9rocsparseL18bsrxmvn_4x4_kernelILj128ELj8E21rocsparse_complex_numIfElifS2_S2_EEvT3_20rocsparse_direction_NS_24const_host_device_scalarIT1_EES3_PKS3_PKT2_SC_S9_PKT4_PKT5_S7_PT6_21rocsparse_index_base_b.has_dyn_sized_stack, 0
	.set _ZN9rocsparseL18bsrxmvn_4x4_kernelILj128ELj8E21rocsparse_complex_numIfElifS2_S2_EEvT3_20rocsparse_direction_NS_24const_host_device_scalarIT1_EES3_PKS3_PKT2_SC_S9_PKT4_PKT5_S7_PT6_21rocsparse_index_base_b.has_recursion, 0
	.set _ZN9rocsparseL18bsrxmvn_4x4_kernelILj128ELj8E21rocsparse_complex_numIfElifS2_S2_EEvT3_20rocsparse_direction_NS_24const_host_device_scalarIT1_EES3_PKS3_PKT2_SC_S9_PKT4_PKT5_S7_PT6_21rocsparse_index_base_b.has_indirect_call, 0
	.section	.AMDGPU.csdata,"",@progbits
; Kernel info:
; codeLenInByte = 6692
; TotalNumSgprs: 18
; NumVgprs: 105
; ScratchSize: 0
; MemoryBound: 0
; FloatMode: 240
; IeeeMode: 1
; LDSByteSize: 0 bytes/workgroup (compile time only)
; SGPRBlocks: 0
; VGPRBlocks: 13
; NumSGPRsForWavesPerEU: 18
; NumVGPRsForWavesPerEU: 105
; Occupancy: 9
; WaveLimiterHint : 1
; COMPUTE_PGM_RSRC2:SCRATCH_EN: 0
; COMPUTE_PGM_RSRC2:USER_SGPR: 6
; COMPUTE_PGM_RSRC2:TRAP_HANDLER: 0
; COMPUTE_PGM_RSRC2:TGID_X_EN: 1
; COMPUTE_PGM_RSRC2:TGID_Y_EN: 0
; COMPUTE_PGM_RSRC2:TGID_Z_EN: 0
; COMPUTE_PGM_RSRC2:TIDIG_COMP_CNT: 0
	.section	.text._ZN9rocsparseL18bsrxmvn_4x4_kernelILj128ELj16E21rocsparse_complex_numIfElifS2_S2_EEvT3_20rocsparse_direction_NS_24const_host_device_scalarIT1_EES3_PKS3_PKT2_SC_S9_PKT4_PKT5_S7_PT6_21rocsparse_index_base_b,"axG",@progbits,_ZN9rocsparseL18bsrxmvn_4x4_kernelILj128ELj16E21rocsparse_complex_numIfElifS2_S2_EEvT3_20rocsparse_direction_NS_24const_host_device_scalarIT1_EES3_PKS3_PKT2_SC_S9_PKT4_PKT5_S7_PT6_21rocsparse_index_base_b,comdat
	.globl	_ZN9rocsparseL18bsrxmvn_4x4_kernelILj128ELj16E21rocsparse_complex_numIfElifS2_S2_EEvT3_20rocsparse_direction_NS_24const_host_device_scalarIT1_EES3_PKS3_PKT2_SC_S9_PKT4_PKT5_S7_PT6_21rocsparse_index_base_b ; -- Begin function _ZN9rocsparseL18bsrxmvn_4x4_kernelILj128ELj16E21rocsparse_complex_numIfElifS2_S2_EEvT3_20rocsparse_direction_NS_24const_host_device_scalarIT1_EES3_PKS3_PKT2_SC_S9_PKT4_PKT5_S7_PT6_21rocsparse_index_base_b
	.p2align	8
	.type	_ZN9rocsparseL18bsrxmvn_4x4_kernelILj128ELj16E21rocsparse_complex_numIfElifS2_S2_EEvT3_20rocsparse_direction_NS_24const_host_device_scalarIT1_EES3_PKS3_PKT2_SC_S9_PKT4_PKT5_S7_PT6_21rocsparse_index_base_b,@function
_ZN9rocsparseL18bsrxmvn_4x4_kernelILj128ELj16E21rocsparse_complex_numIfElifS2_S2_EEvT3_20rocsparse_direction_NS_24const_host_device_scalarIT1_EES3_PKS3_PKT2_SC_S9_PKT4_PKT5_S7_PT6_21rocsparse_index_base_b: ; @_ZN9rocsparseL18bsrxmvn_4x4_kernelILj128ELj16E21rocsparse_complex_numIfElifS2_S2_EEvT3_20rocsparse_direction_NS_24const_host_device_scalarIT1_EES3_PKS3_PKT2_SC_S9_PKT4_PKT5_S7_PT6_21rocsparse_index_base_b
; %bb.0:
	s_clause 0x2
	s_load_dwordx2 s[2:3], s[4:5], 0x58
	s_load_dwordx2 s[0:1], s[4:5], 0x8
	;; [unrolled: 1-line block ×3, first 2 shown]
	s_add_u32 s7, s4, 8
	s_addc_u32 s10, s5, 0
	s_add_u32 s11, s4, 0x48
	s_addc_u32 s12, s5, 0
	s_waitcnt lgkmcnt(0)
	s_bitcmp1_b32 s3, 0
	s_cselect_b32 s0, s7, s0
	s_cselect_b32 s1, s10, s1
	v_mov_b32_e32 v1, s0
	v_mov_b32_e32 v2, s1
	s_cselect_b32 s0, s11, s8
	s_cselect_b32 s1, s12, s9
	flat_load_dwordx2 v[30:31], v[1:2]
	v_mov_b32_e32 v1, s0
	v_mov_b32_e32 v2, s1
	flat_load_dwordx2 v[28:29], v[1:2]
	s_waitcnt vmcnt(1) lgkmcnt(1)
	v_cmp_eq_f32_e32 vcc_lo, 0, v30
	v_cmp_eq_f32_e64 s0, 0, v31
	s_and_b32 s3, vcc_lo, s0
	s_mov_b32 s0, -1
	s_and_saveexec_b32 s1, s3
	s_cbranch_execz .LBB127_2
; %bb.1:
	s_waitcnt vmcnt(0) lgkmcnt(0)
	v_cmp_neq_f32_e32 vcc_lo, 1.0, v28
	v_cmp_neq_f32_e64 s0, 0, v29
	s_or_b32 s0, vcc_lo, s0
	s_orn2_b32 s0, s0, exec_lo
.LBB127_2:
	s_or_b32 exec_lo, exec_lo, s1
	s_and_saveexec_b32 s1, s0
	s_cbranch_execz .LBB127_8
; %bb.3:
	s_clause 0x1
	s_load_dwordx2 s[8:9], s[4:5], 0x18
	s_load_dwordx2 s[0:1], s[4:5], 0x0
	v_lshrrev_b32_e32 v1, 4, v0
	v_lshl_or_b32 v32, s6, 3, v1
	s_waitcnt lgkmcnt(0)
	s_cmp_lg_u64 s[8:9], 0
	s_cbranch_scc0 .LBB127_9
; %bb.4:
	s_load_dword s3, s[4:5], 0x10
	s_mov_b32 s6, 0
                                        ; implicit-def: $vgpr1
	s_waitcnt lgkmcnt(0)
	v_cmp_gt_i32_e32 vcc_lo, s3, v32
	s_mov_b32 s3, 0
	s_and_saveexec_b32 s7, vcc_lo
	s_xor_b32 s7, exec_lo, s7
	s_cbranch_execz .LBB127_6
; %bb.5:
	v_ashrrev_i32_e32 v33, 31, v32
	s_mov_b32 s3, exec_lo
	v_lshlrev_b64 v[1:2], 2, v[32:33]
	v_add_co_u32 v1, vcc_lo, s8, v1
	v_add_co_ci_u32_e64 v2, null, s9, v2, vcc_lo
	global_load_dword v1, v[1:2], off
	s_waitcnt vmcnt(0)
	v_subrev_nc_u32_e32 v1, s2, v1
.LBB127_6:
	s_or_b32 exec_lo, exec_lo, s7
	s_and_b32 vcc_lo, exec_lo, s6
	s_cbranch_vccz .LBB127_10
.LBB127_7:
	v_cmp_gt_i32_e32 vcc_lo, s0, v32
	s_andn2_b32 s0, s3, exec_lo
	s_and_b32 s3, vcc_lo, exec_lo
	s_or_b32 s3, s0, s3
	s_and_b32 exec_lo, exec_lo, s3
	s_cbranch_execnz .LBB127_11
.LBB127_8:
	s_endpgm
.LBB127_9:
	s_mov_b32 s3, 0
                                        ; implicit-def: $vgpr1
	s_cbranch_execnz .LBB127_7
.LBB127_10:
	v_mov_b32_e32 v32, v1
	s_and_b32 exec_lo, exec_lo, s3
	s_cbranch_execz .LBB127_8
.LBB127_11:
	s_load_dwordx8 s[8:15], s[4:5], 0x20
	v_ashrrev_i32_e32 v33, 31, v32
	v_and_b32_e32 v43, 15, v0
	s_load_dwordx2 s[6:7], s[4:5], 0x40
	v_mov_b32_e32 v44, 0
	v_lshlrev_b64 v[1:2], 3, v[32:33]
	s_waitcnt lgkmcnt(0)
	v_add_co_u32 v3, vcc_lo, s8, v1
	v_add_co_ci_u32_e64 v4, null, s9, v2, vcc_lo
	v_add_co_u32 v1, vcc_lo, s10, v1
	v_add_co_ci_u32_e64 v2, null, s11, v2, vcc_lo
	v_add_co_u32 v5, vcc_lo, v3, 8
	global_load_dwordx2 v[16:17], v[3:4], off
	v_add_co_ci_u32_e64 v6, null, 0, v4, vcc_lo
	s_cmp_eq_u64 s[10:11], 0
	s_cselect_b32 vcc_lo, -1, 0
	s_cmp_eq_u32 s1, 1
	v_cndmask_b32_e32 v2, v2, v6, vcc_lo
	v_cndmask_b32_e32 v1, v1, v5, vcc_lo
	global_load_dwordx2 v[1:2], v[1:2], off
	s_waitcnt vmcnt(1)
	v_sub_co_u32 v0, vcc_lo, v16, s2
	v_subrev_co_ci_u32_e64 v3, null, 0, v17, vcc_lo
	v_add_co_u32 v33, vcc_lo, v0, v43
	v_add_co_ci_u32_e64 v34, null, 0, v3, vcc_lo
	s_waitcnt vmcnt(0)
	v_sub_co_u32 v35, vcc_lo, v1, s2
	v_lshlrev_b64 v[0:1], 6, v[33:34]
	v_subrev_co_ci_u32_e64 v36, null, 0, v2, vcc_lo
	v_add_co_u32 v37, vcc_lo, s14, v0
	v_cmp_lt_i64_e64 s0, v[33:34], v[35:36]
	v_add_co_ci_u32_e64 v38, null, s15, v1, vcc_lo
	s_cbranch_scc1 .LBB127_23
; %bb.12:
	v_mov_b32_e32 v45, 0
	v_mov_b32_e32 v46, 0
	;; [unrolled: 1-line block ×7, first 2 shown]
	s_and_saveexec_b32 s1, s0
	s_cbranch_execz .LBB127_22
; %bb.13:
	v_or_b32_e32 v0, 16, v43
	v_not_b32_e32 v3, v16
	v_not_b32_e32 v2, v17
	v_mov_b32_e32 v40, 0
	v_mov_b32_e32 v18, v37
	v_sub_co_u32 v0, s3, v0, s2
	v_sub_co_ci_u32_e64 v1, null, 0, 0, s3
	v_sub_co_u32 v4, s3, s2, v43
	v_add_co_u32 v0, vcc_lo, v0, v16
	v_add_co_ci_u32_e64 v1, null, v1, v17, vcc_lo
	v_sub_co_ci_u32_e64 v5, null, 0, 0, s3
	v_mov_b32_e32 v20, v33
	v_cmp_gt_i64_e32 vcc_lo, v[0:1], v[35:36]
	v_mov_b32_e32 v49, v40
	v_mov_b32_e32 v50, v40
	;; [unrolled: 1-line block ×5, first 2 shown]
	v_cndmask_b32_e32 v1, v36, v1, vcc_lo
	v_cndmask_b32_e32 v0, v35, v0, vcc_lo
	v_add_co_u32 v3, vcc_lo, v4, v3
	v_add_co_ci_u32_e64 v2, null, v5, v2, vcc_lo
	v_mov_b32_e32 v45, v40
	v_add_co_u32 v0, vcc_lo, v3, v0
	v_add_co_ci_u32_e64 v1, null, v2, v1, vcc_lo
	v_mov_b32_e32 v44, v40
	v_and_b32_e32 v39, 48, v0
	v_mov_b32_e32 v19, v38
	v_mov_b32_e32 v21, v34
	s_mov_b32 s3, exec_lo
	v_cmpx_ne_u64_e32 48, v[39:40]
	s_cbranch_execz .LBB127_17
; %bb.14:
	v_lshrrev_b32_e32 v2, 4, v0
	v_mov_b32_e32 v20, v33
	v_mov_b32_e32 v18, v37
	v_mov_b32_e32 v44, 0
	v_mov_b32_e32 v21, v34
	v_add_nc_u32_e32 v4, 1, v2
	v_lshlrev_b64 v[2:3], 2, v[33:34]
	v_mov_b32_e32 v19, v38
	v_mov_b32_e32 v45, 0
	v_mov_b32_e32 v46, 0
	v_and_b32_e32 v4, 3, v4
	v_mov_b32_e32 v47, 0
	v_add_co_u32 v2, vcc_lo, s12, v2
	v_add_co_ci_u32_e64 v3, null, s13, v3, vcc_lo
	v_sub_co_u32 v4, s8, 0, v4
	v_sub_co_ci_u32_e64 v5, null, 0, 0, s8
	v_mov_b32_e32 v48, 0
	v_mov_b32_e32 v50, 0
	;; [unrolled: 1-line block ×4, first 2 shown]
	s_mov_b32 s8, 0
.LBB127_15:                             ; =>This Inner Loop Header: Depth=1
	global_load_dword v14, v[2:3], off
	s_clause 0x3
	global_load_dwordx4 v[6:9], v[18:19], off offset:48
	global_load_dwordx4 v[10:13], v[18:19], off offset:32
	;; [unrolled: 1-line block ×3, first 2 shown]
	global_load_dwordx4 v[51:54], v[18:19], off
	s_waitcnt vmcnt(4)
	v_subrev_nc_u32_e32 v14, s2, v14
	v_lshlrev_b32_e32 v14, 2, v14
	v_ashrrev_i32_e32 v15, 31, v14
	v_lshlrev_b64 v[14:15], 3, v[14:15]
	v_add_co_u32 v14, vcc_lo, s6, v14
	v_add_co_ci_u32_e64 v15, null, s7, v15, vcc_lo
	v_add_co_u32 v18, vcc_lo, 0x400, v18
	v_add_co_ci_u32_e64 v19, null, 0, v19, vcc_lo
	s_clause 0x1
	global_load_dwordx4 v[55:58], v[14:15], off
	global_load_dwordx4 v[59:62], v[14:15], off offset:16
	v_add_co_u32 v20, vcc_lo, v20, 16
	v_add_co_ci_u32_e64 v21, null, 0, v21, vcc_lo
	v_add_co_u32 v4, vcc_lo, v4, 1
	v_add_co_ci_u32_e64 v5, null, 0, v5, vcc_lo
	;; [unrolled: 2-line block ×3, first 2 shown]
	v_cmp_eq_u64_e32 vcc_lo, 0, v[4:5]
	s_or_b32 s8, vcc_lo, s8
	s_waitcnt vmcnt(1)
	v_fmac_f32_e32 v45, v51, v55
	v_fmac_f32_e32 v44, 0, v55
	;; [unrolled: 1-line block ×32, first 2 shown]
	s_waitcnt vmcnt(0)
	v_fmac_f32_e32 v45, v53, v59
	v_fmac_f32_e32 v44, 0, v59
	;; [unrolled: 1-line block ×32, first 2 shown]
	s_andn2_b32 exec_lo, exec_lo, s8
	s_cbranch_execnz .LBB127_15
; %bb.16:
	s_or_b32 exec_lo, exec_lo, s8
.LBB127_17:
	s_or_b32 exec_lo, exec_lo, s3
	s_mov_b32 s3, exec_lo
	v_cmpx_lt_u64_e32 47, v[0:1]
	s_cbranch_execz .LBB127_21
; %bb.18:
	v_lshlrev_b64 v[0:1], 2, v[20:21]
	s_mov_b32 s8, 0
	v_add_co_u32 v0, vcc_lo, s12, v0
	v_add_co_ci_u32_e64 v1, null, s13, v1, vcc_lo
	v_add_co_u32 v22, vcc_lo, 0x80, v0
	v_add_co_ci_u32_e64 v23, null, 0, v1, vcc_lo
.LBB127_19:                             ; =>This Inner Loop Header: Depth=1
	s_clause 0x3
	global_load_dword v24, v[22:23], off offset:-128
	global_load_dword v25, v[22:23], off offset:-64
	global_load_dword v26, v[22:23], off
	global_load_dword v27, v[22:23], off offset:64
	s_clause 0x3
	global_load_dwordx4 v[51:54], v[18:19], off offset:48
	global_load_dwordx4 v[55:58], v[18:19], off offset:32
	;; [unrolled: 1-line block ×3, first 2 shown]
	global_load_dwordx4 v[63:66], v[18:19], off
	v_add_co_u32 v41, vcc_lo, 0x800, v18
	v_add_co_ci_u32_e64 v42, null, 0, v19, vcc_lo
	s_clause 0xa
	global_load_dwordx4 v[67:70], v[18:19], off offset:1072
	global_load_dwordx4 v[71:74], v[18:19], off offset:1056
	;; [unrolled: 1-line block ×6, first 2 shown]
	global_load_dwordx4 v[83:86], v[41:42], off
	global_load_dwordx4 v[87:90], v[41:42], off offset:16
	global_load_dwordx4 v[8:11], v[41:42], off offset:1072
	;; [unrolled: 1-line block ×4, first 2 shown]
	s_waitcnt vmcnt(18)
	v_subrev_nc_u32_e32 v24, s2, v24
	s_waitcnt vmcnt(17)
	v_subrev_nc_u32_e32 v25, s2, v25
	;; [unrolled: 2-line block ×4, first 2 shown]
	v_lshlrev_b32_e32 v24, 2, v24
	v_lshlrev_b32_e32 v99, 2, v25
	;; [unrolled: 1-line block ×3, first 2 shown]
	v_ashrrev_i32_e32 v25, 31, v24
	v_ashrrev_i32_e32 v100, 31, v99
	;; [unrolled: 1-line block ×3, first 2 shown]
	v_lshlrev_b64 v[24:25], 3, v[24:25]
	v_add_co_u32 v95, vcc_lo, s6, v24
	v_add_co_ci_u32_e64 v96, null, s7, v25, vcc_lo
	s_clause 0x1
	global_load_dwordx4 v[24:27], v[95:96], off
	global_load_dwordx4 v[95:98], v[95:96], off offset:16
	s_waitcnt vmcnt(1)
	v_fmac_f32_e32 v44, 0, v24
	v_fmac_f32_e32 v45, v63, v24
	;; [unrolled: 1-line block ×26, first 2 shown]
	s_waitcnt vmcnt(0)
	v_fmac_f32_e32 v44, 0, v95
	v_fmac_f32_e32 v47, 0x80000000, v27
	v_fmac_f32_e32 v46, v60, v27
	v_fmac_f32_e32 v50, 0x80000000, v27
	v_fmac_f32_e32 v48, v56, v27
	v_fmac_f32_e32 v40, 0x80000000, v27
	v_fmac_f32_e32 v49, v52, v27
	v_lshlrev_b64 v[26:27], 3, v[99:100]
	v_fmac_f32_e32 v45, v65, v95
	v_fmac_f32_e32 v44, v65, v96
	;; [unrolled: 1-line block ×4, first 2 shown]
	v_lshlrev_b32_e32 v24, 2, v39
	v_add_co_u32 v55, vcc_lo, s6, v26
	v_add_co_ci_u32_e64 v56, null, s7, v27, vcc_lo
	v_fmac_f32_e32 v45, 0x80000000, v96
	v_fmac_f32_e32 v44, 0, v97
	;; [unrolled: 1-line block ×7, first 2 shown]
	global_load_dwordx4 v[63:66], v[55:56], off
	v_fmac_f32_e32 v46, 0, v97
	v_fmac_f32_e32 v47, v62, v97
	v_ashrrev_i32_e32 v25, 31, v24
	v_lshlrev_b64 v[51:52], 3, v[101:102]
	v_fmac_f32_e32 v50, v57, v95
	v_fmac_f32_e32 v46, v62, v98
	global_load_dwordx4 v[59:62], v[55:56], off offset:16
	v_fmac_f32_e32 v48, v57, v96
	v_lshlrev_b64 v[24:25], 3, v[24:25]
	v_add_co_u32 v51, vcc_lo, s6, v51
	v_add_co_ci_u32_e64 v52, null, s7, v52, vcc_lo
	v_fmac_f32_e32 v50, 0x80000000, v96
	v_fmac_f32_e32 v48, 0, v97
	v_add_co_u32 v103, vcc_lo, s6, v24
	v_add_co_ci_u32_e64 v104, null, s7, v25, vcc_lo
	global_load_dwordx4 v[24:27], v[41:42], off offset:1024
	v_fmac_f32_e32 v50, v58, v97
	v_fmac_f32_e32 v48, v58, v98
	s_clause 0x1
	global_load_dwordx4 v[55:58], v[51:52], off
	global_load_dwordx4 v[99:102], v[51:52], off offset:16
	v_fmac_f32_e32 v49, 0, v95
	v_fmac_f32_e32 v40, v53, v95
	;; [unrolled: 1-line block ×7, first 2 shown]
	v_add_co_u32 v20, vcc_lo, v20, 64
	v_add_co_ci_u32_e64 v21, null, 0, v21, vcc_lo
	v_fmac_f32_e32 v49, 0, v97
	v_fmac_f32_e32 v40, v54, v97
	v_add_co_u32 v22, vcc_lo, 0x100, v22
	v_add_co_ci_u32_e64 v23, null, 0, v23, vcc_lo
	v_fmac_f32_e32 v49, v54, v98
	global_load_dwordx4 v[51:54], v[103:104], off
	v_fmac_f32_e32 v40, 0x80000000, v98
	global_load_dwordx4 v[95:98], v[103:104], off offset:16
	v_add_co_u32 v18, vcc_lo, 0x1000, v18
	v_add_co_ci_u32_e64 v19, null, 0, v19, vcc_lo
	v_cmp_ge_i64_e32 vcc_lo, v[20:21], v[35:36]
	s_or_b32 s8, vcc_lo, s8
	s_waitcnt vmcnt(6)
	v_fmac_f32_e32 v45, v79, v63
	v_fmac_f32_e32 v44, 0, v63
	v_fmac_f32_e32 v47, v75, v63
	v_fmac_f32_e32 v46, 0, v63
	v_fmac_f32_e32 v50, v71, v63
	v_fmac_f32_e32 v48, 0, v63
	v_fmac_f32_e32 v40, v67, v63
	v_fmac_f32_e32 v49, 0, v63
	v_fmac_f32_e32 v45, 0x80000000, v64
	v_fmac_f32_e32 v44, v79, v64
	v_fmac_f32_e32 v47, 0x80000000, v64
	v_fmac_f32_e32 v46, v75, v64
	v_fmac_f32_e32 v50, 0x80000000, v64
	v_fmac_f32_e32 v48, v71, v64
	v_fmac_f32_e32 v40, 0x80000000, v64
	v_fmac_f32_e32 v49, v67, v64
	v_fmac_f32_e32 v45, v80, v65
	v_fmac_f32_e32 v44, 0, v65
	v_fmac_f32_e32 v47, v76, v65
	v_fmac_f32_e32 v46, 0, v65
	v_fmac_f32_e32 v50, v72, v65
	v_fmac_f32_e32 v48, 0, v65
	v_fmac_f32_e32 v40, v68, v65
	v_fmac_f32_e32 v49, 0, v65
	v_fmac_f32_e32 v45, 0x80000000, v66
	v_fmac_f32_e32 v44, v80, v66
	v_fmac_f32_e32 v47, 0x80000000, v66
	v_fmac_f32_e32 v46, v76, v66
	v_fmac_f32_e32 v50, 0x80000000, v66
	v_fmac_f32_e32 v48, v72, v66
	v_fmac_f32_e32 v40, 0x80000000, v66
	v_fmac_f32_e32 v49, v68, v66
	s_waitcnt vmcnt(5)
	v_fmac_f32_e32 v44, 0, v59
	v_fmac_f32_e32 v45, v81, v59
	v_fmac_f32_e32 v46, 0, v59
	v_fmac_f32_e32 v47, v77, v59
	v_fmac_f32_e32 v48, 0, v59
	v_fmac_f32_e32 v50, v73, v59
	v_fmac_f32_e32 v49, 0, v59
	v_fmac_f32_e32 v40, v69, v59
	v_fmac_f32_e32 v44, v81, v60
	v_fmac_f32_e32 v45, 0x80000000, v60
	v_fmac_f32_e32 v46, v77, v60
	v_fmac_f32_e32 v47, 0x80000000, v60
	v_fmac_f32_e32 v48, v73, v60
	v_fmac_f32_e32 v50, 0x80000000, v60
	v_fmac_f32_e32 v49, v69, v60
	v_fmac_f32_e32 v40, 0x80000000, v60
	v_fmac_f32_e32 v44, 0, v61
	v_fmac_f32_e32 v45, v82, v61
	v_fmac_f32_e32 v46, 0, v61
	v_fmac_f32_e32 v47, v78, v61
	v_fmac_f32_e32 v48, 0, v61
	v_fmac_f32_e32 v50, v74, v61
	v_fmac_f32_e32 v49, 0, v61
	v_fmac_f32_e32 v40, v70, v61
	v_fmac_f32_e32 v44, v82, v62
	v_fmac_f32_e32 v46, v78, v62
	v_fmac_f32_e32 v48, v74, v62
	v_fmac_f32_e32 v45, 0x80000000, v62
	v_fmac_f32_e32 v49, v70, v62
	v_fmac_f32_e32 v47, 0x80000000, v62
	v_fmac_f32_e32 v50, 0x80000000, v62
	v_fmac_f32_e32 v40, 0x80000000, v62
	;; [unrolled: 33-line block ×6, first 2 shown]
	s_andn2_b32 exec_lo, exec_lo, s8
	s_cbranch_execnz .LBB127_19
; %bb.20:
	s_or_b32 exec_lo, exec_lo, s8
.LBB127_21:
	s_or_b32 exec_lo, exec_lo, s3
.LBB127_22:
	s_or_b32 exec_lo, exec_lo, s1
	s_cbranch_execz .LBB127_24
	s_branch .LBB127_35
.LBB127_23:
                                        ; implicit-def: $vgpr44
                                        ; implicit-def: $vgpr45
                                        ; implicit-def: $vgpr46
                                        ; implicit-def: $vgpr47
                                        ; implicit-def: $vgpr48
                                        ; implicit-def: $vgpr50
                                        ; implicit-def: $vgpr49
                                        ; implicit-def: $vgpr40
.LBB127_24:
	v_mov_b32_e32 v44, 0
	v_mov_b32_e32 v45, 0
	;; [unrolled: 1-line block ×8, first 2 shown]
	s_and_saveexec_b32 s1, s0
	s_cbranch_execz .LBB127_34
; %bb.25:
	v_or_b32_e32 v0, 16, v43
	v_not_b32_e32 v3, v16
	v_not_b32_e32 v2, v17
	v_mov_b32_e32 v40, 0
	v_sub_co_u32 v0, s0, v0, s2
	v_sub_co_ci_u32_e64 v1, null, 0, 0, s0
	v_sub_co_u32 v4, s0, s2, v43
	v_add_co_u32 v0, vcc_lo, v0, v16
	v_add_co_ci_u32_e64 v1, null, v1, v17, vcc_lo
	v_sub_co_ci_u32_e64 v5, null, 0, 0, s0
	v_add_co_u32 v3, s0, v4, v3
	v_cmp_gt_i64_e32 vcc_lo, v[0:1], v[35:36]
	v_add_co_ci_u32_e64 v2, null, v5, v2, s0
	v_mov_b32_e32 v49, v40
	v_mov_b32_e32 v50, v40
	v_mov_b32_e32 v48, v40
	v_cndmask_b32_e32 v0, v35, v0, vcc_lo
	v_cndmask_b32_e32 v1, v36, v1, vcc_lo
	v_mov_b32_e32 v47, v40
	v_mov_b32_e32 v46, v40
	;; [unrolled: 1-line block ×3, first 2 shown]
	v_add_co_u32 v0, vcc_lo, v3, v0
	v_add_co_ci_u32_e64 v1, null, v2, v1, vcc_lo
	v_mov_b32_e32 v44, v40
	v_and_b32_e32 v39, 48, v0
	s_mov_b32 s0, exec_lo
	v_cmpx_ne_u64_e32 48, v[39:40]
	s_cbranch_execz .LBB127_29
; %bb.26:
	v_lshrrev_b32_e32 v2, 4, v0
	v_mov_b32_e32 v44, 0
	v_mov_b32_e32 v45, 0
	;; [unrolled: 1-line block ×4, first 2 shown]
	v_add_nc_u32_e32 v4, 1, v2
	v_lshlrev_b64 v[2:3], 2, v[33:34]
	v_mov_b32_e32 v48, 0
	v_mov_b32_e32 v50, 0
	;; [unrolled: 1-line block ×3, first 2 shown]
	v_and_b32_e32 v4, 3, v4
	v_mov_b32_e32 v40, 0
	v_add_co_u32 v2, vcc_lo, s12, v2
	v_add_co_ci_u32_e64 v3, null, s13, v3, vcc_lo
	v_sub_co_u32 v4, s3, 0, v4
	v_sub_co_ci_u32_e64 v5, null, 0, 0, s3
	s_mov_b32 s3, 0
.LBB127_27:                             ; =>This Inner Loop Header: Depth=1
	global_load_dword v14, v[2:3], off
	s_clause 0x1
	global_load_dwordx4 v[6:9], v[37:38], off offset:16
	global_load_dwordx4 v[10:13], v[37:38], off
	s_waitcnt vmcnt(2)
	v_subrev_nc_u32_e32 v14, s2, v14
	v_lshlrev_b32_e32 v14, 2, v14
	v_ashrrev_i32_e32 v15, 31, v14
	v_lshlrev_b64 v[14:15], 3, v[14:15]
	v_add_co_u32 v18, vcc_lo, s6, v14
	v_add_co_ci_u32_e64 v19, null, s7, v15, vcc_lo
	s_clause 0x1
	global_load_dwordx4 v[14:17], v[18:19], off
	global_load_dwordx4 v[18:21], v[18:19], off offset:16
	s_clause 0x1
	global_load_dwordx4 v[22:25], v[37:38], off offset:32
	global_load_dwordx4 v[51:54], v[37:38], off offset:48
	v_add_co_u32 v37, vcc_lo, 0x400, v37
	v_add_co_ci_u32_e64 v38, null, 0, v38, vcc_lo
	v_add_co_u32 v33, vcc_lo, v33, 16
	v_add_co_ci_u32_e64 v34, null, 0, v34, vcc_lo
	;; [unrolled: 2-line block ×4, first 2 shown]
	v_cmp_eq_u64_e32 vcc_lo, 0, v[4:5]
	s_or_b32 s3, vcc_lo, s3
	s_waitcnt vmcnt(3)
	v_fmac_f32_e32 v45, v10, v14
	v_fmac_f32_e32 v44, 0, v14
	;; [unrolled: 1-line block ×32, first 2 shown]
	s_waitcnt vmcnt(1)
	v_fmac_f32_e32 v45, v22, v18
	v_fmac_f32_e32 v44, 0, v18
	;; [unrolled: 1-line block ×16, first 2 shown]
	s_waitcnt vmcnt(0)
	v_fmac_f32_e32 v45, v51, v20
	v_fmac_f32_e32 v44, 0, v20
	;; [unrolled: 1-line block ×16, first 2 shown]
	s_andn2_b32 exec_lo, exec_lo, s3
	s_cbranch_execnz .LBB127_27
; %bb.28:
	s_or_b32 exec_lo, exec_lo, s3
.LBB127_29:
	s_or_b32 exec_lo, exec_lo, s0
	s_mov_b32 s0, exec_lo
	v_cmpx_lt_u64_e32 47, v[0:1]
	s_cbranch_execz .LBB127_33
; %bb.30:
	v_lshlrev_b64 v[0:1], 2, v[33:34]
	s_mov_b32 s3, 0
	v_add_co_u32 v0, vcc_lo, s12, v0
	v_add_co_ci_u32_e64 v1, null, s13, v1, vcc_lo
	v_add_co_u32 v41, vcc_lo, 0x80, v0
	v_add_co_ci_u32_e64 v42, null, 0, v1, vcc_lo
.LBB127_31:                             ; =>This Inner Loop Header: Depth=1
	global_load_dword v39, v[41:42], off offset:-128
	s_clause 0x5
	global_load_dwordx4 v[4:7], v[37:38], off offset:48
	global_load_dwordx4 v[8:11], v[37:38], off offset:32
	;; [unrolled: 1-line block ×3, first 2 shown]
	global_load_dwordx4 v[24:27], v[37:38], off
	global_load_dwordx4 v[0:3], v[37:38], off offset:1072
	global_load_dwordx4 v[12:15], v[37:38], off offset:1056
	v_add_co_u32 v79, vcc_lo, 0x800, v37
	v_add_co_ci_u32_e64 v80, null, 0, v38, vcc_lo
	s_clause 0x1
	global_load_dwordx4 v[51:54], v[37:38], off offset:1040
	global_load_dwordx4 v[55:58], v[37:38], off offset:1024
	s_clause 0x2
	global_load_dword v75, v[41:42], off offset:-64
	global_load_dword v76, v[41:42], off
	global_load_dword v77, v[41:42], off offset:64
	s_clause 0x2
	global_load_dwordx4 v[59:62], v[79:80], off
	global_load_dwordx4 v[20:23], v[79:80], off offset:48
	global_load_dwordx4 v[63:66], v[79:80], off offset:32
	s_waitcnt vmcnt(14)
	v_subrev_nc_u32_e32 v39, s2, v39
	v_lshlrev_b32_e32 v67, 2, v39
	s_waitcnt vmcnt(5)
	v_subrev_nc_u32_e32 v39, s2, v75
	s_waitcnt vmcnt(4)
	v_subrev_nc_u32_e32 v76, s2, v76
	;; [unrolled: 2-line block ×3, first 2 shown]
	v_ashrrev_i32_e32 v68, 31, v67
	v_lshlrev_b32_e32 v75, 2, v39
	v_lshlrev_b32_e32 v77, 2, v76
	v_lshlrev_b64 v[67:68], 3, v[67:68]
	v_ashrrev_i32_e32 v76, 31, v75
	v_add_co_u32 v71, vcc_lo, s6, v67
	v_add_co_ci_u32_e64 v72, null, s7, v68, vcc_lo
	s_clause 0x1
	global_load_dwordx4 v[67:70], v[71:72], off
	global_load_dwordx4 v[71:74], v[71:72], off offset:16
	s_waitcnt vmcnt(1)
	v_fmac_f32_e32 v44, 0, v67
	v_fmac_f32_e32 v45, v24, v67
	;; [unrolled: 1-line block ×29, first 2 shown]
	s_waitcnt vmcnt(0)
	v_fmac_f32_e32 v44, 0, v71
	v_fmac_f32_e32 v47, 0x80000000, v70
	;; [unrolled: 1-line block ×9, first 2 shown]
	v_lshlrev_b32_e32 v8, 2, v78
	v_ashrrev_i32_e32 v78, 31, v77
	v_fmac_f32_e32 v47, v9, v71
	v_fmac_f32_e32 v50, v10, v71
	;; [unrolled: 1-line block ×6, first 2 shown]
	v_ashrrev_i32_e32 v9, 31, v8
	v_lshlrev_b64 v[10:11], 3, v[75:76]
	v_lshlrev_b64 v[75:76], 3, v[77:78]
	v_fmac_f32_e32 v45, 0x80000000, v72
	v_fmac_f32_e32 v47, 0x80000000, v72
	v_lshlrev_b64 v[8:9], 3, v[8:9]
	v_fmac_f32_e32 v50, 0x80000000, v72
	v_add_co_u32 v10, vcc_lo, s6, v10
	v_add_co_ci_u32_e64 v11, null, s7, v11, vcc_lo
	v_fmac_f32_e32 v40, 0x80000000, v72
	v_fmac_f32_e32 v44, 0, v73
	;; [unrolled: 1-line block ×5, first 2 shown]
	v_add_co_u32 v75, vcc_lo, s6, v75
	v_add_co_ci_u32_e64 v76, null, s7, v76, vcc_lo
	v_add_co_u32 v77, vcc_lo, s6, v8
	s_clause 0x2
	global_load_dwordx4 v[24:27], v[79:80], off offset:16
	global_load_dwordx4 v[67:70], v[79:80], off offset:1024
	;; [unrolled: 1-line block ×3, first 2 shown]
	v_add_co_ci_u32_e64 v78, null, s7, v9, vcc_lo
	v_fmac_f32_e32 v45, v4, v73
	v_fmac_f32_e32 v47, v5, v73
	;; [unrolled: 1-line block ×8, first 2 shown]
	s_clause 0x1
	global_load_dwordx4 v[4:7], v[10:11], off
	global_load_dwordx4 v[8:11], v[10:11], off offset:16
	v_fmac_f32_e32 v45, 0x80000000, v74
	v_fmac_f32_e32 v47, 0x80000000, v74
	;; [unrolled: 1-line block ×4, first 2 shown]
	global_load_dwordx4 v[71:74], v[75:76], off
	v_add_co_u32 v33, vcc_lo, v33, 64
	v_add_co_ci_u32_e64 v34, null, 0, v34, vcc_lo
	v_add_co_u32 v41, vcc_lo, 0x100, v41
	v_add_co_ci_u32_e64 v42, null, 0, v42, vcc_lo
	;; [unrolled: 2-line block ×3, first 2 shown]
	v_cmp_ge_i64_e32 vcc_lo, v[33:34], v[35:36]
	s_or_b32 s3, vcc_lo, s3
	s_waitcnt vmcnt(2)
	v_fmac_f32_e32 v44, 0, v4
	v_fmac_f32_e32 v46, 0, v4
	;; [unrolled: 1-line block ×12, first 2 shown]
	global_load_dwordx4 v[55:58], v[75:76], off offset:16
	v_fmac_f32_e32 v45, 0x80000000, v5
	v_fmac_f32_e32 v47, 0x80000000, v5
	;; [unrolled: 1-line block ×16, first 2 shown]
	global_load_dwordx4 v[51:54], v[77:78], off
	v_fmac_f32_e32 v45, 0x80000000, v7
	v_fmac_f32_e32 v47, 0x80000000, v7
	;; [unrolled: 1-line block ×4, first 2 shown]
	global_load_dwordx4 v[4:7], v[79:80], off offset:1056
	global_load_dwordx4 v[75:78], v[77:78], off offset:16
	s_waitcnt vmcnt(5)
	v_fmac_f32_e32 v44, 0, v8
	v_fmac_f32_e32 v46, 0, v8
	;; [unrolled: 1-line block ×12, first 2 shown]
	global_load_dwordx4 v[12:15], v[79:80], off offset:1072
	v_fmac_f32_e32 v45, 0x80000000, v9
	v_fmac_f32_e32 v47, 0x80000000, v9
	v_fmac_f32_e32 v50, 0x80000000, v9
	v_fmac_f32_e32 v40, 0x80000000, v9
	v_fmac_f32_e32 v44, 0, v10
	v_fmac_f32_e32 v45, v0, v10
	v_fmac_f32_e32 v47, v1, v10
	v_fmac_f32_e32 v46, 0, v10
	v_fmac_f32_e32 v50, v2, v10
	v_fmac_f32_e32 v48, 0, v10
	v_fmac_f32_e32 v49, 0, v10
	v_fmac_f32_e32 v40, v3, v10
	v_fmac_f32_e32 v44, v0, v11
	v_fmac_f32_e32 v46, v1, v11
	v_fmac_f32_e32 v48, v2, v11
	v_fmac_f32_e32 v45, 0x80000000, v11
	v_fmac_f32_e32 v49, v3, v11
	v_fmac_f32_e32 v47, 0x80000000, v11
	v_fmac_f32_e32 v50, 0x80000000, v11
	v_fmac_f32_e32 v40, 0x80000000, v11
	s_waitcnt vmcnt(5)
	v_fmac_f32_e32 v45, v59, v71
	v_fmac_f32_e32 v44, 0, v71
	v_fmac_f32_e32 v47, v60, v71
	v_fmac_f32_e32 v46, 0, v71
	v_fmac_f32_e32 v50, v61, v71
	v_fmac_f32_e32 v48, 0, v71
	v_fmac_f32_e32 v49, 0, v71
	v_fmac_f32_e32 v40, v62, v71
	v_fmac_f32_e32 v44, v59, v72
	v_fmac_f32_e32 v46, v60, v72
	v_fmac_f32_e32 v48, v61, v72
	v_fmac_f32_e32 v45, 0x80000000, v72
	v_fmac_f32_e32 v49, v62, v72
	v_fmac_f32_e32 v47, 0x80000000, v72
	v_fmac_f32_e32 v50, 0x80000000, v72
	v_fmac_f32_e32 v40, 0x80000000, v72
	v_fmac_f32_e32 v45, v24, v73
	v_fmac_f32_e32 v44, 0, v73
	v_fmac_f32_e32 v47, v25, v73
	v_fmac_f32_e32 v46, 0, v73
	v_fmac_f32_e32 v50, v26, v73
	v_fmac_f32_e32 v48, 0, v73
	v_fmac_f32_e32 v49, 0, v73
	v_fmac_f32_e32 v40, v27, v73
	v_fmac_f32_e32 v44, v24, v74
	v_fmac_f32_e32 v46, v25, v74
	v_fmac_f32_e32 v48, v26, v74
	v_fmac_f32_e32 v45, 0x80000000, v74
	v_fmac_f32_e32 v49, v27, v74
	v_fmac_f32_e32 v47, 0x80000000, v74
	v_fmac_f32_e32 v50, 0x80000000, v74
	v_fmac_f32_e32 v40, 0x80000000, v74
	s_waitcnt vmcnt(4)
	v_fmac_f32_e32 v45, v63, v55
	v_fmac_f32_e32 v44, 0, v55
	v_fmac_f32_e32 v47, v64, v55
	v_fmac_f32_e32 v46, 0, v55
	v_fmac_f32_e32 v50, v65, v55
	v_fmac_f32_e32 v48, 0, v55
	v_fmac_f32_e32 v40, v66, v55
	v_fmac_f32_e32 v49, 0, v55
	v_fmac_f32_e32 v45, 0x80000000, v56
	v_fmac_f32_e32 v44, v63, v56
	v_fmac_f32_e32 v47, 0x80000000, v56
	v_fmac_f32_e32 v46, v64, v56
	;; [unrolled: 33-line block ×4, first 2 shown]
	v_fmac_f32_e32 v50, 0x80000000, v76
	v_fmac_f32_e32 v48, v6, v76
	v_fmac_f32_e32 v40, 0x80000000, v76
	v_fmac_f32_e32 v49, v7, v76
	s_waitcnt vmcnt(0)
	v_fmac_f32_e32 v45, v12, v77
	v_fmac_f32_e32 v44, 0, v77
	;; [unrolled: 1-line block ×16, first 2 shown]
	s_andn2_b32 exec_lo, exec_lo, s3
	s_cbranch_execnz .LBB127_31
; %bb.32:
	s_or_b32 exec_lo, exec_lo, s3
.LBB127_33:
	s_or_b32 exec_lo, exec_lo, s0
.LBB127_34:
	s_or_b32 exec_lo, exec_lo, s1
.LBB127_35:
	v_mbcnt_lo_u32_b32 v0, -1, 0
	v_xor_b32_e32 v1, 8, v0
	v_xor_b32_e32 v9, 4, v0
	v_xor_b32_e32 v17, 2, v0
	v_cmp_gt_i32_e32 vcc_lo, 32, v1
	v_cndmask_b32_e32 v1, v0, v1, vcc_lo
	v_cmp_gt_i32_e32 vcc_lo, 32, v9
	v_lshlrev_b32_e32 v1, 2, v1
	v_cndmask_b32_e32 v9, v0, v9, vcc_lo
	v_cmp_gt_i32_e32 vcc_lo, 32, v17
	ds_bpermute_b32 v2, v1, v45
	ds_bpermute_b32 v3, v1, v44
	;; [unrolled: 1-line block ×8, first 2 shown]
	v_lshlrev_b32_e32 v9, 2, v9
	v_cndmask_b32_e32 v17, v0, v17, vcc_lo
	v_lshlrev_b32_e32 v17, 2, v17
	s_waitcnt lgkmcnt(7)
	v_add_f32_e32 v2, v45, v2
	s_waitcnt lgkmcnt(6)
	v_add_f32_e32 v3, v44, v3
	;; [unrolled: 2-line block ×8, first 2 shown]
	ds_bpermute_b32 v10, v9, v2
	ds_bpermute_b32 v11, v9, v3
	;; [unrolled: 1-line block ×8, first 2 shown]
	s_waitcnt lgkmcnt(7)
	v_add_f32_e32 v2, v2, v10
	s_waitcnt lgkmcnt(6)
	v_add_f32_e32 v3, v3, v11
	;; [unrolled: 2-line block ×8, first 2 shown]
	ds_bpermute_b32 v1, v17, v2
	ds_bpermute_b32 v10, v17, v3
	;; [unrolled: 1-line block ×8, first 2 shown]
	v_xor_b32_e32 v17, 1, v0
	v_cmp_gt_i32_e32 vcc_lo, 32, v17
	v_cndmask_b32_e32 v0, v0, v17, vcc_lo
	v_cmp_eq_u32_e32 vcc_lo, 15, v43
	v_lshlrev_b32_e32 v17, 2, v0
	s_waitcnt lgkmcnt(7)
	v_add_f32_e32 v0, v2, v1
	s_waitcnt lgkmcnt(6)
	v_add_f32_e32 v1, v3, v10
	s_waitcnt lgkmcnt(5)
	v_add_f32_e32 v2, v4, v11
	s_waitcnt lgkmcnt(4)
	v_add_f32_e32 v3, v5, v12
	s_waitcnt lgkmcnt(3)
	v_add_f32_e32 v4, v6, v13
	s_waitcnt lgkmcnt(2)
	v_add_f32_e32 v5, v7, v14
	s_waitcnt lgkmcnt(1)
	v_add_f32_e32 v6, v8, v15
	s_waitcnt lgkmcnt(0)
	v_add_f32_e32 v7, v9, v16
	ds_bpermute_b32 v8, v17, v0
	ds_bpermute_b32 v9, v17, v1
	;; [unrolled: 1-line block ×8, first 2 shown]
	s_and_b32 exec_lo, exec_lo, vcc_lo
	s_cbranch_execz .LBB127_8
; %bb.36:
	s_load_dwordx2 s[2:3], s[4:5], 0x50
	s_waitcnt lgkmcnt(0)
	v_add_f32_e32 v8, v0, v8
	v_add_f32_e32 v0, v1, v9
	;; [unrolled: 1-line block ×8, first 2 shown]
	v_mul_f32_e64 v4, v0, -v31
	v_mul_f32_e32 v5, v30, v0
	v_mul_f32_e64 v6, v1, -v31
	v_mul_f32_e32 v7, v30, v1
	v_mul_f32_e64 v0, v2, -v31
	v_mul_f32_e32 v1, v30, v2
	v_mul_f32_e64 v2, v3, -v31
	v_mul_f32_e32 v3, v30, v3
	v_cmp_eq_f32_e32 vcc_lo, 0, v28
	v_cmp_eq_f32_e64 s0, 0, v29
	v_fmac_f32_e32 v4, v30, v8
	v_fmac_f32_e32 v5, v31, v8
	v_lshlrev_b32_e32 v8, 2, v32
	v_fmac_f32_e32 v6, v30, v9
	v_fmac_f32_e32 v7, v31, v9
	;; [unrolled: 1-line block ×6, first 2 shown]
	s_and_b32 s0, vcc_lo, s0
	s_and_saveexec_b32 s1, s0
	s_xor_b32 s0, exec_lo, s1
	s_cbranch_execz .LBB127_38
; %bb.37:
	v_ashrrev_i32_e32 v9, 31, v8
                                        ; implicit-def: $vgpr28_vgpr29
	v_lshlrev_b64 v[8:9], 3, v[8:9]
	v_add_co_u32 v8, vcc_lo, s2, v8
	v_add_co_ci_u32_e64 v9, null, s3, v9, vcc_lo
	global_store_dwordx4 v[8:9], v[4:7], off
	global_store_dwordx4 v[8:9], v[0:3], off offset:16
                                        ; implicit-def: $vgpr4
                                        ; implicit-def: $vgpr8
                                        ; implicit-def: $vgpr0
.LBB127_38:
	s_andn2_saveexec_b32 s0, s0
	s_cbranch_execz .LBB127_8
; %bb.39:
	v_ashrrev_i32_e32 v9, 31, v8
	v_lshlrev_b64 v[8:9], 3, v[8:9]
	v_add_co_u32 v16, vcc_lo, s2, v8
	v_add_co_ci_u32_e64 v17, null, s3, v9, vcc_lo
	s_clause 0x1
	global_load_dwordx4 v[8:11], v[16:17], off
	global_load_dwordx4 v[12:15], v[16:17], off offset:16
	s_waitcnt vmcnt(1)
	v_fmac_f32_e32 v4, v28, v8
	v_fmac_f32_e32 v5, v29, v8
	;; [unrolled: 1-line block ×4, first 2 shown]
	s_waitcnt vmcnt(0)
	v_fmac_f32_e32 v0, v28, v12
	v_fmac_f32_e32 v1, v29, v12
	;; [unrolled: 1-line block ×4, first 2 shown]
	v_fma_f32 v4, -v29, v9, v4
	v_fmac_f32_e32 v5, v28, v9
	v_fma_f32 v6, -v29, v11, v6
	v_fmac_f32_e32 v7, v28, v11
	;; [unrolled: 2-line block ×4, first 2 shown]
	global_store_dwordx4 v[16:17], v[4:7], off
	global_store_dwordx4 v[16:17], v[0:3], off offset:16
	s_endpgm
	.section	.rodata,"a",@progbits
	.p2align	6, 0x0
	.amdhsa_kernel _ZN9rocsparseL18bsrxmvn_4x4_kernelILj128ELj16E21rocsparse_complex_numIfElifS2_S2_EEvT3_20rocsparse_direction_NS_24const_host_device_scalarIT1_EES3_PKS3_PKT2_SC_S9_PKT4_PKT5_S7_PT6_21rocsparse_index_base_b
		.amdhsa_group_segment_fixed_size 0
		.amdhsa_private_segment_fixed_size 0
		.amdhsa_kernarg_size 96
		.amdhsa_user_sgpr_count 6
		.amdhsa_user_sgpr_private_segment_buffer 1
		.amdhsa_user_sgpr_dispatch_ptr 0
		.amdhsa_user_sgpr_queue_ptr 0
		.amdhsa_user_sgpr_kernarg_segment_ptr 1
		.amdhsa_user_sgpr_dispatch_id 0
		.amdhsa_user_sgpr_flat_scratch_init 0
		.amdhsa_user_sgpr_private_segment_size 0
		.amdhsa_wavefront_size32 1
		.amdhsa_uses_dynamic_stack 0
		.amdhsa_system_sgpr_private_segment_wavefront_offset 0
		.amdhsa_system_sgpr_workgroup_id_x 1
		.amdhsa_system_sgpr_workgroup_id_y 0
		.amdhsa_system_sgpr_workgroup_id_z 0
		.amdhsa_system_sgpr_workgroup_info 0
		.amdhsa_system_vgpr_workitem_id 0
		.amdhsa_next_free_vgpr 105
		.amdhsa_next_free_sgpr 16
		.amdhsa_reserve_vcc 1
		.amdhsa_reserve_flat_scratch 0
		.amdhsa_float_round_mode_32 0
		.amdhsa_float_round_mode_16_64 0
		.amdhsa_float_denorm_mode_32 3
		.amdhsa_float_denorm_mode_16_64 3
		.amdhsa_dx10_clamp 1
		.amdhsa_ieee_mode 1
		.amdhsa_fp16_overflow 0
		.amdhsa_workgroup_processor_mode 1
		.amdhsa_memory_ordered 1
		.amdhsa_forward_progress 1
		.amdhsa_shared_vgpr_count 0
		.amdhsa_exception_fp_ieee_invalid_op 0
		.amdhsa_exception_fp_denorm_src 0
		.amdhsa_exception_fp_ieee_div_zero 0
		.amdhsa_exception_fp_ieee_overflow 0
		.amdhsa_exception_fp_ieee_underflow 0
		.amdhsa_exception_fp_ieee_inexact 0
		.amdhsa_exception_int_div_zero 0
	.end_amdhsa_kernel
	.section	.text._ZN9rocsparseL18bsrxmvn_4x4_kernelILj128ELj16E21rocsparse_complex_numIfElifS2_S2_EEvT3_20rocsparse_direction_NS_24const_host_device_scalarIT1_EES3_PKS3_PKT2_SC_S9_PKT4_PKT5_S7_PT6_21rocsparse_index_base_b,"axG",@progbits,_ZN9rocsparseL18bsrxmvn_4x4_kernelILj128ELj16E21rocsparse_complex_numIfElifS2_S2_EEvT3_20rocsparse_direction_NS_24const_host_device_scalarIT1_EES3_PKS3_PKT2_SC_S9_PKT4_PKT5_S7_PT6_21rocsparse_index_base_b,comdat
.Lfunc_end127:
	.size	_ZN9rocsparseL18bsrxmvn_4x4_kernelILj128ELj16E21rocsparse_complex_numIfElifS2_S2_EEvT3_20rocsparse_direction_NS_24const_host_device_scalarIT1_EES3_PKS3_PKT2_SC_S9_PKT4_PKT5_S7_PT6_21rocsparse_index_base_b, .Lfunc_end127-_ZN9rocsparseL18bsrxmvn_4x4_kernelILj128ELj16E21rocsparse_complex_numIfElifS2_S2_EEvT3_20rocsparse_direction_NS_24const_host_device_scalarIT1_EES3_PKS3_PKT2_SC_S9_PKT4_PKT5_S7_PT6_21rocsparse_index_base_b
                                        ; -- End function
	.set _ZN9rocsparseL18bsrxmvn_4x4_kernelILj128ELj16E21rocsparse_complex_numIfElifS2_S2_EEvT3_20rocsparse_direction_NS_24const_host_device_scalarIT1_EES3_PKS3_PKT2_SC_S9_PKT4_PKT5_S7_PT6_21rocsparse_index_base_b.num_vgpr, 105
	.set _ZN9rocsparseL18bsrxmvn_4x4_kernelILj128ELj16E21rocsparse_complex_numIfElifS2_S2_EEvT3_20rocsparse_direction_NS_24const_host_device_scalarIT1_EES3_PKS3_PKT2_SC_S9_PKT4_PKT5_S7_PT6_21rocsparse_index_base_b.num_agpr, 0
	.set _ZN9rocsparseL18bsrxmvn_4x4_kernelILj128ELj16E21rocsparse_complex_numIfElifS2_S2_EEvT3_20rocsparse_direction_NS_24const_host_device_scalarIT1_EES3_PKS3_PKT2_SC_S9_PKT4_PKT5_S7_PT6_21rocsparse_index_base_b.numbered_sgpr, 16
	.set _ZN9rocsparseL18bsrxmvn_4x4_kernelILj128ELj16E21rocsparse_complex_numIfElifS2_S2_EEvT3_20rocsparse_direction_NS_24const_host_device_scalarIT1_EES3_PKS3_PKT2_SC_S9_PKT4_PKT5_S7_PT6_21rocsparse_index_base_b.num_named_barrier, 0
	.set _ZN9rocsparseL18bsrxmvn_4x4_kernelILj128ELj16E21rocsparse_complex_numIfElifS2_S2_EEvT3_20rocsparse_direction_NS_24const_host_device_scalarIT1_EES3_PKS3_PKT2_SC_S9_PKT4_PKT5_S7_PT6_21rocsparse_index_base_b.private_seg_size, 0
	.set _ZN9rocsparseL18bsrxmvn_4x4_kernelILj128ELj16E21rocsparse_complex_numIfElifS2_S2_EEvT3_20rocsparse_direction_NS_24const_host_device_scalarIT1_EES3_PKS3_PKT2_SC_S9_PKT4_PKT5_S7_PT6_21rocsparse_index_base_b.uses_vcc, 1
	.set _ZN9rocsparseL18bsrxmvn_4x4_kernelILj128ELj16E21rocsparse_complex_numIfElifS2_S2_EEvT3_20rocsparse_direction_NS_24const_host_device_scalarIT1_EES3_PKS3_PKT2_SC_S9_PKT4_PKT5_S7_PT6_21rocsparse_index_base_b.uses_flat_scratch, 0
	.set _ZN9rocsparseL18bsrxmvn_4x4_kernelILj128ELj16E21rocsparse_complex_numIfElifS2_S2_EEvT3_20rocsparse_direction_NS_24const_host_device_scalarIT1_EES3_PKS3_PKT2_SC_S9_PKT4_PKT5_S7_PT6_21rocsparse_index_base_b.has_dyn_sized_stack, 0
	.set _ZN9rocsparseL18bsrxmvn_4x4_kernelILj128ELj16E21rocsparse_complex_numIfElifS2_S2_EEvT3_20rocsparse_direction_NS_24const_host_device_scalarIT1_EES3_PKS3_PKT2_SC_S9_PKT4_PKT5_S7_PT6_21rocsparse_index_base_b.has_recursion, 0
	.set _ZN9rocsparseL18bsrxmvn_4x4_kernelILj128ELj16E21rocsparse_complex_numIfElifS2_S2_EEvT3_20rocsparse_direction_NS_24const_host_device_scalarIT1_EES3_PKS3_PKT2_SC_S9_PKT4_PKT5_S7_PT6_21rocsparse_index_base_b.has_indirect_call, 0
	.section	.AMDGPU.csdata,"",@progbits
; Kernel info:
; codeLenInByte = 6896
; TotalNumSgprs: 18
; NumVgprs: 105
; ScratchSize: 0
; MemoryBound: 0
; FloatMode: 240
; IeeeMode: 1
; LDSByteSize: 0 bytes/workgroup (compile time only)
; SGPRBlocks: 0
; VGPRBlocks: 13
; NumSGPRsForWavesPerEU: 18
; NumVGPRsForWavesPerEU: 105
; Occupancy: 9
; WaveLimiterHint : 1
; COMPUTE_PGM_RSRC2:SCRATCH_EN: 0
; COMPUTE_PGM_RSRC2:USER_SGPR: 6
; COMPUTE_PGM_RSRC2:TRAP_HANDLER: 0
; COMPUTE_PGM_RSRC2:TGID_X_EN: 1
; COMPUTE_PGM_RSRC2:TGID_Y_EN: 0
; COMPUTE_PGM_RSRC2:TGID_Z_EN: 0
; COMPUTE_PGM_RSRC2:TIDIG_COMP_CNT: 0
	.section	.text._ZN9rocsparseL18bsrxmvn_4x4_kernelILj128ELj32E21rocsparse_complex_numIfElifS2_S2_EEvT3_20rocsparse_direction_NS_24const_host_device_scalarIT1_EES3_PKS3_PKT2_SC_S9_PKT4_PKT5_S7_PT6_21rocsparse_index_base_b,"axG",@progbits,_ZN9rocsparseL18bsrxmvn_4x4_kernelILj128ELj32E21rocsparse_complex_numIfElifS2_S2_EEvT3_20rocsparse_direction_NS_24const_host_device_scalarIT1_EES3_PKS3_PKT2_SC_S9_PKT4_PKT5_S7_PT6_21rocsparse_index_base_b,comdat
	.globl	_ZN9rocsparseL18bsrxmvn_4x4_kernelILj128ELj32E21rocsparse_complex_numIfElifS2_S2_EEvT3_20rocsparse_direction_NS_24const_host_device_scalarIT1_EES3_PKS3_PKT2_SC_S9_PKT4_PKT5_S7_PT6_21rocsparse_index_base_b ; -- Begin function _ZN9rocsparseL18bsrxmvn_4x4_kernelILj128ELj32E21rocsparse_complex_numIfElifS2_S2_EEvT3_20rocsparse_direction_NS_24const_host_device_scalarIT1_EES3_PKS3_PKT2_SC_S9_PKT4_PKT5_S7_PT6_21rocsparse_index_base_b
	.p2align	8
	.type	_ZN9rocsparseL18bsrxmvn_4x4_kernelILj128ELj32E21rocsparse_complex_numIfElifS2_S2_EEvT3_20rocsparse_direction_NS_24const_host_device_scalarIT1_EES3_PKS3_PKT2_SC_S9_PKT4_PKT5_S7_PT6_21rocsparse_index_base_b,@function
_ZN9rocsparseL18bsrxmvn_4x4_kernelILj128ELj32E21rocsparse_complex_numIfElifS2_S2_EEvT3_20rocsparse_direction_NS_24const_host_device_scalarIT1_EES3_PKS3_PKT2_SC_S9_PKT4_PKT5_S7_PT6_21rocsparse_index_base_b: ; @_ZN9rocsparseL18bsrxmvn_4x4_kernelILj128ELj32E21rocsparse_complex_numIfElifS2_S2_EEvT3_20rocsparse_direction_NS_24const_host_device_scalarIT1_EES3_PKS3_PKT2_SC_S9_PKT4_PKT5_S7_PT6_21rocsparse_index_base_b
; %bb.0:
	s_clause 0x2
	s_load_dwordx2 s[2:3], s[4:5], 0x58
	s_load_dwordx2 s[0:1], s[4:5], 0x8
	;; [unrolled: 1-line block ×3, first 2 shown]
	s_add_u32 s7, s4, 8
	s_addc_u32 s10, s5, 0
	s_add_u32 s11, s4, 0x48
	s_addc_u32 s12, s5, 0
	s_waitcnt lgkmcnt(0)
	s_bitcmp1_b32 s3, 0
	s_cselect_b32 s0, s7, s0
	s_cselect_b32 s1, s10, s1
	v_mov_b32_e32 v1, s0
	v_mov_b32_e32 v2, s1
	s_cselect_b32 s0, s11, s8
	s_cselect_b32 s1, s12, s9
	flat_load_dwordx2 v[22:23], v[1:2]
	v_mov_b32_e32 v1, s0
	v_mov_b32_e32 v2, s1
	flat_load_dwordx2 v[20:21], v[1:2]
	s_waitcnt vmcnt(1) lgkmcnt(1)
	v_cmp_eq_f32_e32 vcc_lo, 0, v22
	v_cmp_eq_f32_e64 s0, 0, v23
	s_and_b32 s3, vcc_lo, s0
	s_mov_b32 s0, -1
	s_and_saveexec_b32 s1, s3
	s_cbranch_execz .LBB128_2
; %bb.1:
	s_waitcnt vmcnt(0) lgkmcnt(0)
	v_cmp_neq_f32_e32 vcc_lo, 1.0, v20
	v_cmp_neq_f32_e64 s0, 0, v21
	s_or_b32 s0, vcc_lo, s0
	s_orn2_b32 s0, s0, exec_lo
.LBB128_2:
	s_or_b32 exec_lo, exec_lo, s1
	s_and_saveexec_b32 s1, s0
	s_cbranch_execz .LBB128_8
; %bb.3:
	s_clause 0x1
	s_load_dwordx2 s[8:9], s[4:5], 0x18
	s_load_dwordx2 s[0:1], s[4:5], 0x0
	v_lshrrev_b32_e32 v1, 5, v0
	v_lshl_or_b32 v24, s6, 2, v1
	s_waitcnt lgkmcnt(0)
	s_cmp_lg_u64 s[8:9], 0
	s_cbranch_scc0 .LBB128_9
; %bb.4:
	s_load_dword s3, s[4:5], 0x10
	s_mov_b32 s6, 0
                                        ; implicit-def: $vgpr1
	s_waitcnt lgkmcnt(0)
	v_cmp_gt_i32_e32 vcc_lo, s3, v24
	s_mov_b32 s3, 0
	s_and_saveexec_b32 s7, vcc_lo
	s_xor_b32 s7, exec_lo, s7
	s_cbranch_execz .LBB128_6
; %bb.5:
	v_ashrrev_i32_e32 v25, 31, v24
	s_mov_b32 s3, exec_lo
	v_lshlrev_b64 v[1:2], 2, v[24:25]
	v_add_co_u32 v1, vcc_lo, s8, v1
	v_add_co_ci_u32_e64 v2, null, s9, v2, vcc_lo
	global_load_dword v1, v[1:2], off
	s_waitcnt vmcnt(0)
	v_subrev_nc_u32_e32 v1, s2, v1
.LBB128_6:
	s_or_b32 exec_lo, exec_lo, s7
	s_and_b32 vcc_lo, exec_lo, s6
	s_cbranch_vccz .LBB128_10
.LBB128_7:
	v_cmp_gt_i32_e32 vcc_lo, s0, v24
	s_andn2_b32 s0, s3, exec_lo
	s_and_b32 s3, vcc_lo, exec_lo
	s_or_b32 s3, s0, s3
	s_and_b32 exec_lo, exec_lo, s3
	s_cbranch_execnz .LBB128_11
.LBB128_8:
	s_endpgm
.LBB128_9:
	s_mov_b32 s3, 0
                                        ; implicit-def: $vgpr1
	s_cbranch_execnz .LBB128_7
.LBB128_10:
	v_mov_b32_e32 v24, v1
	s_and_b32 exec_lo, exec_lo, s3
	s_cbranch_execz .LBB128_8
.LBB128_11:
	s_load_dwordx8 s[8:15], s[4:5], 0x20
	v_ashrrev_i32_e32 v25, 31, v24
	v_and_b32_e32 v37, 31, v0
	s_load_dwordx2 s[6:7], s[4:5], 0x40
	v_mov_b32_e32 v38, 0
	v_lshlrev_b64 v[1:2], 3, v[24:25]
	s_waitcnt lgkmcnt(0)
	v_add_co_u32 v3, vcc_lo, s8, v1
	v_add_co_ci_u32_e64 v4, null, s9, v2, vcc_lo
	v_add_co_u32 v1, vcc_lo, s10, v1
	v_add_co_ci_u32_e64 v2, null, s11, v2, vcc_lo
	v_add_co_u32 v5, vcc_lo, v3, 8
	global_load_dwordx2 v[16:17], v[3:4], off
	v_add_co_ci_u32_e64 v6, null, 0, v4, vcc_lo
	s_cmp_eq_u64 s[10:11], 0
	s_cselect_b32 vcc_lo, -1, 0
	s_cmp_eq_u32 s1, 1
	v_cndmask_b32_e32 v2, v2, v6, vcc_lo
	v_cndmask_b32_e32 v1, v1, v5, vcc_lo
	global_load_dwordx2 v[1:2], v[1:2], off
	s_waitcnt vmcnt(1)
	v_sub_co_u32 v0, vcc_lo, v16, s2
	v_subrev_co_ci_u32_e64 v3, null, 0, v17, vcc_lo
	v_add_co_u32 v25, vcc_lo, v0, v37
	v_add_co_ci_u32_e64 v26, null, 0, v3, vcc_lo
	s_waitcnt vmcnt(0)
	v_sub_co_u32 v27, vcc_lo, v1, s2
	v_lshlrev_b64 v[0:1], 6, v[25:26]
	v_subrev_co_ci_u32_e64 v28, null, 0, v2, vcc_lo
	v_add_co_u32 v31, vcc_lo, s14, v0
	v_cmp_lt_i64_e64 s0, v[25:26], v[27:28]
	v_add_co_ci_u32_e64 v32, null, s15, v1, vcc_lo
	s_cbranch_scc1 .LBB128_23
; %bb.12:
	v_mov_b32_e32 v39, 0
	v_mov_b32_e32 v40, 0
	;; [unrolled: 1-line block ×7, first 2 shown]
	s_and_saveexec_b32 s1, s0
	s_cbranch_execz .LBB128_22
; %bb.13:
	v_or_b32_e32 v0, 32, v37
	v_not_b32_e32 v3, v16
	v_not_b32_e32 v2, v17
	v_mov_b32_e32 v30, 0
	v_mov_b32_e32 v18, v31
	v_sub_co_u32 v0, s3, v0, s2
	v_sub_co_ci_u32_e64 v1, null, 0, 0, s3
	v_sub_co_u32 v4, s3, s2, v37
	v_add_co_u32 v0, vcc_lo, v0, v16
	v_add_co_ci_u32_e64 v1, null, v1, v17, vcc_lo
	v_sub_co_ci_u32_e64 v5, null, 0, 0, s3
	v_mov_b32_e32 v34, v26
	v_cmp_gt_i64_e32 vcc_lo, v[0:1], v[27:28]
	v_mov_b32_e32 v43, v30
	v_mov_b32_e32 v44, v30
	;; [unrolled: 1-line block ×5, first 2 shown]
	v_cndmask_b32_e32 v1, v28, v1, vcc_lo
	v_cndmask_b32_e32 v0, v27, v0, vcc_lo
	v_add_co_u32 v3, vcc_lo, v4, v3
	v_add_co_ci_u32_e64 v2, null, v5, v2, vcc_lo
	v_mov_b32_e32 v39, v30
	v_add_co_u32 v0, vcc_lo, v3, v0
	v_add_co_ci_u32_e64 v1, null, v2, v1, vcc_lo
	v_mov_b32_e32 v38, v30
	v_and_b32_e32 v29, 0x60, v0
	v_mov_b32_e32 v19, v32
	v_mov_b32_e32 v33, v25
	s_mov_b32 s3, exec_lo
	v_cmpx_ne_u64_e32 0x60, v[29:30]
	s_cbranch_execz .LBB128_17
; %bb.14:
	v_lshrrev_b32_e32 v2, 5, v0
	v_mov_b32_e32 v34, v26
	v_mov_b32_e32 v18, v31
	;; [unrolled: 1-line block ×4, first 2 shown]
	v_add_nc_u32_e32 v4, 1, v2
	v_lshlrev_b64 v[2:3], 2, v[25:26]
	v_mov_b32_e32 v19, v32
	v_mov_b32_e32 v39, 0
	;; [unrolled: 1-line block ×3, first 2 shown]
	v_and_b32_e32 v4, 3, v4
	v_mov_b32_e32 v41, 0
	v_add_co_u32 v2, vcc_lo, s12, v2
	v_add_co_ci_u32_e64 v3, null, s13, v3, vcc_lo
	v_sub_co_u32 v4, s8, 0, v4
	v_sub_co_ci_u32_e64 v5, null, 0, 0, s8
	v_mov_b32_e32 v42, 0
	v_mov_b32_e32 v44, 0
	;; [unrolled: 1-line block ×4, first 2 shown]
	s_mov_b32 s8, 0
.LBB128_15:                             ; =>This Inner Loop Header: Depth=1
	global_load_dword v14, v[2:3], off
	s_clause 0x3
	global_load_dwordx4 v[6:9], v[18:19], off offset:48
	global_load_dwordx4 v[10:13], v[18:19], off offset:32
	;; [unrolled: 1-line block ×3, first 2 shown]
	global_load_dwordx4 v[49:52], v[18:19], off
	s_waitcnt vmcnt(4)
	v_subrev_nc_u32_e32 v14, s2, v14
	v_lshlrev_b32_e32 v14, 2, v14
	v_ashrrev_i32_e32 v15, 31, v14
	v_lshlrev_b64 v[14:15], 3, v[14:15]
	v_add_co_u32 v14, vcc_lo, s6, v14
	v_add_co_ci_u32_e64 v15, null, s7, v15, vcc_lo
	v_add_co_u32 v18, vcc_lo, 0x800, v18
	v_add_co_ci_u32_e64 v19, null, 0, v19, vcc_lo
	s_clause 0x1
	global_load_dwordx4 v[53:56], v[14:15], off
	global_load_dwordx4 v[57:60], v[14:15], off offset:16
	v_add_co_u32 v33, vcc_lo, v33, 32
	v_add_co_ci_u32_e64 v34, null, 0, v34, vcc_lo
	v_add_co_u32 v4, vcc_lo, v4, 1
	v_add_co_ci_u32_e64 v5, null, 0, v5, vcc_lo
	;; [unrolled: 2-line block ×3, first 2 shown]
	v_cmp_eq_u64_e32 vcc_lo, 0, v[4:5]
	s_or_b32 s8, vcc_lo, s8
	s_waitcnt vmcnt(1)
	v_fmac_f32_e32 v39, v49, v53
	v_fmac_f32_e32 v38, 0, v53
	;; [unrolled: 1-line block ×32, first 2 shown]
	s_waitcnt vmcnt(0)
	v_fmac_f32_e32 v39, v51, v57
	v_fmac_f32_e32 v38, 0, v57
	;; [unrolled: 1-line block ×32, first 2 shown]
	s_andn2_b32 exec_lo, exec_lo, s8
	s_cbranch_execnz .LBB128_15
; %bb.16:
	s_or_b32 exec_lo, exec_lo, s8
.LBB128_17:
	s_or_b32 exec_lo, exec_lo, s3
	s_mov_b32 s3, exec_lo
	v_cmpx_lt_u64_e32 0x5f, v[0:1]
	s_cbranch_execz .LBB128_21
; %bb.18:
	v_lshlrev_b64 v[0:1], 2, v[33:34]
	s_mov_b32 s8, 0
	v_add_co_u32 v0, vcc_lo, s12, v0
	v_add_co_ci_u32_e64 v1, null, s13, v1, vcc_lo
	v_add_co_u32 v35, vcc_lo, 0x100, v0
	v_add_co_ci_u32_e64 v36, null, 0, v1, vcc_lo
.LBB128_19:                             ; =>This Inner Loop Header: Depth=1
	s_clause 0x3
	global_load_dword v29, v[35:36], off offset:-256
	global_load_dword v89, v[35:36], off offset:-128
	global_load_dword v90, v[35:36], off
	global_load_dword v91, v[35:36], off offset:128
	s_clause 0x3
	global_load_dwordx4 v[45:48], v[18:19], off offset:48
	global_load_dwordx4 v[49:52], v[18:19], off offset:32
	;; [unrolled: 1-line block ×3, first 2 shown]
	global_load_dwordx4 v[57:60], v[18:19], off
	v_add_co_u32 v0, vcc_lo, 0x800, v18
	v_add_co_ci_u32_e64 v1, null, 0, v19, vcc_lo
	v_add_co_u32 v2, vcc_lo, v18, 0x1000
	v_add_co_ci_u32_e64 v3, null, 0, v19, vcc_lo
	;; [unrolled: 2-line block ×4, first 2 shown]
	s_clause 0xa
	global_load_dwordx4 v[61:64], v[0:1], off offset:48
	global_load_dwordx4 v[65:68], v[0:1], off offset:32
	;; [unrolled: 1-line block ×3, first 2 shown]
	global_load_dwordx4 v[73:76], v[2:3], off offset:-2048
	global_load_dwordx4 v[0:3], v[2:3], off
	global_load_dwordx4 v[12:15], v[4:5], off offset:48
	global_load_dwordx4 v[77:80], v[4:5], off offset:32
	global_load_dwordx4 v[81:84], v[4:5], off offset:16
	global_load_dwordx4 v[4:7], v[97:98], off
	global_load_dwordx4 v[8:11], v[97:98], off offset:48
	global_load_dwordx4 v[85:88], v[97:98], off offset:32
	s_waitcnt vmcnt(18)
	v_subrev_nc_u32_e32 v29, s2, v29
	s_waitcnt vmcnt(17)
	v_subrev_nc_u32_e32 v92, s2, v89
	;; [unrolled: 2-line block ×4, first 2 shown]
	v_lshlrev_b32_e32 v89, 2, v29
	v_lshlrev_b32_e32 v99, 2, v92
	;; [unrolled: 1-line block ×3, first 2 shown]
	v_ashrrev_i32_e32 v90, 31, v89
	v_ashrrev_i32_e32 v102, 31, v101
	v_lshlrev_b64 v[89:90], 3, v[89:90]
	v_add_co_u32 v93, vcc_lo, s6, v89
	v_add_co_ci_u32_e64 v94, null, s7, v90, vcc_lo
	s_clause 0x1
	global_load_dwordx4 v[89:92], v[93:94], off
	global_load_dwordx4 v[93:96], v[93:94], off offset:16
	s_waitcnt vmcnt(1)
	v_fmac_f32_e32 v38, 0, v89
	v_fmac_f32_e32 v39, v57, v89
	v_fmac_f32_e32 v42, 0, v89
	v_fmac_f32_e32 v44, v49, v89
	v_fmac_f32_e32 v43, 0, v89
	v_fmac_f32_e32 v38, v57, v90
	v_fmac_f32_e32 v39, 0x80000000, v90
	v_fmac_f32_e32 v42, v49, v90
	v_fmac_f32_e32 v30, v45, v89
	v_fmac_f32_e32 v44, 0x80000000, v90
	v_fmac_f32_e32 v38, 0, v91
	v_fmac_f32_e32 v39, v58, v91
	v_fmac_f32_e32 v43, v45, v90
	v_fmac_f32_e32 v42, 0, v91
	v_lshlrev_b32_e32 v45, 2, v100
	v_fmac_f32_e32 v38, v58, v92
	v_ashrrev_i32_e32 v100, 31, v99
	v_fmac_f32_e32 v40, 0, v89
	v_fmac_f32_e32 v39, 0x80000000, v92
	;; [unrolled: 1-line block ×3, first 2 shown]
	s_waitcnt vmcnt(0)
	v_fmac_f32_e32 v38, 0, v93
	v_fmac_f32_e32 v42, v50, v92
	v_lshlrev_b64 v[49:50], 3, v[99:100]
	v_fmac_f32_e32 v41, v53, v89
	v_fmac_f32_e32 v40, v53, v90
	;; [unrolled: 1-line block ×5, first 2 shown]
	v_add_co_u32 v49, vcc_lo, s6, v49
	v_fmac_f32_e32 v41, 0x80000000, v90
	v_fmac_f32_e32 v40, 0, v91
	v_add_co_ci_u32_e64 v50, null, s7, v50, vcc_lo
	v_fmac_f32_e32 v39, 0x80000000, v94
	v_fmac_f32_e32 v38, 0, v95
	;; [unrolled: 1-line block ×4, first 2 shown]
	v_lshlrev_b64 v[53:54], 3, v[101:102]
	v_fmac_f32_e32 v39, v60, v95
	v_fmac_f32_e32 v38, v60, v96
	global_load_dwordx4 v[57:60], v[49:50], off
	v_fmac_f32_e32 v41, 0x80000000, v92
	v_fmac_f32_e32 v40, 0, v93
	v_add_co_u32 v99, vcc_lo, s6, v53
	v_add_co_ci_u32_e64 v100, null, s7, v54, vcc_lo
	v_fmac_f32_e32 v41, v55, v93
	v_fmac_f32_e32 v40, v55, v94
	;; [unrolled: 1-line block ×12, first 2 shown]
	global_load_dwordx4 v[53:56], v[49:50], off offset:16
	v_fmac_f32_e32 v44, 0x80000000, v94
	v_fmac_f32_e32 v42, 0, v95
	v_fmac_f32_e32 v30, 0x80000000, v92
	v_fmac_f32_e32 v43, v46, v92
	global_load_dwordx4 v[89:92], v[97:98], off offset:16
	v_fmac_f32_e32 v44, v52, v95
	v_fmac_f32_e32 v42, v52, v96
	s_clause 0x1
	global_load_dwordx4 v[49:52], v[99:100], off
	global_load_dwordx4 v[97:100], v[99:100], off offset:16
	v_ashrrev_i32_e32 v46, 31, v45
	v_fmac_f32_e32 v43, 0, v93
	v_fmac_f32_e32 v30, v47, v93
	;; [unrolled: 1-line block ×4, first 2 shown]
	v_lshlrev_b64 v[45:46], 3, v[45:46]
	v_fmac_f32_e32 v43, v47, v94
	v_fmac_f32_e32 v30, 0x80000000, v94
	;; [unrolled: 1-line block ×3, first 2 shown]
	v_add_co_u32 v101, vcc_lo, s6, v45
	v_add_co_ci_u32_e64 v102, null, s7, v46, vcc_lo
	v_fmac_f32_e32 v43, 0, v95
	v_fmac_f32_e32 v30, v48, v95
	v_add_co_u32 v33, vcc_lo, 0x80, v33
	v_add_co_ci_u32_e64 v34, null, 0, v34, vcc_lo
	v_fmac_f32_e32 v43, v48, v96
	global_load_dwordx4 v[45:48], v[101:102], off
	v_fmac_f32_e32 v30, 0x80000000, v96
	global_load_dwordx4 v[93:96], v[101:102], off offset:16
	v_add_co_u32 v35, vcc_lo, 0x200, v35
	v_add_co_ci_u32_e64 v36, null, 0, v36, vcc_lo
	v_add_co_u32 v18, vcc_lo, 0x2000, v18
	v_add_co_ci_u32_e64 v19, null, 0, v19, vcc_lo
	v_cmp_ge_i64_e32 vcc_lo, v[33:34], v[27:28]
	s_or_b32 s8, vcc_lo, s8
	s_waitcnt vmcnt(6)
	v_fmac_f32_e32 v39, v73, v57
	v_fmac_f32_e32 v38, 0, v57
	v_fmac_f32_e32 v41, v69, v57
	v_fmac_f32_e32 v40, 0, v57
	v_fmac_f32_e32 v44, v65, v57
	v_fmac_f32_e32 v42, 0, v57
	v_fmac_f32_e32 v30, v61, v57
	v_fmac_f32_e32 v43, 0, v57
	v_fmac_f32_e32 v39, 0x80000000, v58
	v_fmac_f32_e32 v38, v73, v58
	v_fmac_f32_e32 v41, 0x80000000, v58
	v_fmac_f32_e32 v40, v69, v58
	v_fmac_f32_e32 v44, 0x80000000, v58
	v_fmac_f32_e32 v42, v65, v58
	v_fmac_f32_e32 v30, 0x80000000, v58
	v_fmac_f32_e32 v43, v61, v58
	v_fmac_f32_e32 v39, v74, v59
	v_fmac_f32_e32 v38, 0, v59
	v_fmac_f32_e32 v41, v70, v59
	v_fmac_f32_e32 v40, 0, v59
	v_fmac_f32_e32 v44, v66, v59
	v_fmac_f32_e32 v42, 0, v59
	v_fmac_f32_e32 v30, v62, v59
	v_fmac_f32_e32 v43, 0, v59
	v_fmac_f32_e32 v39, 0x80000000, v60
	v_fmac_f32_e32 v38, v74, v60
	v_fmac_f32_e32 v41, 0x80000000, v60
	v_fmac_f32_e32 v40, v70, v60
	v_fmac_f32_e32 v44, 0x80000000, v60
	v_fmac_f32_e32 v42, v66, v60
	v_fmac_f32_e32 v30, 0x80000000, v60
	v_fmac_f32_e32 v43, v62, v60
	s_waitcnt vmcnt(5)
	v_fmac_f32_e32 v38, 0, v53
	v_fmac_f32_e32 v39, v75, v53
	v_fmac_f32_e32 v40, 0, v53
	v_fmac_f32_e32 v41, v71, v53
	v_fmac_f32_e32 v42, 0, v53
	v_fmac_f32_e32 v44, v67, v53
	v_fmac_f32_e32 v43, 0, v53
	v_fmac_f32_e32 v30, v63, v53
	v_fmac_f32_e32 v38, v75, v54
	v_fmac_f32_e32 v39, 0x80000000, v54
	v_fmac_f32_e32 v40, v71, v54
	v_fmac_f32_e32 v41, 0x80000000, v54
	v_fmac_f32_e32 v42, v67, v54
	v_fmac_f32_e32 v44, 0x80000000, v54
	v_fmac_f32_e32 v43, v63, v54
	v_fmac_f32_e32 v30, 0x80000000, v54
	v_fmac_f32_e32 v38, 0, v55
	v_fmac_f32_e32 v39, v76, v55
	v_fmac_f32_e32 v40, 0, v55
	v_fmac_f32_e32 v41, v72, v55
	v_fmac_f32_e32 v42, 0, v55
	v_fmac_f32_e32 v44, v68, v55
	v_fmac_f32_e32 v43, 0, v55
	v_fmac_f32_e32 v30, v64, v55
	v_fmac_f32_e32 v38, v76, v56
	v_fmac_f32_e32 v40, v72, v56
	v_fmac_f32_e32 v42, v68, v56
	v_fmac_f32_e32 v39, 0x80000000, v56
	v_fmac_f32_e32 v43, v64, v56
	v_fmac_f32_e32 v41, 0x80000000, v56
	v_fmac_f32_e32 v44, 0x80000000, v56
	v_fmac_f32_e32 v30, 0x80000000, v56
	;; [unrolled: 33-line block ×6, first 2 shown]
	s_andn2_b32 exec_lo, exec_lo, s8
	s_cbranch_execnz .LBB128_19
; %bb.20:
	s_or_b32 exec_lo, exec_lo, s8
.LBB128_21:
	s_or_b32 exec_lo, exec_lo, s3
.LBB128_22:
	s_or_b32 exec_lo, exec_lo, s1
	s_cbranch_execz .LBB128_24
	s_branch .LBB128_35
.LBB128_23:
                                        ; implicit-def: $vgpr38
                                        ; implicit-def: $vgpr39
                                        ; implicit-def: $vgpr40
                                        ; implicit-def: $vgpr41
                                        ; implicit-def: $vgpr42
                                        ; implicit-def: $vgpr44
                                        ; implicit-def: $vgpr43
                                        ; implicit-def: $vgpr30
.LBB128_24:
	v_mov_b32_e32 v38, 0
	v_mov_b32_e32 v39, 0
	;; [unrolled: 1-line block ×8, first 2 shown]
	s_and_saveexec_b32 s1, s0
	s_cbranch_execz .LBB128_34
; %bb.25:
	v_or_b32_e32 v0, 32, v37
	v_not_b32_e32 v3, v16
	v_not_b32_e32 v2, v17
	v_mov_b32_e32 v30, 0
	v_sub_co_u32 v0, s0, v0, s2
	v_sub_co_ci_u32_e64 v1, null, 0, 0, s0
	v_sub_co_u32 v4, s0, s2, v37
	v_add_co_u32 v0, vcc_lo, v0, v16
	v_add_co_ci_u32_e64 v1, null, v1, v17, vcc_lo
	v_sub_co_ci_u32_e64 v5, null, 0, 0, s0
	v_add_co_u32 v3, s0, v4, v3
	v_cmp_gt_i64_e32 vcc_lo, v[0:1], v[27:28]
	v_add_co_ci_u32_e64 v2, null, v5, v2, s0
	v_mov_b32_e32 v43, v30
	v_mov_b32_e32 v44, v30
	v_mov_b32_e32 v42, v30
	v_cndmask_b32_e32 v0, v27, v0, vcc_lo
	v_cndmask_b32_e32 v1, v28, v1, vcc_lo
	v_mov_b32_e32 v41, v30
	v_mov_b32_e32 v40, v30
	;; [unrolled: 1-line block ×3, first 2 shown]
	v_add_co_u32 v0, vcc_lo, v3, v0
	v_add_co_ci_u32_e64 v1, null, v2, v1, vcc_lo
	v_mov_b32_e32 v38, v30
	v_and_b32_e32 v29, 0x60, v0
	s_mov_b32 s0, exec_lo
	v_cmpx_ne_u64_e32 0x60, v[29:30]
	s_cbranch_execz .LBB128_29
; %bb.26:
	v_lshrrev_b32_e32 v2, 5, v0
	v_mov_b32_e32 v38, 0
	v_mov_b32_e32 v39, 0
	;; [unrolled: 1-line block ×4, first 2 shown]
	v_add_nc_u32_e32 v4, 1, v2
	v_lshlrev_b64 v[2:3], 2, v[25:26]
	v_mov_b32_e32 v42, 0
	v_mov_b32_e32 v44, 0
	;; [unrolled: 1-line block ×3, first 2 shown]
	v_and_b32_e32 v4, 3, v4
	v_mov_b32_e32 v30, 0
	v_add_co_u32 v2, vcc_lo, s12, v2
	v_add_co_ci_u32_e64 v3, null, s13, v3, vcc_lo
	v_sub_co_u32 v4, s3, 0, v4
	v_sub_co_ci_u32_e64 v5, null, 0, 0, s3
	s_mov_b32 s3, 0
.LBB128_27:                             ; =>This Inner Loop Header: Depth=1
	global_load_dword v14, v[2:3], off
	s_clause 0x1
	global_load_dwordx4 v[6:9], v[31:32], off offset:16
	global_load_dwordx4 v[10:13], v[31:32], off
	s_waitcnt vmcnt(2)
	v_subrev_nc_u32_e32 v14, s2, v14
	v_lshlrev_b32_e32 v14, 2, v14
	v_ashrrev_i32_e32 v15, 31, v14
	v_lshlrev_b64 v[14:15], 3, v[14:15]
	v_add_co_u32 v18, vcc_lo, s6, v14
	v_add_co_ci_u32_e64 v19, null, s7, v15, vcc_lo
	s_clause 0x1
	global_load_dwordx4 v[14:17], v[18:19], off
	global_load_dwordx4 v[33:36], v[18:19], off offset:16
	s_clause 0x1
	global_load_dwordx4 v[45:48], v[31:32], off offset:32
	global_load_dwordx4 v[49:52], v[31:32], off offset:48
	v_add_co_u32 v31, vcc_lo, 0x800, v31
	v_add_co_ci_u32_e64 v32, null, 0, v32, vcc_lo
	v_add_co_u32 v25, vcc_lo, v25, 32
	v_add_co_ci_u32_e64 v26, null, 0, v26, vcc_lo
	;; [unrolled: 2-line block ×4, first 2 shown]
	v_cmp_eq_u64_e32 vcc_lo, 0, v[4:5]
	s_or_b32 s3, vcc_lo, s3
	s_waitcnt vmcnt(3)
	v_fmac_f32_e32 v39, v10, v14
	v_fmac_f32_e32 v38, 0, v14
	;; [unrolled: 1-line block ×32, first 2 shown]
	s_waitcnt vmcnt(1)
	v_fmac_f32_e32 v39, v45, v33
	v_fmac_f32_e32 v38, 0, v33
	;; [unrolled: 1-line block ×16, first 2 shown]
	s_waitcnt vmcnt(0)
	v_fmac_f32_e32 v39, v49, v35
	v_fmac_f32_e32 v38, 0, v35
	;; [unrolled: 1-line block ×16, first 2 shown]
	s_andn2_b32 exec_lo, exec_lo, s3
	s_cbranch_execnz .LBB128_27
; %bb.28:
	s_or_b32 exec_lo, exec_lo, s3
.LBB128_29:
	s_or_b32 exec_lo, exec_lo, s0
	s_mov_b32 s0, exec_lo
	v_cmpx_lt_u64_e32 0x5f, v[0:1]
	s_cbranch_execz .LBB128_33
; %bb.30:
	v_lshlrev_b64 v[0:1], 2, v[25:26]
	s_mov_b32 s3, 0
	v_add_co_u32 v0, vcc_lo, s12, v0
	v_add_co_ci_u32_e64 v1, null, s13, v1, vcc_lo
	v_add_co_u32 v33, vcc_lo, 0x100, v0
	v_add_co_ci_u32_e64 v34, null, 0, v1, vcc_lo
.LBB128_31:                             ; =>This Inner Loop Header: Depth=1
	global_load_dword v29, v[33:34], off offset:-256
	s_clause 0x3
	global_load_dwordx4 v[0:3], v[31:32], off offset:48
	global_load_dwordx4 v[4:7], v[31:32], off offset:32
	;; [unrolled: 1-line block ×3, first 2 shown]
	global_load_dwordx4 v[12:15], v[31:32], off
	v_add_co_u32 v16, vcc_lo, 0x800, v31
	v_add_co_ci_u32_e64 v17, null, 0, v32, vcc_lo
	v_add_co_u32 v18, vcc_lo, v31, 0x1000
	v_add_co_ci_u32_e64 v19, null, 0, v32, vcc_lo
	;; [unrolled: 2-line block ×4, first 2 shown]
	s_clause 0x2
	global_load_dword v77, v[33:34], off offset:-128
	global_load_dword v78, v[33:34], off
	global_load_dword v79, v[33:34], off offset:128
	s_clause 0x6
	global_load_dwordx4 v[45:48], v[16:17], off offset:48
	global_load_dwordx4 v[49:52], v[16:17], off offset:32
	;; [unrolled: 1-line block ×3, first 2 shown]
	global_load_dwordx4 v[57:60], v[18:19], off offset:-2048
	global_load_dwordx4 v[61:64], v[18:19], off
	global_load_dwordx4 v[16:19], v[35:36], off offset:48
	global_load_dwordx4 v[65:68], v[35:36], off offset:32
	s_waitcnt vmcnt(14)
	v_subrev_nc_u32_e32 v29, s2, v29
	v_lshlrev_b32_e32 v69, 2, v29
	v_ashrrev_i32_e32 v70, 31, v69
	v_lshlrev_b64 v[69:70], 3, v[69:70]
	s_waitcnt vmcnt(9)
	v_subrev_nc_u32_e32 v29, s2, v77
	v_add_co_u32 v73, vcc_lo, s6, v69
	v_add_co_ci_u32_e64 v74, null, s7, v70, vcc_lo
	s_clause 0x1
	global_load_dwordx4 v[69:72], v[73:74], off
	global_load_dwordx4 v[73:76], v[73:74], off offset:16
	s_waitcnt vmcnt(1)
	v_fmac_f32_e32 v38, 0, v69
	v_fmac_f32_e32 v40, 0, v69
	;; [unrolled: 1-line block ×22, first 2 shown]
	global_load_dwordx4 v[12:15], v[35:36], off offset:16
	v_fmac_f32_e32 v41, v9, v71
	v_fmac_f32_e32 v44, v10, v71
	;; [unrolled: 1-line block ×6, first 2 shown]
	global_load_dwordx4 v[8:11], v[81:82], off
	v_subrev_nc_u32_e32 v36, s2, v78
	v_fmac_f32_e32 v39, 0x80000000, v72
	v_subrev_nc_u32_e32 v78, s2, v79
	v_lshlrev_b32_e32 v35, 2, v29
	s_waitcnt vmcnt(2)
	v_fmac_f32_e32 v38, 0, v73
	v_lshlrev_b32_e32 v77, 2, v36
	v_fmac_f32_e32 v41, 0x80000000, v72
	v_fmac_f32_e32 v44, 0x80000000, v72
	;; [unrolled: 1-line block ×8, first 2 shown]
	v_lshlrev_b32_e32 v4, 2, v78
	v_ashrrev_i32_e32 v36, 31, v35
	v_ashrrev_i32_e32 v78, 31, v77
	v_fmac_f32_e32 v41, v5, v73
	v_fmac_f32_e32 v44, v6, v73
	;; [unrolled: 1-line block ×6, first 2 shown]
	v_ashrrev_i32_e32 v5, 31, v4
	v_lshlrev_b64 v[6:7], 3, v[35:36]
	v_lshlrev_b64 v[35:36], 3, v[77:78]
	v_fmac_f32_e32 v39, 0x80000000, v74
	v_fmac_f32_e32 v41, 0x80000000, v74
	v_lshlrev_b64 v[4:5], 3, v[4:5]
	v_fmac_f32_e32 v44, 0x80000000, v74
	v_add_co_u32 v6, vcc_lo, s6, v6
	v_add_co_ci_u32_e64 v7, null, s7, v7, vcc_lo
	v_fmac_f32_e32 v30, 0x80000000, v74
	v_fmac_f32_e32 v38, 0, v75
	;; [unrolled: 1-line block ×5, first 2 shown]
	v_add_co_u32 v35, vcc_lo, s6, v35
	v_add_co_ci_u32_e64 v36, null, s7, v36, vcc_lo
	v_add_co_u32 v77, vcc_lo, s6, v4
	global_load_dwordx4 v[69:72], v[81:82], off offset:16
	v_add_co_ci_u32_e64 v78, null, s7, v5, vcc_lo
	v_fmac_f32_e32 v39, v0, v75
	v_fmac_f32_e32 v41, v1, v75
	;; [unrolled: 1-line block ×8, first 2 shown]
	s_clause 0x1
	global_load_dwordx4 v[0:3], v[6:7], off
	global_load_dwordx4 v[4:7], v[6:7], off offset:16
	v_fmac_f32_e32 v39, 0x80000000, v76
	v_fmac_f32_e32 v41, 0x80000000, v76
	;; [unrolled: 1-line block ×4, first 2 shown]
	global_load_dwordx4 v[73:76], v[35:36], off
	v_add_co_u32 v25, vcc_lo, 0x80, v25
	v_add_co_ci_u32_e64 v26, null, 0, v26, vcc_lo
	v_add_co_u32 v33, vcc_lo, 0x200, v33
	v_add_co_ci_u32_e64 v34, null, 0, v34, vcc_lo
	;; [unrolled: 2-line block ×3, first 2 shown]
	v_cmp_ge_i64_e32 vcc_lo, v[25:26], v[27:28]
	s_or_b32 s3, vcc_lo, s3
	s_waitcnt vmcnt(2)
	v_fmac_f32_e32 v38, 0, v0
	v_fmac_f32_e32 v40, 0, v0
	;; [unrolled: 1-line block ×12, first 2 shown]
	global_load_dwordx4 v[57:60], v[35:36], off offset:16
	v_fmac_f32_e32 v39, 0x80000000, v1
	v_fmac_f32_e32 v41, 0x80000000, v1
	;; [unrolled: 1-line block ×16, first 2 shown]
	global_load_dwordx4 v[53:56], v[77:78], off
	v_fmac_f32_e32 v39, 0x80000000, v3
	v_fmac_f32_e32 v41, 0x80000000, v3
	;; [unrolled: 1-line block ×4, first 2 shown]
	global_load_dwordx4 v[0:3], v[81:82], off offset:32
	global_load_dwordx4 v[77:80], v[77:78], off offset:16
	s_waitcnt vmcnt(5)
	v_fmac_f32_e32 v38, 0, v4
	v_fmac_f32_e32 v40, 0, v4
	;; [unrolled: 1-line block ×12, first 2 shown]
	global_load_dwordx4 v[49:52], v[81:82], off offset:48
	v_fmac_f32_e32 v39, 0x80000000, v5
	v_fmac_f32_e32 v41, 0x80000000, v5
	v_fmac_f32_e32 v44, 0x80000000, v5
	v_fmac_f32_e32 v30, 0x80000000, v5
	v_fmac_f32_e32 v38, 0, v6
	v_fmac_f32_e32 v39, v45, v6
	v_fmac_f32_e32 v41, v46, v6
	v_fmac_f32_e32 v40, 0, v6
	v_fmac_f32_e32 v44, v47, v6
	v_fmac_f32_e32 v42, 0, v6
	v_fmac_f32_e32 v43, 0, v6
	v_fmac_f32_e32 v30, v48, v6
	v_fmac_f32_e32 v38, v45, v7
	v_fmac_f32_e32 v40, v46, v7
	v_fmac_f32_e32 v42, v47, v7
	v_fmac_f32_e32 v39, 0x80000000, v7
	v_fmac_f32_e32 v43, v48, v7
	v_fmac_f32_e32 v41, 0x80000000, v7
	v_fmac_f32_e32 v44, 0x80000000, v7
	v_fmac_f32_e32 v30, 0x80000000, v7
	s_waitcnt vmcnt(5)
	v_fmac_f32_e32 v39, v61, v73
	v_fmac_f32_e32 v38, 0, v73
	v_fmac_f32_e32 v41, v62, v73
	v_fmac_f32_e32 v40, 0, v73
	v_fmac_f32_e32 v44, v63, v73
	v_fmac_f32_e32 v42, 0, v73
	v_fmac_f32_e32 v43, 0, v73
	v_fmac_f32_e32 v30, v64, v73
	v_fmac_f32_e32 v38, v61, v74
	v_fmac_f32_e32 v40, v62, v74
	v_fmac_f32_e32 v42, v63, v74
	v_fmac_f32_e32 v39, 0x80000000, v74
	v_fmac_f32_e32 v43, v64, v74
	v_fmac_f32_e32 v41, 0x80000000, v74
	v_fmac_f32_e32 v44, 0x80000000, v74
	v_fmac_f32_e32 v30, 0x80000000, v74
	v_fmac_f32_e32 v39, v12, v75
	v_fmac_f32_e32 v38, 0, v75
	v_fmac_f32_e32 v41, v13, v75
	v_fmac_f32_e32 v40, 0, v75
	v_fmac_f32_e32 v44, v14, v75
	v_fmac_f32_e32 v42, 0, v75
	v_fmac_f32_e32 v43, 0, v75
	v_fmac_f32_e32 v30, v15, v75
	v_fmac_f32_e32 v38, v12, v76
	v_fmac_f32_e32 v40, v13, v76
	v_fmac_f32_e32 v42, v14, v76
	v_fmac_f32_e32 v39, 0x80000000, v76
	v_fmac_f32_e32 v43, v15, v76
	v_fmac_f32_e32 v41, 0x80000000, v76
	v_fmac_f32_e32 v44, 0x80000000, v76
	v_fmac_f32_e32 v30, 0x80000000, v76
	s_waitcnt vmcnt(4)
	v_fmac_f32_e32 v39, v65, v57
	v_fmac_f32_e32 v38, 0, v57
	v_fmac_f32_e32 v41, v66, v57
	v_fmac_f32_e32 v40, 0, v57
	v_fmac_f32_e32 v44, v67, v57
	v_fmac_f32_e32 v42, 0, v57
	v_fmac_f32_e32 v30, v68, v57
	v_fmac_f32_e32 v43, 0, v57
	v_fmac_f32_e32 v39, 0x80000000, v58
	v_fmac_f32_e32 v38, v65, v58
	v_fmac_f32_e32 v41, 0x80000000, v58
	v_fmac_f32_e32 v40, v66, v58
	;; [unrolled: 33-line block ×4, first 2 shown]
	v_fmac_f32_e32 v44, 0x80000000, v78
	v_fmac_f32_e32 v42, v2, v78
	;; [unrolled: 1-line block ×4, first 2 shown]
	s_waitcnt vmcnt(0)
	v_fmac_f32_e32 v39, v49, v79
	v_fmac_f32_e32 v38, 0, v79
	;; [unrolled: 1-line block ×16, first 2 shown]
	s_andn2_b32 exec_lo, exec_lo, s3
	s_cbranch_execnz .LBB128_31
; %bb.32:
	s_or_b32 exec_lo, exec_lo, s3
.LBB128_33:
	s_or_b32 exec_lo, exec_lo, s0
.LBB128_34:
	s_or_b32 exec_lo, exec_lo, s1
.LBB128_35:
	v_mbcnt_lo_u32_b32 v0, -1, 0
	v_xor_b32_e32 v1, 16, v0
	v_xor_b32_e32 v9, 8, v0
	;; [unrolled: 1-line block ×3, first 2 shown]
	v_cmp_gt_i32_e32 vcc_lo, 32, v1
	v_cndmask_b32_e32 v1, v0, v1, vcc_lo
	v_cmp_gt_i32_e32 vcc_lo, 32, v9
	v_lshlrev_b32_e32 v1, 2, v1
	v_cndmask_b32_e32 v9, v0, v9, vcc_lo
	v_cmp_gt_i32_e32 vcc_lo, 32, v17
	ds_bpermute_b32 v2, v1, v39
	ds_bpermute_b32 v3, v1, v38
	;; [unrolled: 1-line block ×8, first 2 shown]
	v_lshlrev_b32_e32 v9, 2, v9
	v_cndmask_b32_e32 v17, v0, v17, vcc_lo
	v_lshlrev_b32_e32 v17, 2, v17
	s_waitcnt lgkmcnt(7)
	v_add_f32_e32 v2, v39, v2
	s_waitcnt lgkmcnt(6)
	v_add_f32_e32 v3, v38, v3
	;; [unrolled: 2-line block ×8, first 2 shown]
	ds_bpermute_b32 v10, v9, v2
	ds_bpermute_b32 v11, v9, v3
	;; [unrolled: 1-line block ×8, first 2 shown]
	s_waitcnt lgkmcnt(7)
	v_add_f32_e32 v2, v2, v10
	s_waitcnt lgkmcnt(6)
	v_add_f32_e32 v3, v3, v11
	;; [unrolled: 2-line block ×8, first 2 shown]
	ds_bpermute_b32 v9, v17, v2
	ds_bpermute_b32 v10, v17, v3
	;; [unrolled: 1-line block ×8, first 2 shown]
	v_xor_b32_e32 v17, 2, v0
	v_cmp_gt_i32_e32 vcc_lo, 32, v17
	v_cndmask_b32_e32 v17, v0, v17, vcc_lo
	s_waitcnt lgkmcnt(7)
	v_add_f32_e32 v2, v2, v9
	s_waitcnt lgkmcnt(6)
	v_add_f32_e32 v3, v3, v10
	;; [unrolled: 2-line block ×3, first 2 shown]
	v_lshlrev_b32_e32 v17, 2, v17
	s_waitcnt lgkmcnt(4)
	v_add_f32_e32 v5, v5, v12
	s_waitcnt lgkmcnt(3)
	v_add_f32_e32 v6, v6, v13
	;; [unrolled: 2-line block ×5, first 2 shown]
	ds_bpermute_b32 v1, v17, v2
	ds_bpermute_b32 v10, v17, v3
	;; [unrolled: 1-line block ×8, first 2 shown]
	v_xor_b32_e32 v17, 1, v0
	v_cmp_gt_i32_e32 vcc_lo, 32, v17
	v_cndmask_b32_e32 v0, v0, v17, vcc_lo
	v_cmp_eq_u32_e32 vcc_lo, 31, v37
	v_lshlrev_b32_e32 v17, 2, v0
	s_waitcnt lgkmcnt(7)
	v_add_f32_e32 v0, v2, v1
	s_waitcnt lgkmcnt(6)
	v_add_f32_e32 v1, v3, v10
	s_waitcnt lgkmcnt(5)
	v_add_f32_e32 v2, v4, v11
	s_waitcnt lgkmcnt(4)
	v_add_f32_e32 v3, v5, v12
	s_waitcnt lgkmcnt(3)
	v_add_f32_e32 v4, v6, v13
	s_waitcnt lgkmcnt(2)
	v_add_f32_e32 v5, v7, v14
	s_waitcnt lgkmcnt(1)
	v_add_f32_e32 v6, v8, v15
	s_waitcnt lgkmcnt(0)
	v_add_f32_e32 v7, v9, v16
	ds_bpermute_b32 v8, v17, v0
	ds_bpermute_b32 v9, v17, v1
	;; [unrolled: 1-line block ×8, first 2 shown]
	s_and_b32 exec_lo, exec_lo, vcc_lo
	s_cbranch_execz .LBB128_8
; %bb.36:
	s_load_dwordx2 s[2:3], s[4:5], 0x50
	s_waitcnt lgkmcnt(0)
	v_add_f32_e32 v8, v0, v8
	v_add_f32_e32 v0, v1, v9
	;; [unrolled: 1-line block ×8, first 2 shown]
	v_mul_f32_e64 v4, v0, -v23
	v_mul_f32_e32 v5, v22, v0
	v_mul_f32_e64 v6, v1, -v23
	v_mul_f32_e32 v7, v22, v1
	;; [unrolled: 2-line block ×4, first 2 shown]
	v_cmp_eq_f32_e32 vcc_lo, 0, v20
	v_cmp_eq_f32_e64 s0, 0, v21
	v_fmac_f32_e32 v4, v22, v8
	v_fmac_f32_e32 v5, v23, v8
	v_lshlrev_b32_e32 v8, 2, v24
	v_fmac_f32_e32 v6, v22, v9
	v_fmac_f32_e32 v7, v23, v9
	;; [unrolled: 1-line block ×6, first 2 shown]
	s_and_b32 s0, vcc_lo, s0
	s_and_saveexec_b32 s1, s0
	s_xor_b32 s0, exec_lo, s1
	s_cbranch_execz .LBB128_38
; %bb.37:
	v_ashrrev_i32_e32 v9, 31, v8
                                        ; implicit-def: $vgpr20_vgpr21
	v_lshlrev_b64 v[8:9], 3, v[8:9]
	v_add_co_u32 v8, vcc_lo, s2, v8
	v_add_co_ci_u32_e64 v9, null, s3, v9, vcc_lo
	global_store_dwordx4 v[8:9], v[4:7], off
	global_store_dwordx4 v[8:9], v[0:3], off offset:16
                                        ; implicit-def: $vgpr4
                                        ; implicit-def: $vgpr8
                                        ; implicit-def: $vgpr0
.LBB128_38:
	s_andn2_saveexec_b32 s0, s0
	s_cbranch_execz .LBB128_8
; %bb.39:
	v_ashrrev_i32_e32 v9, 31, v8
	v_lshlrev_b64 v[8:9], 3, v[8:9]
	v_add_co_u32 v16, vcc_lo, s2, v8
	v_add_co_ci_u32_e64 v17, null, s3, v9, vcc_lo
	s_clause 0x1
	global_load_dwordx4 v[8:11], v[16:17], off
	global_load_dwordx4 v[12:15], v[16:17], off offset:16
	s_waitcnt vmcnt(1)
	v_fmac_f32_e32 v4, v20, v8
	v_fmac_f32_e32 v5, v21, v8
	;; [unrolled: 1-line block ×4, first 2 shown]
	s_waitcnt vmcnt(0)
	v_fmac_f32_e32 v0, v20, v12
	v_fmac_f32_e32 v1, v21, v12
	;; [unrolled: 1-line block ×4, first 2 shown]
	v_fma_f32 v4, -v21, v9, v4
	v_fmac_f32_e32 v5, v20, v9
	v_fma_f32 v6, -v21, v11, v6
	v_fmac_f32_e32 v7, v20, v11
	;; [unrolled: 2-line block ×4, first 2 shown]
	global_store_dwordx4 v[16:17], v[4:7], off
	global_store_dwordx4 v[16:17], v[0:3], off offset:16
	s_endpgm
	.section	.rodata,"a",@progbits
	.p2align	6, 0x0
	.amdhsa_kernel _ZN9rocsparseL18bsrxmvn_4x4_kernelILj128ELj32E21rocsparse_complex_numIfElifS2_S2_EEvT3_20rocsparse_direction_NS_24const_host_device_scalarIT1_EES3_PKS3_PKT2_SC_S9_PKT4_PKT5_S7_PT6_21rocsparse_index_base_b
		.amdhsa_group_segment_fixed_size 0
		.amdhsa_private_segment_fixed_size 0
		.amdhsa_kernarg_size 96
		.amdhsa_user_sgpr_count 6
		.amdhsa_user_sgpr_private_segment_buffer 1
		.amdhsa_user_sgpr_dispatch_ptr 0
		.amdhsa_user_sgpr_queue_ptr 0
		.amdhsa_user_sgpr_kernarg_segment_ptr 1
		.amdhsa_user_sgpr_dispatch_id 0
		.amdhsa_user_sgpr_flat_scratch_init 0
		.amdhsa_user_sgpr_private_segment_size 0
		.amdhsa_wavefront_size32 1
		.amdhsa_uses_dynamic_stack 0
		.amdhsa_system_sgpr_private_segment_wavefront_offset 0
		.amdhsa_system_sgpr_workgroup_id_x 1
		.amdhsa_system_sgpr_workgroup_id_y 0
		.amdhsa_system_sgpr_workgroup_id_z 0
		.amdhsa_system_sgpr_workgroup_info 0
		.amdhsa_system_vgpr_workitem_id 0
		.amdhsa_next_free_vgpr 103
		.amdhsa_next_free_sgpr 16
		.amdhsa_reserve_vcc 1
		.amdhsa_reserve_flat_scratch 0
		.amdhsa_float_round_mode_32 0
		.amdhsa_float_round_mode_16_64 0
		.amdhsa_float_denorm_mode_32 3
		.amdhsa_float_denorm_mode_16_64 3
		.amdhsa_dx10_clamp 1
		.amdhsa_ieee_mode 1
		.amdhsa_fp16_overflow 0
		.amdhsa_workgroup_processor_mode 1
		.amdhsa_memory_ordered 1
		.amdhsa_forward_progress 1
		.amdhsa_shared_vgpr_count 0
		.amdhsa_exception_fp_ieee_invalid_op 0
		.amdhsa_exception_fp_denorm_src 0
		.amdhsa_exception_fp_ieee_div_zero 0
		.amdhsa_exception_fp_ieee_overflow 0
		.amdhsa_exception_fp_ieee_underflow 0
		.amdhsa_exception_fp_ieee_inexact 0
		.amdhsa_exception_int_div_zero 0
	.end_amdhsa_kernel
	.section	.text._ZN9rocsparseL18bsrxmvn_4x4_kernelILj128ELj32E21rocsparse_complex_numIfElifS2_S2_EEvT3_20rocsparse_direction_NS_24const_host_device_scalarIT1_EES3_PKS3_PKT2_SC_S9_PKT4_PKT5_S7_PT6_21rocsparse_index_base_b,"axG",@progbits,_ZN9rocsparseL18bsrxmvn_4x4_kernelILj128ELj32E21rocsparse_complex_numIfElifS2_S2_EEvT3_20rocsparse_direction_NS_24const_host_device_scalarIT1_EES3_PKS3_PKT2_SC_S9_PKT4_PKT5_S7_PT6_21rocsparse_index_base_b,comdat
.Lfunc_end128:
	.size	_ZN9rocsparseL18bsrxmvn_4x4_kernelILj128ELj32E21rocsparse_complex_numIfElifS2_S2_EEvT3_20rocsparse_direction_NS_24const_host_device_scalarIT1_EES3_PKS3_PKT2_SC_S9_PKT4_PKT5_S7_PT6_21rocsparse_index_base_b, .Lfunc_end128-_ZN9rocsparseL18bsrxmvn_4x4_kernelILj128ELj32E21rocsparse_complex_numIfElifS2_S2_EEvT3_20rocsparse_direction_NS_24const_host_device_scalarIT1_EES3_PKS3_PKT2_SC_S9_PKT4_PKT5_S7_PT6_21rocsparse_index_base_b
                                        ; -- End function
	.set _ZN9rocsparseL18bsrxmvn_4x4_kernelILj128ELj32E21rocsparse_complex_numIfElifS2_S2_EEvT3_20rocsparse_direction_NS_24const_host_device_scalarIT1_EES3_PKS3_PKT2_SC_S9_PKT4_PKT5_S7_PT6_21rocsparse_index_base_b.num_vgpr, 103
	.set _ZN9rocsparseL18bsrxmvn_4x4_kernelILj128ELj32E21rocsparse_complex_numIfElifS2_S2_EEvT3_20rocsparse_direction_NS_24const_host_device_scalarIT1_EES3_PKS3_PKT2_SC_S9_PKT4_PKT5_S7_PT6_21rocsparse_index_base_b.num_agpr, 0
	.set _ZN9rocsparseL18bsrxmvn_4x4_kernelILj128ELj32E21rocsparse_complex_numIfElifS2_S2_EEvT3_20rocsparse_direction_NS_24const_host_device_scalarIT1_EES3_PKS3_PKT2_SC_S9_PKT4_PKT5_S7_PT6_21rocsparse_index_base_b.numbered_sgpr, 16
	.set _ZN9rocsparseL18bsrxmvn_4x4_kernelILj128ELj32E21rocsparse_complex_numIfElifS2_S2_EEvT3_20rocsparse_direction_NS_24const_host_device_scalarIT1_EES3_PKS3_PKT2_SC_S9_PKT4_PKT5_S7_PT6_21rocsparse_index_base_b.num_named_barrier, 0
	.set _ZN9rocsparseL18bsrxmvn_4x4_kernelILj128ELj32E21rocsparse_complex_numIfElifS2_S2_EEvT3_20rocsparse_direction_NS_24const_host_device_scalarIT1_EES3_PKS3_PKT2_SC_S9_PKT4_PKT5_S7_PT6_21rocsparse_index_base_b.private_seg_size, 0
	.set _ZN9rocsparseL18bsrxmvn_4x4_kernelILj128ELj32E21rocsparse_complex_numIfElifS2_S2_EEvT3_20rocsparse_direction_NS_24const_host_device_scalarIT1_EES3_PKS3_PKT2_SC_S9_PKT4_PKT5_S7_PT6_21rocsparse_index_base_b.uses_vcc, 1
	.set _ZN9rocsparseL18bsrxmvn_4x4_kernelILj128ELj32E21rocsparse_complex_numIfElifS2_S2_EEvT3_20rocsparse_direction_NS_24const_host_device_scalarIT1_EES3_PKS3_PKT2_SC_S9_PKT4_PKT5_S7_PT6_21rocsparse_index_base_b.uses_flat_scratch, 0
	.set _ZN9rocsparseL18bsrxmvn_4x4_kernelILj128ELj32E21rocsparse_complex_numIfElifS2_S2_EEvT3_20rocsparse_direction_NS_24const_host_device_scalarIT1_EES3_PKS3_PKT2_SC_S9_PKT4_PKT5_S7_PT6_21rocsparse_index_base_b.has_dyn_sized_stack, 0
	.set _ZN9rocsparseL18bsrxmvn_4x4_kernelILj128ELj32E21rocsparse_complex_numIfElifS2_S2_EEvT3_20rocsparse_direction_NS_24const_host_device_scalarIT1_EES3_PKS3_PKT2_SC_S9_PKT4_PKT5_S7_PT6_21rocsparse_index_base_b.has_recursion, 0
	.set _ZN9rocsparseL18bsrxmvn_4x4_kernelILj128ELj32E21rocsparse_complex_numIfElifS2_S2_EEvT3_20rocsparse_direction_NS_24const_host_device_scalarIT1_EES3_PKS3_PKT2_SC_S9_PKT4_PKT5_S7_PT6_21rocsparse_index_base_b.has_indirect_call, 0
	.section	.AMDGPU.csdata,"",@progbits
; Kernel info:
; codeLenInByte = 7184
; TotalNumSgprs: 18
; NumVgprs: 103
; ScratchSize: 0
; MemoryBound: 0
; FloatMode: 240
; IeeeMode: 1
; LDSByteSize: 0 bytes/workgroup (compile time only)
; SGPRBlocks: 0
; VGPRBlocks: 12
; NumSGPRsForWavesPerEU: 18
; NumVGPRsForWavesPerEU: 103
; Occupancy: 9
; WaveLimiterHint : 1
; COMPUTE_PGM_RSRC2:SCRATCH_EN: 0
; COMPUTE_PGM_RSRC2:USER_SGPR: 6
; COMPUTE_PGM_RSRC2:TRAP_HANDLER: 0
; COMPUTE_PGM_RSRC2:TGID_X_EN: 1
; COMPUTE_PGM_RSRC2:TGID_Y_EN: 0
; COMPUTE_PGM_RSRC2:TGID_Z_EN: 0
; COMPUTE_PGM_RSRC2:TIDIG_COMP_CNT: 0
	.section	.text._ZN9rocsparseL18bsrxmvn_4x4_kernelILj128ELj64E21rocsparse_complex_numIfElifS2_S2_EEvT3_20rocsparse_direction_NS_24const_host_device_scalarIT1_EES3_PKS3_PKT2_SC_S9_PKT4_PKT5_S7_PT6_21rocsparse_index_base_b,"axG",@progbits,_ZN9rocsparseL18bsrxmvn_4x4_kernelILj128ELj64E21rocsparse_complex_numIfElifS2_S2_EEvT3_20rocsparse_direction_NS_24const_host_device_scalarIT1_EES3_PKS3_PKT2_SC_S9_PKT4_PKT5_S7_PT6_21rocsparse_index_base_b,comdat
	.globl	_ZN9rocsparseL18bsrxmvn_4x4_kernelILj128ELj64E21rocsparse_complex_numIfElifS2_S2_EEvT3_20rocsparse_direction_NS_24const_host_device_scalarIT1_EES3_PKS3_PKT2_SC_S9_PKT4_PKT5_S7_PT6_21rocsparse_index_base_b ; -- Begin function _ZN9rocsparseL18bsrxmvn_4x4_kernelILj128ELj64E21rocsparse_complex_numIfElifS2_S2_EEvT3_20rocsparse_direction_NS_24const_host_device_scalarIT1_EES3_PKS3_PKT2_SC_S9_PKT4_PKT5_S7_PT6_21rocsparse_index_base_b
	.p2align	8
	.type	_ZN9rocsparseL18bsrxmvn_4x4_kernelILj128ELj64E21rocsparse_complex_numIfElifS2_S2_EEvT3_20rocsparse_direction_NS_24const_host_device_scalarIT1_EES3_PKS3_PKT2_SC_S9_PKT4_PKT5_S7_PT6_21rocsparse_index_base_b,@function
_ZN9rocsparseL18bsrxmvn_4x4_kernelILj128ELj64E21rocsparse_complex_numIfElifS2_S2_EEvT3_20rocsparse_direction_NS_24const_host_device_scalarIT1_EES3_PKS3_PKT2_SC_S9_PKT4_PKT5_S7_PT6_21rocsparse_index_base_b: ; @_ZN9rocsparseL18bsrxmvn_4x4_kernelILj128ELj64E21rocsparse_complex_numIfElifS2_S2_EEvT3_20rocsparse_direction_NS_24const_host_device_scalarIT1_EES3_PKS3_PKT2_SC_S9_PKT4_PKT5_S7_PT6_21rocsparse_index_base_b
; %bb.0:
	s_clause 0x2
	s_load_dwordx2 s[2:3], s[4:5], 0x58
	s_load_dwordx2 s[0:1], s[4:5], 0x8
	;; [unrolled: 1-line block ×3, first 2 shown]
	s_add_u32 s7, s4, 8
	s_addc_u32 s10, s5, 0
	s_add_u32 s11, s4, 0x48
	s_addc_u32 s12, s5, 0
	s_waitcnt lgkmcnt(0)
	s_bitcmp1_b32 s3, 0
	s_cselect_b32 s0, s7, s0
	s_cselect_b32 s1, s10, s1
	v_mov_b32_e32 v1, s0
	v_mov_b32_e32 v2, s1
	s_cselect_b32 s0, s11, s8
	s_cselect_b32 s1, s12, s9
	flat_load_dwordx2 v[22:23], v[1:2]
	v_mov_b32_e32 v1, s0
	v_mov_b32_e32 v2, s1
	flat_load_dwordx2 v[20:21], v[1:2]
	s_waitcnt vmcnt(1) lgkmcnt(1)
	v_cmp_eq_f32_e32 vcc_lo, 0, v22
	v_cmp_eq_f32_e64 s0, 0, v23
	s_and_b32 s3, vcc_lo, s0
	s_mov_b32 s0, -1
	s_and_saveexec_b32 s1, s3
	s_cbranch_execz .LBB129_2
; %bb.1:
	s_waitcnt vmcnt(0) lgkmcnt(0)
	v_cmp_neq_f32_e32 vcc_lo, 1.0, v20
	v_cmp_neq_f32_e64 s0, 0, v21
	s_or_b32 s0, vcc_lo, s0
	s_orn2_b32 s0, s0, exec_lo
.LBB129_2:
	s_or_b32 exec_lo, exec_lo, s1
	s_and_saveexec_b32 s1, s0
	s_cbranch_execz .LBB129_8
; %bb.3:
	s_clause 0x1
	s_load_dwordx2 s[8:9], s[4:5], 0x18
	s_load_dwordx2 s[0:1], s[4:5], 0x0
	v_lshrrev_b32_e32 v1, 6, v0
	v_lshl_or_b32 v24, s6, 1, v1
	s_waitcnt lgkmcnt(0)
	s_cmp_lg_u64 s[8:9], 0
	s_cbranch_scc0 .LBB129_9
; %bb.4:
	s_load_dword s3, s[4:5], 0x10
	s_mov_b32 s6, 0
                                        ; implicit-def: $vgpr1
	s_waitcnt lgkmcnt(0)
	v_cmp_gt_i32_e32 vcc_lo, s3, v24
	s_mov_b32 s3, 0
	s_and_saveexec_b32 s7, vcc_lo
	s_xor_b32 s7, exec_lo, s7
	s_cbranch_execz .LBB129_6
; %bb.5:
	v_ashrrev_i32_e32 v25, 31, v24
	s_mov_b32 s3, exec_lo
	v_lshlrev_b64 v[1:2], 2, v[24:25]
	v_add_co_u32 v1, vcc_lo, s8, v1
	v_add_co_ci_u32_e64 v2, null, s9, v2, vcc_lo
	global_load_dword v1, v[1:2], off
	s_waitcnt vmcnt(0)
	v_subrev_nc_u32_e32 v1, s2, v1
.LBB129_6:
	s_or_b32 exec_lo, exec_lo, s7
	s_and_b32 vcc_lo, exec_lo, s6
	s_cbranch_vccz .LBB129_10
.LBB129_7:
	v_cmp_gt_i32_e32 vcc_lo, s0, v24
	s_andn2_b32 s0, s3, exec_lo
	s_and_b32 s3, vcc_lo, exec_lo
	s_or_b32 s3, s0, s3
	s_and_b32 exec_lo, exec_lo, s3
	s_cbranch_execnz .LBB129_11
.LBB129_8:
	s_endpgm
.LBB129_9:
	s_mov_b32 s3, 0
                                        ; implicit-def: $vgpr1
	s_cbranch_execnz .LBB129_7
.LBB129_10:
	v_mov_b32_e32 v24, v1
	s_and_b32 exec_lo, exec_lo, s3
	s_cbranch_execz .LBB129_8
.LBB129_11:
	s_load_dwordx8 s[8:15], s[4:5], 0x20
	v_ashrrev_i32_e32 v25, 31, v24
	v_and_b32_e32 v37, 63, v0
	s_load_dwordx2 s[6:7], s[4:5], 0x40
	v_mov_b32_e32 v38, 0
	v_lshlrev_b64 v[1:2], 3, v[24:25]
	s_waitcnt lgkmcnt(0)
	v_add_co_u32 v3, vcc_lo, s8, v1
	v_add_co_ci_u32_e64 v4, null, s9, v2, vcc_lo
	v_add_co_u32 v1, vcc_lo, s10, v1
	v_add_co_ci_u32_e64 v2, null, s11, v2, vcc_lo
	v_add_co_u32 v5, vcc_lo, v3, 8
	global_load_dwordx2 v[16:17], v[3:4], off
	v_add_co_ci_u32_e64 v6, null, 0, v4, vcc_lo
	s_cmp_eq_u64 s[10:11], 0
	s_cselect_b32 vcc_lo, -1, 0
	s_cmp_eq_u32 s1, 1
	v_cndmask_b32_e32 v2, v2, v6, vcc_lo
	v_cndmask_b32_e32 v1, v1, v5, vcc_lo
	global_load_dwordx2 v[1:2], v[1:2], off
	s_waitcnt vmcnt(1)
	v_sub_co_u32 v0, vcc_lo, v16, s2
	v_subrev_co_ci_u32_e64 v3, null, 0, v17, vcc_lo
	v_add_co_u32 v27, vcc_lo, v0, v37
	v_add_co_ci_u32_e64 v28, null, 0, v3, vcc_lo
	s_waitcnt vmcnt(0)
	v_sub_co_u32 v29, vcc_lo, v1, s2
	v_lshlrev_b64 v[0:1], 6, v[27:28]
	v_subrev_co_ci_u32_e64 v30, null, 0, v2, vcc_lo
	v_add_co_u32 v31, vcc_lo, s14, v0
	v_cmp_lt_i64_e64 s0, v[27:28], v[29:30]
	v_add_co_ci_u32_e64 v32, null, s15, v1, vcc_lo
	s_cbranch_scc1 .LBB129_23
; %bb.12:
	v_mov_b32_e32 v39, 0
	v_mov_b32_e32 v40, 0
	v_mov_b32_e32 v41, 0
	v_mov_b32_e32 v42, 0
	v_mov_b32_e32 v44, 0
	v_mov_b32_e32 v43, 0
	v_mov_b32_e32 v26, 0
	s_and_saveexec_b32 s1, s0
	s_cbranch_execz .LBB129_22
; %bb.13:
	v_or_b32_e32 v0, 64, v37
	v_not_b32_e32 v3, v16
	v_not_b32_e32 v2, v17
	v_mov_b32_e32 v26, 0
	v_mov_b32_e32 v18, v31
	v_sub_co_u32 v0, s3, v0, s2
	v_sub_co_ci_u32_e64 v1, null, 0, 0, s3
	v_sub_co_u32 v4, s3, s2, v37
	v_add_co_u32 v0, vcc_lo, v0, v16
	v_add_co_ci_u32_e64 v1, null, v1, v17, vcc_lo
	v_sub_co_ci_u32_e64 v5, null, 0, 0, s3
	v_mov_b32_e32 v34, v28
	v_cmp_gt_i64_e32 vcc_lo, v[0:1], v[29:30]
	v_mov_b32_e32 v43, v26
	v_mov_b32_e32 v44, v26
	;; [unrolled: 1-line block ×5, first 2 shown]
	v_cndmask_b32_e32 v1, v30, v1, vcc_lo
	v_cndmask_b32_e32 v0, v29, v0, vcc_lo
	v_add_co_u32 v3, vcc_lo, v4, v3
	v_add_co_ci_u32_e64 v2, null, v5, v2, vcc_lo
	v_mov_b32_e32 v39, v26
	v_add_co_u32 v0, vcc_lo, v3, v0
	v_add_co_ci_u32_e64 v1, null, v2, v1, vcc_lo
	v_mov_b32_e32 v38, v26
	v_and_b32_e32 v25, 0xc0, v0
	v_mov_b32_e32 v19, v32
	v_mov_b32_e32 v33, v27
	s_mov_b32 s3, exec_lo
	v_cmpx_ne_u64_e32 0xc0, v[25:26]
	s_cbranch_execz .LBB129_17
; %bb.14:
	v_lshrrev_b32_e32 v2, 6, v0
	v_mov_b32_e32 v34, v28
	v_mov_b32_e32 v18, v31
	;; [unrolled: 1-line block ×4, first 2 shown]
	v_add_nc_u32_e32 v4, 1, v2
	v_lshlrev_b64 v[2:3], 2, v[27:28]
	v_mov_b32_e32 v19, v32
	v_mov_b32_e32 v39, 0
	;; [unrolled: 1-line block ×3, first 2 shown]
	v_and_b32_e32 v4, 3, v4
	v_mov_b32_e32 v41, 0
	v_add_co_u32 v2, vcc_lo, s12, v2
	v_add_co_ci_u32_e64 v3, null, s13, v3, vcc_lo
	v_sub_co_u32 v4, s8, 0, v4
	v_sub_co_ci_u32_e64 v5, null, 0, 0, s8
	v_mov_b32_e32 v42, 0
	v_mov_b32_e32 v44, 0
	;; [unrolled: 1-line block ×4, first 2 shown]
	s_mov_b32 s8, 0
.LBB129_15:                             ; =>This Inner Loop Header: Depth=1
	global_load_dword v14, v[2:3], off
	s_clause 0x3
	global_load_dwordx4 v[6:9], v[18:19], off offset:48
	global_load_dwordx4 v[10:13], v[18:19], off offset:32
	global_load_dwordx4 v[45:48], v[18:19], off offset:16
	global_load_dwordx4 v[49:52], v[18:19], off
	s_waitcnt vmcnt(4)
	v_subrev_nc_u32_e32 v14, s2, v14
	v_lshlrev_b32_e32 v14, 2, v14
	v_ashrrev_i32_e32 v15, 31, v14
	v_lshlrev_b64 v[14:15], 3, v[14:15]
	v_add_co_u32 v14, vcc_lo, s6, v14
	v_add_co_ci_u32_e64 v15, null, s7, v15, vcc_lo
	v_add_co_u32 v18, vcc_lo, 0x1000, v18
	v_add_co_ci_u32_e64 v19, null, 0, v19, vcc_lo
	s_clause 0x1
	global_load_dwordx4 v[53:56], v[14:15], off
	global_load_dwordx4 v[57:60], v[14:15], off offset:16
	v_add_co_u32 v33, vcc_lo, v33, 64
	v_add_co_ci_u32_e64 v34, null, 0, v34, vcc_lo
	v_add_co_u32 v4, vcc_lo, v4, 1
	v_add_co_ci_u32_e64 v5, null, 0, v5, vcc_lo
	;; [unrolled: 2-line block ×3, first 2 shown]
	v_cmp_eq_u64_e32 vcc_lo, 0, v[4:5]
	s_or_b32 s8, vcc_lo, s8
	s_waitcnt vmcnt(1)
	v_fmac_f32_e32 v39, v49, v53
	v_fmac_f32_e32 v38, 0, v53
	;; [unrolled: 1-line block ×32, first 2 shown]
	s_waitcnt vmcnt(0)
	v_fmac_f32_e32 v39, v51, v57
	v_fmac_f32_e32 v38, 0, v57
	;; [unrolled: 1-line block ×32, first 2 shown]
	s_andn2_b32 exec_lo, exec_lo, s8
	s_cbranch_execnz .LBB129_15
; %bb.16:
	s_or_b32 exec_lo, exec_lo, s8
.LBB129_17:
	s_or_b32 exec_lo, exec_lo, s3
	s_mov_b32 s3, exec_lo
	v_cmpx_lt_u64_e32 0xbf, v[0:1]
	s_cbranch_execz .LBB129_21
; %bb.18:
	v_lshlrev_b64 v[0:1], 2, v[33:34]
	s_mov_b32 s8, 0
	v_add_co_u32 v0, vcc_lo, s12, v0
	v_add_co_ci_u32_e64 v1, null, s13, v1, vcc_lo
	v_add_co_u32 v35, vcc_lo, 0x200, v0
	v_add_co_ci_u32_e64 v36, null, 0, v1, vcc_lo
.LBB129_19:                             ; =>This Inner Loop Header: Depth=1
	s_clause 0x3
	global_load_dword v25, v[35:36], off offset:-512
	global_load_dword v89, v[35:36], off offset:-256
	global_load_dword v90, v[35:36], off
	global_load_dword v91, v[35:36], off offset:256
	s_clause 0x3
	global_load_dwordx4 v[45:48], v[18:19], off offset:48
	global_load_dwordx4 v[49:52], v[18:19], off offset:32
	;; [unrolled: 1-line block ×3, first 2 shown]
	global_load_dwordx4 v[57:60], v[18:19], off
	v_add_co_u32 v0, vcc_lo, 0x1000, v18
	v_add_co_ci_u32_e64 v1, null, 0, v19, vcc_lo
	v_add_co_u32 v4, vcc_lo, 0x2000, v18
	v_add_co_ci_u32_e64 v5, null, 0, v19, vcc_lo
	;; [unrolled: 2-line block ×3, first 2 shown]
	s_clause 0xa
	global_load_dwordx4 v[61:64], v[0:1], off offset:48
	global_load_dwordx4 v[65:68], v[0:1], off offset:32
	global_load_dwordx4 v[69:72], v[0:1], off
	global_load_dwordx4 v[73:76], v[0:1], off offset:16
	global_load_dwordx4 v[0:3], v[4:5], off offset:48
	global_load_dwordx4 v[12:15], v[4:5], off offset:32
	global_load_dwordx4 v[77:80], v[4:5], off
	global_load_dwordx4 v[81:84], v[4:5], off offset:16
	global_load_dwordx4 v[4:7], v[97:98], off
	global_load_dwordx4 v[8:11], v[97:98], off offset:48
	global_load_dwordx4 v[85:88], v[97:98], off offset:32
	s_waitcnt vmcnt(18)
	v_subrev_nc_u32_e32 v25, s2, v25
	s_waitcnt vmcnt(17)
	v_subrev_nc_u32_e32 v92, s2, v89
	;; [unrolled: 2-line block ×4, first 2 shown]
	v_lshlrev_b32_e32 v89, 2, v25
	v_lshlrev_b32_e32 v99, 2, v92
	;; [unrolled: 1-line block ×3, first 2 shown]
	v_ashrrev_i32_e32 v90, 31, v89
	v_ashrrev_i32_e32 v102, 31, v101
	v_lshlrev_b64 v[89:90], 3, v[89:90]
	v_add_co_u32 v93, vcc_lo, s6, v89
	v_add_co_ci_u32_e64 v94, null, s7, v90, vcc_lo
	s_clause 0x1
	global_load_dwordx4 v[89:92], v[93:94], off
	global_load_dwordx4 v[93:96], v[93:94], off offset:16
	s_waitcnt vmcnt(1)
	v_fmac_f32_e32 v38, 0, v89
	v_fmac_f32_e32 v39, v57, v89
	;; [unrolled: 1-line block ×14, first 2 shown]
	v_lshlrev_b32_e32 v45, 2, v100
	v_fmac_f32_e32 v38, v58, v92
	v_ashrrev_i32_e32 v100, 31, v99
	v_fmac_f32_e32 v40, 0, v89
	v_fmac_f32_e32 v39, 0x80000000, v92
	;; [unrolled: 1-line block ×3, first 2 shown]
	s_waitcnt vmcnt(0)
	v_fmac_f32_e32 v38, 0, v93
	v_fmac_f32_e32 v42, v50, v92
	v_lshlrev_b64 v[49:50], 3, v[99:100]
	v_fmac_f32_e32 v41, v53, v89
	v_fmac_f32_e32 v40, v53, v90
	;; [unrolled: 1-line block ×5, first 2 shown]
	v_add_co_u32 v49, vcc_lo, s6, v49
	v_fmac_f32_e32 v41, 0x80000000, v90
	v_fmac_f32_e32 v40, 0, v91
	v_add_co_ci_u32_e64 v50, null, s7, v50, vcc_lo
	v_fmac_f32_e32 v39, 0x80000000, v94
	v_fmac_f32_e32 v38, 0, v95
	;; [unrolled: 1-line block ×4, first 2 shown]
	v_lshlrev_b64 v[53:54], 3, v[101:102]
	v_fmac_f32_e32 v39, v60, v95
	v_fmac_f32_e32 v38, v60, v96
	global_load_dwordx4 v[57:60], v[49:50], off
	v_fmac_f32_e32 v41, 0x80000000, v92
	v_fmac_f32_e32 v40, 0, v93
	v_add_co_u32 v99, vcc_lo, s6, v53
	v_add_co_ci_u32_e64 v100, null, s7, v54, vcc_lo
	v_fmac_f32_e32 v41, v55, v93
	v_fmac_f32_e32 v40, v55, v94
	;; [unrolled: 1-line block ×12, first 2 shown]
	global_load_dwordx4 v[53:56], v[49:50], off offset:16
	v_fmac_f32_e32 v44, 0x80000000, v94
	v_fmac_f32_e32 v42, 0, v95
	;; [unrolled: 1-line block ×4, first 2 shown]
	global_load_dwordx4 v[89:92], v[97:98], off offset:16
	v_fmac_f32_e32 v44, v52, v95
	v_fmac_f32_e32 v42, v52, v96
	s_clause 0x1
	global_load_dwordx4 v[49:52], v[99:100], off
	global_load_dwordx4 v[97:100], v[99:100], off offset:16
	v_ashrrev_i32_e32 v46, 31, v45
	v_fmac_f32_e32 v43, 0, v93
	v_fmac_f32_e32 v26, v47, v93
	;; [unrolled: 1-line block ×4, first 2 shown]
	v_lshlrev_b64 v[45:46], 3, v[45:46]
	v_fmac_f32_e32 v43, v47, v94
	v_fmac_f32_e32 v26, 0x80000000, v94
	;; [unrolled: 1-line block ×3, first 2 shown]
	v_add_co_u32 v101, vcc_lo, s6, v45
	v_add_co_ci_u32_e64 v102, null, s7, v46, vcc_lo
	v_fmac_f32_e32 v43, 0, v95
	v_fmac_f32_e32 v26, v48, v95
	v_add_co_u32 v33, vcc_lo, 0x100, v33
	v_add_co_ci_u32_e64 v34, null, 0, v34, vcc_lo
	v_fmac_f32_e32 v43, v48, v96
	global_load_dwordx4 v[45:48], v[101:102], off
	v_fmac_f32_e32 v26, 0x80000000, v96
	global_load_dwordx4 v[93:96], v[101:102], off offset:16
	v_add_co_u32 v35, vcc_lo, 0x400, v35
	v_add_co_ci_u32_e64 v36, null, 0, v36, vcc_lo
	v_add_co_u32 v18, vcc_lo, 0x4000, v18
	v_add_co_ci_u32_e64 v19, null, 0, v19, vcc_lo
	v_cmp_ge_i64_e32 vcc_lo, v[33:34], v[29:30]
	s_or_b32 s8, vcc_lo, s8
	s_waitcnt vmcnt(6)
	v_fmac_f32_e32 v39, v69, v57
	v_fmac_f32_e32 v38, 0, v57
	v_fmac_f32_e32 v41, v73, v57
	v_fmac_f32_e32 v40, 0, v57
	v_fmac_f32_e32 v44, v65, v57
	v_fmac_f32_e32 v42, 0, v57
	v_fmac_f32_e32 v26, v61, v57
	v_fmac_f32_e32 v43, 0, v57
	v_fmac_f32_e32 v39, 0x80000000, v58
	v_fmac_f32_e32 v38, v69, v58
	v_fmac_f32_e32 v41, 0x80000000, v58
	v_fmac_f32_e32 v40, v73, v58
	v_fmac_f32_e32 v44, 0x80000000, v58
	v_fmac_f32_e32 v42, v65, v58
	v_fmac_f32_e32 v26, 0x80000000, v58
	v_fmac_f32_e32 v43, v61, v58
	v_fmac_f32_e32 v39, v70, v59
	v_fmac_f32_e32 v38, 0, v59
	v_fmac_f32_e32 v41, v74, v59
	v_fmac_f32_e32 v40, 0, v59
	v_fmac_f32_e32 v44, v66, v59
	v_fmac_f32_e32 v42, 0, v59
	v_fmac_f32_e32 v26, v62, v59
	v_fmac_f32_e32 v43, 0, v59
	v_fmac_f32_e32 v39, 0x80000000, v60
	v_fmac_f32_e32 v38, v70, v60
	v_fmac_f32_e32 v41, 0x80000000, v60
	v_fmac_f32_e32 v40, v74, v60
	v_fmac_f32_e32 v44, 0x80000000, v60
	v_fmac_f32_e32 v42, v66, v60
	v_fmac_f32_e32 v26, 0x80000000, v60
	v_fmac_f32_e32 v43, v62, v60
	s_waitcnt vmcnt(5)
	v_fmac_f32_e32 v38, 0, v53
	v_fmac_f32_e32 v39, v71, v53
	v_fmac_f32_e32 v40, 0, v53
	v_fmac_f32_e32 v41, v75, v53
	v_fmac_f32_e32 v42, 0, v53
	v_fmac_f32_e32 v44, v67, v53
	v_fmac_f32_e32 v43, 0, v53
	v_fmac_f32_e32 v26, v63, v53
	v_fmac_f32_e32 v38, v71, v54
	v_fmac_f32_e32 v39, 0x80000000, v54
	v_fmac_f32_e32 v40, v75, v54
	v_fmac_f32_e32 v41, 0x80000000, v54
	v_fmac_f32_e32 v42, v67, v54
	v_fmac_f32_e32 v44, 0x80000000, v54
	v_fmac_f32_e32 v43, v63, v54
	v_fmac_f32_e32 v26, 0x80000000, v54
	v_fmac_f32_e32 v38, 0, v55
	v_fmac_f32_e32 v39, v72, v55
	v_fmac_f32_e32 v40, 0, v55
	v_fmac_f32_e32 v41, v76, v55
	v_fmac_f32_e32 v42, 0, v55
	v_fmac_f32_e32 v44, v68, v55
	v_fmac_f32_e32 v43, 0, v55
	v_fmac_f32_e32 v26, v64, v55
	v_fmac_f32_e32 v38, v72, v56
	v_fmac_f32_e32 v40, v76, v56
	v_fmac_f32_e32 v42, v68, v56
	v_fmac_f32_e32 v39, 0x80000000, v56
	v_fmac_f32_e32 v43, v64, v56
	v_fmac_f32_e32 v41, 0x80000000, v56
	v_fmac_f32_e32 v44, 0x80000000, v56
	v_fmac_f32_e32 v26, 0x80000000, v56
	;; [unrolled: 33-line block ×6, first 2 shown]
	s_andn2_b32 exec_lo, exec_lo, s8
	s_cbranch_execnz .LBB129_19
; %bb.20:
	s_or_b32 exec_lo, exec_lo, s8
.LBB129_21:
	s_or_b32 exec_lo, exec_lo, s3
.LBB129_22:
	s_or_b32 exec_lo, exec_lo, s1
	s_cbranch_execz .LBB129_24
	s_branch .LBB129_35
.LBB129_23:
                                        ; implicit-def: $vgpr38
                                        ; implicit-def: $vgpr39
                                        ; implicit-def: $vgpr40
                                        ; implicit-def: $vgpr41
                                        ; implicit-def: $vgpr42
                                        ; implicit-def: $vgpr44
                                        ; implicit-def: $vgpr43
                                        ; implicit-def: $vgpr26
.LBB129_24:
	v_mov_b32_e32 v38, 0
	v_mov_b32_e32 v39, 0
	v_mov_b32_e32 v40, 0
	v_mov_b32_e32 v41, 0
	v_mov_b32_e32 v42, 0
	v_mov_b32_e32 v44, 0
	v_mov_b32_e32 v43, 0
	v_mov_b32_e32 v26, 0
	s_and_saveexec_b32 s1, s0
	s_cbranch_execz .LBB129_34
; %bb.25:
	v_or_b32_e32 v0, 64, v37
	v_not_b32_e32 v3, v16
	v_not_b32_e32 v2, v17
	v_mov_b32_e32 v26, 0
	v_sub_co_u32 v0, s0, v0, s2
	v_sub_co_ci_u32_e64 v1, null, 0, 0, s0
	v_sub_co_u32 v4, s0, s2, v37
	v_add_co_u32 v0, vcc_lo, v0, v16
	v_add_co_ci_u32_e64 v1, null, v1, v17, vcc_lo
	v_sub_co_ci_u32_e64 v5, null, 0, 0, s0
	v_add_co_u32 v3, s0, v4, v3
	v_cmp_gt_i64_e32 vcc_lo, v[0:1], v[29:30]
	v_add_co_ci_u32_e64 v2, null, v5, v2, s0
	v_mov_b32_e32 v43, v26
	v_mov_b32_e32 v44, v26
	v_mov_b32_e32 v42, v26
	v_cndmask_b32_e32 v0, v29, v0, vcc_lo
	v_cndmask_b32_e32 v1, v30, v1, vcc_lo
	v_mov_b32_e32 v41, v26
	v_mov_b32_e32 v40, v26
	;; [unrolled: 1-line block ×3, first 2 shown]
	v_add_co_u32 v0, vcc_lo, v3, v0
	v_add_co_ci_u32_e64 v1, null, v2, v1, vcc_lo
	v_mov_b32_e32 v38, v26
	v_and_b32_e32 v25, 0xc0, v0
	s_mov_b32 s0, exec_lo
	v_cmpx_ne_u64_e32 0xc0, v[25:26]
	s_cbranch_execz .LBB129_29
; %bb.26:
	v_lshrrev_b32_e32 v2, 6, v0
	v_mov_b32_e32 v38, 0
	v_mov_b32_e32 v39, 0
	;; [unrolled: 1-line block ×4, first 2 shown]
	v_add_nc_u32_e32 v4, 1, v2
	v_lshlrev_b64 v[2:3], 2, v[27:28]
	v_mov_b32_e32 v42, 0
	v_mov_b32_e32 v44, 0
	;; [unrolled: 1-line block ×3, first 2 shown]
	v_and_b32_e32 v4, 3, v4
	v_mov_b32_e32 v26, 0
	v_add_co_u32 v2, vcc_lo, s12, v2
	v_add_co_ci_u32_e64 v3, null, s13, v3, vcc_lo
	v_sub_co_u32 v4, s3, 0, v4
	v_sub_co_ci_u32_e64 v5, null, 0, 0, s3
	s_mov_b32 s3, 0
.LBB129_27:                             ; =>This Inner Loop Header: Depth=1
	global_load_dword v14, v[2:3], off
	s_clause 0x1
	global_load_dwordx4 v[6:9], v[31:32], off offset:16
	global_load_dwordx4 v[10:13], v[31:32], off
	s_waitcnt vmcnt(2)
	v_subrev_nc_u32_e32 v14, s2, v14
	v_lshlrev_b32_e32 v14, 2, v14
	v_ashrrev_i32_e32 v15, 31, v14
	v_lshlrev_b64 v[14:15], 3, v[14:15]
	v_add_co_u32 v18, vcc_lo, s6, v14
	v_add_co_ci_u32_e64 v19, null, s7, v15, vcc_lo
	s_clause 0x1
	global_load_dwordx4 v[14:17], v[18:19], off
	global_load_dwordx4 v[33:36], v[18:19], off offset:16
	s_clause 0x1
	global_load_dwordx4 v[45:48], v[31:32], off offset:32
	global_load_dwordx4 v[49:52], v[31:32], off offset:48
	v_add_co_u32 v31, vcc_lo, 0x1000, v31
	v_add_co_ci_u32_e64 v32, null, 0, v32, vcc_lo
	v_add_co_u32 v27, vcc_lo, v27, 64
	v_add_co_ci_u32_e64 v28, null, 0, v28, vcc_lo
	;; [unrolled: 2-line block ×4, first 2 shown]
	v_cmp_eq_u64_e32 vcc_lo, 0, v[4:5]
	s_or_b32 s3, vcc_lo, s3
	s_waitcnt vmcnt(3)
	v_fmac_f32_e32 v39, v10, v14
	v_fmac_f32_e32 v38, 0, v14
	;; [unrolled: 1-line block ×32, first 2 shown]
	s_waitcnt vmcnt(1)
	v_fmac_f32_e32 v39, v45, v33
	v_fmac_f32_e32 v38, 0, v33
	v_fmac_f32_e32 v41, v46, v33
	v_fmac_f32_e32 v40, 0, v33
	v_fmac_f32_e32 v44, v47, v33
	v_fmac_f32_e32 v42, 0, v33
	v_fmac_f32_e32 v26, v48, v33
	v_fmac_f32_e32 v43, 0, v33
	v_fmac_f32_e32 v39, 0x80000000, v34
	v_fmac_f32_e32 v38, v45, v34
	v_fmac_f32_e32 v41, 0x80000000, v34
	v_fmac_f32_e32 v40, v46, v34
	v_fmac_f32_e32 v44, 0x80000000, v34
	v_fmac_f32_e32 v42, v47, v34
	v_fmac_f32_e32 v26, 0x80000000, v34
	v_fmac_f32_e32 v43, v48, v34
	s_waitcnt vmcnt(0)
	v_fmac_f32_e32 v39, v49, v35
	v_fmac_f32_e32 v38, 0, v35
	;; [unrolled: 1-line block ×16, first 2 shown]
	s_andn2_b32 exec_lo, exec_lo, s3
	s_cbranch_execnz .LBB129_27
; %bb.28:
	s_or_b32 exec_lo, exec_lo, s3
.LBB129_29:
	s_or_b32 exec_lo, exec_lo, s0
	s_mov_b32 s0, exec_lo
	v_cmpx_lt_u64_e32 0xbf, v[0:1]
	s_cbranch_execz .LBB129_33
; %bb.30:
	v_lshlrev_b64 v[0:1], 2, v[27:28]
	s_mov_b32 s3, 0
	v_add_co_u32 v0, vcc_lo, s12, v0
	v_add_co_ci_u32_e64 v1, null, s13, v1, vcc_lo
	v_add_co_u32 v33, vcc_lo, 0x200, v0
	v_add_co_ci_u32_e64 v34, null, 0, v1, vcc_lo
.LBB129_31:                             ; =>This Inner Loop Header: Depth=1
	global_load_dword v25, v[33:34], off offset:-512
	s_clause 0x3
	global_load_dwordx4 v[0:3], v[31:32], off offset:48
	global_load_dwordx4 v[4:7], v[31:32], off offset:32
	;; [unrolled: 1-line block ×3, first 2 shown]
	global_load_dwordx4 v[12:15], v[31:32], off
	v_add_co_u32 v16, vcc_lo, 0x1000, v31
	v_add_co_ci_u32_e64 v17, null, 0, v32, vcc_lo
	v_add_co_u32 v35, vcc_lo, 0x2000, v31
	v_add_co_ci_u32_e64 v36, null, 0, v32, vcc_lo
	;; [unrolled: 2-line block ×3, first 2 shown]
	s_clause 0x2
	global_load_dword v77, v[33:34], off offset:-256
	global_load_dword v78, v[33:34], off
	global_load_dword v79, v[33:34], off offset:256
	s_clause 0x6
	global_load_dwordx4 v[45:48], v[16:17], off offset:48
	global_load_dwordx4 v[49:52], v[16:17], off offset:32
	global_load_dwordx4 v[53:56], v[16:17], off
	global_load_dwordx4 v[57:60], v[16:17], off offset:16
	global_load_dwordx4 v[61:64], v[35:36], off
	global_load_dwordx4 v[16:19], v[35:36], off offset:48
	global_load_dwordx4 v[65:68], v[35:36], off offset:32
	s_waitcnt vmcnt(14)
	v_subrev_nc_u32_e32 v25, s2, v25
	v_lshlrev_b32_e32 v69, 2, v25
	v_ashrrev_i32_e32 v70, 31, v69
	s_waitcnt vmcnt(9)
	v_subrev_nc_u32_e32 v25, s2, v77
	v_lshlrev_b64 v[69:70], 3, v[69:70]
	v_add_co_u32 v73, vcc_lo, s6, v69
	v_add_co_ci_u32_e64 v74, null, s7, v70, vcc_lo
	s_clause 0x1
	global_load_dwordx4 v[69:72], v[73:74], off
	global_load_dwordx4 v[73:76], v[73:74], off offset:16
	s_waitcnt vmcnt(1)
	v_fmac_f32_e32 v38, 0, v69
	v_fmac_f32_e32 v40, 0, v69
	;; [unrolled: 1-line block ×22, first 2 shown]
	global_load_dwordx4 v[12:15], v[35:36], off offset:16
	v_fmac_f32_e32 v41, v9, v71
	v_fmac_f32_e32 v44, v10, v71
	;; [unrolled: 1-line block ×6, first 2 shown]
	global_load_dwordx4 v[8:11], v[81:82], off
	v_subrev_nc_u32_e32 v36, s2, v78
	v_fmac_f32_e32 v39, 0x80000000, v72
	v_subrev_nc_u32_e32 v78, s2, v79
	v_lshlrev_b32_e32 v35, 2, v25
	s_waitcnt vmcnt(2)
	v_fmac_f32_e32 v38, 0, v73
	v_lshlrev_b32_e32 v77, 2, v36
	v_fmac_f32_e32 v41, 0x80000000, v72
	v_fmac_f32_e32 v44, 0x80000000, v72
	;; [unrolled: 1-line block ×8, first 2 shown]
	v_lshlrev_b32_e32 v4, 2, v78
	v_ashrrev_i32_e32 v36, 31, v35
	v_ashrrev_i32_e32 v78, 31, v77
	v_fmac_f32_e32 v41, v5, v73
	v_fmac_f32_e32 v44, v6, v73
	;; [unrolled: 1-line block ×6, first 2 shown]
	v_ashrrev_i32_e32 v5, 31, v4
	v_lshlrev_b64 v[6:7], 3, v[35:36]
	v_lshlrev_b64 v[35:36], 3, v[77:78]
	v_fmac_f32_e32 v39, 0x80000000, v74
	v_fmac_f32_e32 v41, 0x80000000, v74
	v_lshlrev_b64 v[4:5], 3, v[4:5]
	v_fmac_f32_e32 v44, 0x80000000, v74
	v_add_co_u32 v6, vcc_lo, s6, v6
	v_add_co_ci_u32_e64 v7, null, s7, v7, vcc_lo
	v_fmac_f32_e32 v26, 0x80000000, v74
	v_fmac_f32_e32 v38, 0, v75
	;; [unrolled: 1-line block ×5, first 2 shown]
	v_add_co_u32 v35, vcc_lo, s6, v35
	v_add_co_ci_u32_e64 v36, null, s7, v36, vcc_lo
	v_add_co_u32 v77, vcc_lo, s6, v4
	global_load_dwordx4 v[69:72], v[81:82], off offset:16
	v_add_co_ci_u32_e64 v78, null, s7, v5, vcc_lo
	v_fmac_f32_e32 v39, v0, v75
	v_fmac_f32_e32 v41, v1, v75
	;; [unrolled: 1-line block ×8, first 2 shown]
	s_clause 0x1
	global_load_dwordx4 v[0:3], v[6:7], off
	global_load_dwordx4 v[4:7], v[6:7], off offset:16
	v_fmac_f32_e32 v39, 0x80000000, v76
	v_fmac_f32_e32 v41, 0x80000000, v76
	v_fmac_f32_e32 v44, 0x80000000, v76
	v_fmac_f32_e32 v26, 0x80000000, v76
	global_load_dwordx4 v[73:76], v[35:36], off
	v_add_co_u32 v27, vcc_lo, 0x100, v27
	v_add_co_ci_u32_e64 v28, null, 0, v28, vcc_lo
	v_add_co_u32 v33, vcc_lo, 0x400, v33
	v_add_co_ci_u32_e64 v34, null, 0, v34, vcc_lo
	;; [unrolled: 2-line block ×3, first 2 shown]
	v_cmp_ge_i64_e32 vcc_lo, v[27:28], v[29:30]
	s_or_b32 s3, vcc_lo, s3
	s_waitcnt vmcnt(2)
	v_fmac_f32_e32 v38, 0, v0
	v_fmac_f32_e32 v40, 0, v0
	;; [unrolled: 1-line block ×12, first 2 shown]
	global_load_dwordx4 v[53:56], v[35:36], off offset:16
	v_fmac_f32_e32 v39, 0x80000000, v1
	v_fmac_f32_e32 v41, 0x80000000, v1
	;; [unrolled: 1-line block ×16, first 2 shown]
	global_load_dwordx4 v[57:60], v[77:78], off
	v_fmac_f32_e32 v39, 0x80000000, v3
	v_fmac_f32_e32 v41, 0x80000000, v3
	;; [unrolled: 1-line block ×4, first 2 shown]
	global_load_dwordx4 v[0:3], v[81:82], off offset:32
	global_load_dwordx4 v[77:80], v[77:78], off offset:16
	s_waitcnt vmcnt(5)
	v_fmac_f32_e32 v38, 0, v4
	v_fmac_f32_e32 v40, 0, v4
	;; [unrolled: 1-line block ×12, first 2 shown]
	global_load_dwordx4 v[49:52], v[81:82], off offset:48
	v_fmac_f32_e32 v39, 0x80000000, v5
	v_fmac_f32_e32 v41, 0x80000000, v5
	v_fmac_f32_e32 v44, 0x80000000, v5
	v_fmac_f32_e32 v26, 0x80000000, v5
	v_fmac_f32_e32 v38, 0, v6
	v_fmac_f32_e32 v39, v45, v6
	v_fmac_f32_e32 v41, v46, v6
	v_fmac_f32_e32 v40, 0, v6
	v_fmac_f32_e32 v44, v47, v6
	v_fmac_f32_e32 v42, 0, v6
	v_fmac_f32_e32 v43, 0, v6
	v_fmac_f32_e32 v26, v48, v6
	v_fmac_f32_e32 v38, v45, v7
	v_fmac_f32_e32 v40, v46, v7
	v_fmac_f32_e32 v42, v47, v7
	v_fmac_f32_e32 v39, 0x80000000, v7
	v_fmac_f32_e32 v43, v48, v7
	v_fmac_f32_e32 v41, 0x80000000, v7
	v_fmac_f32_e32 v44, 0x80000000, v7
	v_fmac_f32_e32 v26, 0x80000000, v7
	s_waitcnt vmcnt(5)
	v_fmac_f32_e32 v39, v61, v73
	v_fmac_f32_e32 v38, 0, v73
	v_fmac_f32_e32 v41, v62, v73
	v_fmac_f32_e32 v40, 0, v73
	v_fmac_f32_e32 v44, v63, v73
	v_fmac_f32_e32 v42, 0, v73
	v_fmac_f32_e32 v43, 0, v73
	v_fmac_f32_e32 v26, v64, v73
	v_fmac_f32_e32 v38, v61, v74
	v_fmac_f32_e32 v40, v62, v74
	v_fmac_f32_e32 v42, v63, v74
	v_fmac_f32_e32 v39, 0x80000000, v74
	v_fmac_f32_e32 v43, v64, v74
	v_fmac_f32_e32 v41, 0x80000000, v74
	v_fmac_f32_e32 v44, 0x80000000, v74
	v_fmac_f32_e32 v26, 0x80000000, v74
	v_fmac_f32_e32 v39, v12, v75
	v_fmac_f32_e32 v38, 0, v75
	v_fmac_f32_e32 v41, v13, v75
	v_fmac_f32_e32 v40, 0, v75
	v_fmac_f32_e32 v44, v14, v75
	v_fmac_f32_e32 v42, 0, v75
	v_fmac_f32_e32 v43, 0, v75
	v_fmac_f32_e32 v26, v15, v75
	v_fmac_f32_e32 v38, v12, v76
	v_fmac_f32_e32 v40, v13, v76
	v_fmac_f32_e32 v42, v14, v76
	v_fmac_f32_e32 v39, 0x80000000, v76
	v_fmac_f32_e32 v43, v15, v76
	v_fmac_f32_e32 v41, 0x80000000, v76
	v_fmac_f32_e32 v44, 0x80000000, v76
	v_fmac_f32_e32 v26, 0x80000000, v76
	s_waitcnt vmcnt(4)
	v_fmac_f32_e32 v39, v65, v53
	v_fmac_f32_e32 v38, 0, v53
	v_fmac_f32_e32 v41, v66, v53
	v_fmac_f32_e32 v40, 0, v53
	v_fmac_f32_e32 v44, v67, v53
	v_fmac_f32_e32 v42, 0, v53
	v_fmac_f32_e32 v26, v68, v53
	v_fmac_f32_e32 v43, 0, v53
	v_fmac_f32_e32 v39, 0x80000000, v54
	v_fmac_f32_e32 v38, v65, v54
	v_fmac_f32_e32 v41, 0x80000000, v54
	v_fmac_f32_e32 v40, v66, v54
	;; [unrolled: 33-line block ×4, first 2 shown]
	v_fmac_f32_e32 v44, 0x80000000, v78
	v_fmac_f32_e32 v42, v2, v78
	v_fmac_f32_e32 v26, 0x80000000, v78
	v_fmac_f32_e32 v43, v3, v78
	s_waitcnt vmcnt(0)
	v_fmac_f32_e32 v39, v49, v79
	v_fmac_f32_e32 v38, 0, v79
	;; [unrolled: 1-line block ×16, first 2 shown]
	s_andn2_b32 exec_lo, exec_lo, s3
	s_cbranch_execnz .LBB129_31
; %bb.32:
	s_or_b32 exec_lo, exec_lo, s3
.LBB129_33:
	s_or_b32 exec_lo, exec_lo, s0
.LBB129_34:
	s_or_b32 exec_lo, exec_lo, s1
.LBB129_35:
	v_mbcnt_lo_u32_b32 v0, -1, 0
	v_or_b32_e32 v1, 32, v0
	v_xor_b32_e32 v9, 16, v0
	v_xor_b32_e32 v17, 8, v0
	v_cmp_gt_i32_e32 vcc_lo, 32, v1
	v_cndmask_b32_e32 v1, v0, v1, vcc_lo
	v_cmp_gt_i32_e32 vcc_lo, 32, v9
	v_lshlrev_b32_e32 v1, 2, v1
	v_cndmask_b32_e32 v9, v0, v9, vcc_lo
	v_cmp_gt_i32_e32 vcc_lo, 32, v17
	ds_bpermute_b32 v2, v1, v39
	ds_bpermute_b32 v3, v1, v38
	;; [unrolled: 1-line block ×8, first 2 shown]
	v_lshlrev_b32_e32 v9, 2, v9
	v_cndmask_b32_e32 v17, v0, v17, vcc_lo
	v_lshlrev_b32_e32 v17, 2, v17
	s_waitcnt lgkmcnt(7)
	v_add_f32_e32 v2, v39, v2
	s_waitcnt lgkmcnt(6)
	v_add_f32_e32 v3, v38, v3
	;; [unrolled: 2-line block ×8, first 2 shown]
	ds_bpermute_b32 v10, v9, v2
	ds_bpermute_b32 v11, v9, v3
	;; [unrolled: 1-line block ×8, first 2 shown]
	s_waitcnt lgkmcnt(7)
	v_add_f32_e32 v2, v2, v10
	s_waitcnt lgkmcnt(6)
	v_add_f32_e32 v3, v3, v11
	s_waitcnt lgkmcnt(5)
	v_add_f32_e32 v4, v4, v12
	s_waitcnt lgkmcnt(4)
	v_add_f32_e32 v5, v5, v13
	s_waitcnt lgkmcnt(3)
	v_add_f32_e32 v6, v6, v14
	s_waitcnt lgkmcnt(2)
	v_add_f32_e32 v7, v7, v15
	s_waitcnt lgkmcnt(1)
	v_add_f32_e32 v8, v8, v16
	s_waitcnt lgkmcnt(0)
	v_add_f32_e32 v1, v1, v9
	ds_bpermute_b32 v9, v17, v2
	ds_bpermute_b32 v10, v17, v3
	;; [unrolled: 1-line block ×8, first 2 shown]
	v_xor_b32_e32 v17, 4, v0
	v_cmp_gt_i32_e32 vcc_lo, 32, v17
	v_cndmask_b32_e32 v17, v0, v17, vcc_lo
	s_waitcnt lgkmcnt(7)
	v_add_f32_e32 v2, v2, v9
	s_waitcnt lgkmcnt(6)
	v_add_f32_e32 v3, v3, v10
	;; [unrolled: 2-line block ×3, first 2 shown]
	v_lshlrev_b32_e32 v17, 2, v17
	s_waitcnt lgkmcnt(4)
	v_add_f32_e32 v5, v5, v12
	s_waitcnt lgkmcnt(3)
	v_add_f32_e32 v6, v6, v13
	;; [unrolled: 2-line block ×5, first 2 shown]
	ds_bpermute_b32 v9, v17, v2
	ds_bpermute_b32 v10, v17, v3
	;; [unrolled: 1-line block ×8, first 2 shown]
	v_xor_b32_e32 v17, 2, v0
	v_cmp_gt_i32_e32 vcc_lo, 32, v17
	v_cndmask_b32_e32 v17, v0, v17, vcc_lo
	s_waitcnt lgkmcnt(7)
	v_add_f32_e32 v2, v2, v9
	s_waitcnt lgkmcnt(6)
	v_add_f32_e32 v3, v3, v10
	;; [unrolled: 2-line block ×3, first 2 shown]
	v_lshlrev_b32_e32 v17, 2, v17
	s_waitcnt lgkmcnt(4)
	v_add_f32_e32 v5, v5, v12
	s_waitcnt lgkmcnt(3)
	v_add_f32_e32 v6, v6, v13
	;; [unrolled: 2-line block ×5, first 2 shown]
	ds_bpermute_b32 v1, v17, v2
	ds_bpermute_b32 v10, v17, v3
	;; [unrolled: 1-line block ×8, first 2 shown]
	v_xor_b32_e32 v17, 1, v0
	v_cmp_gt_i32_e32 vcc_lo, 32, v17
	v_cndmask_b32_e32 v0, v0, v17, vcc_lo
	v_cmp_eq_u32_e32 vcc_lo, 63, v37
	v_lshlrev_b32_e32 v17, 2, v0
	s_waitcnt lgkmcnt(7)
	v_add_f32_e32 v0, v2, v1
	s_waitcnt lgkmcnt(6)
	v_add_f32_e32 v1, v3, v10
	s_waitcnt lgkmcnt(5)
	v_add_f32_e32 v2, v4, v11
	s_waitcnt lgkmcnt(4)
	v_add_f32_e32 v3, v5, v12
	s_waitcnt lgkmcnt(3)
	v_add_f32_e32 v4, v6, v13
	s_waitcnt lgkmcnt(2)
	v_add_f32_e32 v5, v7, v14
	s_waitcnt lgkmcnt(1)
	v_add_f32_e32 v6, v8, v15
	s_waitcnt lgkmcnt(0)
	v_add_f32_e32 v7, v9, v16
	ds_bpermute_b32 v8, v17, v0
	ds_bpermute_b32 v9, v17, v1
	;; [unrolled: 1-line block ×8, first 2 shown]
	s_and_b32 exec_lo, exec_lo, vcc_lo
	s_cbranch_execz .LBB129_8
; %bb.36:
	s_load_dwordx2 s[2:3], s[4:5], 0x50
	s_waitcnt lgkmcnt(0)
	v_add_f32_e32 v8, v0, v8
	v_add_f32_e32 v0, v1, v9
	;; [unrolled: 1-line block ×8, first 2 shown]
	v_mul_f32_e64 v4, v0, -v23
	v_mul_f32_e32 v5, v22, v0
	v_mul_f32_e64 v6, v1, -v23
	v_mul_f32_e32 v7, v22, v1
	v_mul_f32_e64 v0, v2, -v23
	v_mul_f32_e32 v1, v22, v2
	v_mul_f32_e64 v2, v3, -v23
	v_mul_f32_e32 v3, v22, v3
	v_cmp_eq_f32_e32 vcc_lo, 0, v20
	v_cmp_eq_f32_e64 s0, 0, v21
	v_fmac_f32_e32 v4, v22, v8
	v_fmac_f32_e32 v5, v23, v8
	v_lshlrev_b32_e32 v8, 2, v24
	v_fmac_f32_e32 v6, v22, v9
	v_fmac_f32_e32 v7, v23, v9
	;; [unrolled: 1-line block ×6, first 2 shown]
	s_and_b32 s0, vcc_lo, s0
	s_and_saveexec_b32 s1, s0
	s_xor_b32 s0, exec_lo, s1
	s_cbranch_execz .LBB129_38
; %bb.37:
	v_ashrrev_i32_e32 v9, 31, v8
                                        ; implicit-def: $vgpr20_vgpr21
	v_lshlrev_b64 v[8:9], 3, v[8:9]
	v_add_co_u32 v8, vcc_lo, s2, v8
	v_add_co_ci_u32_e64 v9, null, s3, v9, vcc_lo
	global_store_dwordx4 v[8:9], v[4:7], off
	global_store_dwordx4 v[8:9], v[0:3], off offset:16
                                        ; implicit-def: $vgpr4
                                        ; implicit-def: $vgpr8
                                        ; implicit-def: $vgpr0
.LBB129_38:
	s_andn2_saveexec_b32 s0, s0
	s_cbranch_execz .LBB129_8
; %bb.39:
	v_ashrrev_i32_e32 v9, 31, v8
	v_lshlrev_b64 v[8:9], 3, v[8:9]
	v_add_co_u32 v16, vcc_lo, s2, v8
	v_add_co_ci_u32_e64 v17, null, s3, v9, vcc_lo
	s_clause 0x1
	global_load_dwordx4 v[8:11], v[16:17], off
	global_load_dwordx4 v[12:15], v[16:17], off offset:16
	s_waitcnt vmcnt(1)
	v_fmac_f32_e32 v4, v20, v8
	v_fmac_f32_e32 v5, v21, v8
	;; [unrolled: 1-line block ×4, first 2 shown]
	s_waitcnt vmcnt(0)
	v_fmac_f32_e32 v0, v20, v12
	v_fmac_f32_e32 v1, v21, v12
	;; [unrolled: 1-line block ×4, first 2 shown]
	v_fma_f32 v4, -v21, v9, v4
	v_fmac_f32_e32 v5, v20, v9
	v_fma_f32 v6, -v21, v11, v6
	v_fmac_f32_e32 v7, v20, v11
	;; [unrolled: 2-line block ×4, first 2 shown]
	global_store_dwordx4 v[16:17], v[4:7], off
	global_store_dwordx4 v[16:17], v[0:3], off offset:16
	s_endpgm
	.section	.rodata,"a",@progbits
	.p2align	6, 0x0
	.amdhsa_kernel _ZN9rocsparseL18bsrxmvn_4x4_kernelILj128ELj64E21rocsparse_complex_numIfElifS2_S2_EEvT3_20rocsparse_direction_NS_24const_host_device_scalarIT1_EES3_PKS3_PKT2_SC_S9_PKT4_PKT5_S7_PT6_21rocsparse_index_base_b
		.amdhsa_group_segment_fixed_size 0
		.amdhsa_private_segment_fixed_size 0
		.amdhsa_kernarg_size 96
		.amdhsa_user_sgpr_count 6
		.amdhsa_user_sgpr_private_segment_buffer 1
		.amdhsa_user_sgpr_dispatch_ptr 0
		.amdhsa_user_sgpr_queue_ptr 0
		.amdhsa_user_sgpr_kernarg_segment_ptr 1
		.amdhsa_user_sgpr_dispatch_id 0
		.amdhsa_user_sgpr_flat_scratch_init 0
		.amdhsa_user_sgpr_private_segment_size 0
		.amdhsa_wavefront_size32 1
		.amdhsa_uses_dynamic_stack 0
		.amdhsa_system_sgpr_private_segment_wavefront_offset 0
		.amdhsa_system_sgpr_workgroup_id_x 1
		.amdhsa_system_sgpr_workgroup_id_y 0
		.amdhsa_system_sgpr_workgroup_id_z 0
		.amdhsa_system_sgpr_workgroup_info 0
		.amdhsa_system_vgpr_workitem_id 0
		.amdhsa_next_free_vgpr 103
		.amdhsa_next_free_sgpr 16
		.amdhsa_reserve_vcc 1
		.amdhsa_reserve_flat_scratch 0
		.amdhsa_float_round_mode_32 0
		.amdhsa_float_round_mode_16_64 0
		.amdhsa_float_denorm_mode_32 3
		.amdhsa_float_denorm_mode_16_64 3
		.amdhsa_dx10_clamp 1
		.amdhsa_ieee_mode 1
		.amdhsa_fp16_overflow 0
		.amdhsa_workgroup_processor_mode 1
		.amdhsa_memory_ordered 1
		.amdhsa_forward_progress 1
		.amdhsa_shared_vgpr_count 0
		.amdhsa_exception_fp_ieee_invalid_op 0
		.amdhsa_exception_fp_denorm_src 0
		.amdhsa_exception_fp_ieee_div_zero 0
		.amdhsa_exception_fp_ieee_overflow 0
		.amdhsa_exception_fp_ieee_underflow 0
		.amdhsa_exception_fp_ieee_inexact 0
		.amdhsa_exception_int_div_zero 0
	.end_amdhsa_kernel
	.section	.text._ZN9rocsparseL18bsrxmvn_4x4_kernelILj128ELj64E21rocsparse_complex_numIfElifS2_S2_EEvT3_20rocsparse_direction_NS_24const_host_device_scalarIT1_EES3_PKS3_PKT2_SC_S9_PKT4_PKT5_S7_PT6_21rocsparse_index_base_b,"axG",@progbits,_ZN9rocsparseL18bsrxmvn_4x4_kernelILj128ELj64E21rocsparse_complex_numIfElifS2_S2_EEvT3_20rocsparse_direction_NS_24const_host_device_scalarIT1_EES3_PKS3_PKT2_SC_S9_PKT4_PKT5_S7_PT6_21rocsparse_index_base_b,comdat
.Lfunc_end129:
	.size	_ZN9rocsparseL18bsrxmvn_4x4_kernelILj128ELj64E21rocsparse_complex_numIfElifS2_S2_EEvT3_20rocsparse_direction_NS_24const_host_device_scalarIT1_EES3_PKS3_PKT2_SC_S9_PKT4_PKT5_S7_PT6_21rocsparse_index_base_b, .Lfunc_end129-_ZN9rocsparseL18bsrxmvn_4x4_kernelILj128ELj64E21rocsparse_complex_numIfElifS2_S2_EEvT3_20rocsparse_direction_NS_24const_host_device_scalarIT1_EES3_PKS3_PKT2_SC_S9_PKT4_PKT5_S7_PT6_21rocsparse_index_base_b
                                        ; -- End function
	.set _ZN9rocsparseL18bsrxmvn_4x4_kernelILj128ELj64E21rocsparse_complex_numIfElifS2_S2_EEvT3_20rocsparse_direction_NS_24const_host_device_scalarIT1_EES3_PKS3_PKT2_SC_S9_PKT4_PKT5_S7_PT6_21rocsparse_index_base_b.num_vgpr, 103
	.set _ZN9rocsparseL18bsrxmvn_4x4_kernelILj128ELj64E21rocsparse_complex_numIfElifS2_S2_EEvT3_20rocsparse_direction_NS_24const_host_device_scalarIT1_EES3_PKS3_PKT2_SC_S9_PKT4_PKT5_S7_PT6_21rocsparse_index_base_b.num_agpr, 0
	.set _ZN9rocsparseL18bsrxmvn_4x4_kernelILj128ELj64E21rocsparse_complex_numIfElifS2_S2_EEvT3_20rocsparse_direction_NS_24const_host_device_scalarIT1_EES3_PKS3_PKT2_SC_S9_PKT4_PKT5_S7_PT6_21rocsparse_index_base_b.numbered_sgpr, 16
	.set _ZN9rocsparseL18bsrxmvn_4x4_kernelILj128ELj64E21rocsparse_complex_numIfElifS2_S2_EEvT3_20rocsparse_direction_NS_24const_host_device_scalarIT1_EES3_PKS3_PKT2_SC_S9_PKT4_PKT5_S7_PT6_21rocsparse_index_base_b.num_named_barrier, 0
	.set _ZN9rocsparseL18bsrxmvn_4x4_kernelILj128ELj64E21rocsparse_complex_numIfElifS2_S2_EEvT3_20rocsparse_direction_NS_24const_host_device_scalarIT1_EES3_PKS3_PKT2_SC_S9_PKT4_PKT5_S7_PT6_21rocsparse_index_base_b.private_seg_size, 0
	.set _ZN9rocsparseL18bsrxmvn_4x4_kernelILj128ELj64E21rocsparse_complex_numIfElifS2_S2_EEvT3_20rocsparse_direction_NS_24const_host_device_scalarIT1_EES3_PKS3_PKT2_SC_S9_PKT4_PKT5_S7_PT6_21rocsparse_index_base_b.uses_vcc, 1
	.set _ZN9rocsparseL18bsrxmvn_4x4_kernelILj128ELj64E21rocsparse_complex_numIfElifS2_S2_EEvT3_20rocsparse_direction_NS_24const_host_device_scalarIT1_EES3_PKS3_PKT2_SC_S9_PKT4_PKT5_S7_PT6_21rocsparse_index_base_b.uses_flat_scratch, 0
	.set _ZN9rocsparseL18bsrxmvn_4x4_kernelILj128ELj64E21rocsparse_complex_numIfElifS2_S2_EEvT3_20rocsparse_direction_NS_24const_host_device_scalarIT1_EES3_PKS3_PKT2_SC_S9_PKT4_PKT5_S7_PT6_21rocsparse_index_base_b.has_dyn_sized_stack, 0
	.set _ZN9rocsparseL18bsrxmvn_4x4_kernelILj128ELj64E21rocsparse_complex_numIfElifS2_S2_EEvT3_20rocsparse_direction_NS_24const_host_device_scalarIT1_EES3_PKS3_PKT2_SC_S9_PKT4_PKT5_S7_PT6_21rocsparse_index_base_b.has_recursion, 0
	.set _ZN9rocsparseL18bsrxmvn_4x4_kernelILj128ELj64E21rocsparse_complex_numIfElifS2_S2_EEvT3_20rocsparse_direction_NS_24const_host_device_scalarIT1_EES3_PKS3_PKT2_SC_S9_PKT4_PKT5_S7_PT6_21rocsparse_index_base_b.has_indirect_call, 0
	.section	.AMDGPU.csdata,"",@progbits
; Kernel info:
; codeLenInByte = 7288
; TotalNumSgprs: 18
; NumVgprs: 103
; ScratchSize: 0
; MemoryBound: 0
; FloatMode: 240
; IeeeMode: 1
; LDSByteSize: 0 bytes/workgroup (compile time only)
; SGPRBlocks: 0
; VGPRBlocks: 12
; NumSGPRsForWavesPerEU: 18
; NumVGPRsForWavesPerEU: 103
; Occupancy: 9
; WaveLimiterHint : 1
; COMPUTE_PGM_RSRC2:SCRATCH_EN: 0
; COMPUTE_PGM_RSRC2:USER_SGPR: 6
; COMPUTE_PGM_RSRC2:TRAP_HANDLER: 0
; COMPUTE_PGM_RSRC2:TGID_X_EN: 1
; COMPUTE_PGM_RSRC2:TGID_Y_EN: 0
; COMPUTE_PGM_RSRC2:TGID_Z_EN: 0
; COMPUTE_PGM_RSRC2:TIDIG_COMP_CNT: 0
	.section	.text._ZN9rocsparseL18bsrxmvn_4x4_kernelILj128ELj4E21rocsparse_complex_numIfEllfS2_S2_EEvT3_20rocsparse_direction_NS_24const_host_device_scalarIT1_EES3_PKS3_PKT2_SC_S9_PKT4_PKT5_S7_PT6_21rocsparse_index_base_b,"axG",@progbits,_ZN9rocsparseL18bsrxmvn_4x4_kernelILj128ELj4E21rocsparse_complex_numIfEllfS2_S2_EEvT3_20rocsparse_direction_NS_24const_host_device_scalarIT1_EES3_PKS3_PKT2_SC_S9_PKT4_PKT5_S7_PT6_21rocsparse_index_base_b,comdat
	.globl	_ZN9rocsparseL18bsrxmvn_4x4_kernelILj128ELj4E21rocsparse_complex_numIfEllfS2_S2_EEvT3_20rocsparse_direction_NS_24const_host_device_scalarIT1_EES3_PKS3_PKT2_SC_S9_PKT4_PKT5_S7_PT6_21rocsparse_index_base_b ; -- Begin function _ZN9rocsparseL18bsrxmvn_4x4_kernelILj128ELj4E21rocsparse_complex_numIfEllfS2_S2_EEvT3_20rocsparse_direction_NS_24const_host_device_scalarIT1_EES3_PKS3_PKT2_SC_S9_PKT4_PKT5_S7_PT6_21rocsparse_index_base_b
	.p2align	8
	.type	_ZN9rocsparseL18bsrxmvn_4x4_kernelILj128ELj4E21rocsparse_complex_numIfEllfS2_S2_EEvT3_20rocsparse_direction_NS_24const_host_device_scalarIT1_EES3_PKS3_PKT2_SC_S9_PKT4_PKT5_S7_PT6_21rocsparse_index_base_b,@function
_ZN9rocsparseL18bsrxmvn_4x4_kernelILj128ELj4E21rocsparse_complex_numIfEllfS2_S2_EEvT3_20rocsparse_direction_NS_24const_host_device_scalarIT1_EES3_PKS3_PKT2_SC_S9_PKT4_PKT5_S7_PT6_21rocsparse_index_base_b: ; @_ZN9rocsparseL18bsrxmvn_4x4_kernelILj128ELj4E21rocsparse_complex_numIfEllfS2_S2_EEvT3_20rocsparse_direction_NS_24const_host_device_scalarIT1_EES3_PKS3_PKT2_SC_S9_PKT4_PKT5_S7_PT6_21rocsparse_index_base_b
; %bb.0:
	s_clause 0x2
	s_load_dwordx2 s[8:9], s[4:5], 0x60
	s_load_dwordx4 s[0:3], s[4:5], 0x10
	s_load_dwordx2 s[10:11], s[4:5], 0x50
	s_add_u32 s7, s4, 16
	s_addc_u32 s12, s5, 0
	s_add_u32 s13, s4, 0x50
	s_addc_u32 s14, s5, 0
	s_waitcnt lgkmcnt(0)
	s_bitcmp1_b32 s9, 0
	s_cselect_b32 s0, s7, s0
	s_cselect_b32 s1, s12, s1
	v_mov_b32_e32 v1, s0
	v_mov_b32_e32 v2, s1
	s_cselect_b32 s0, s13, s10
	s_cselect_b32 s1, s14, s11
	flat_load_dwordx2 v[10:11], v[1:2]
	v_mov_b32_e32 v1, s0
	v_mov_b32_e32 v2, s1
	flat_load_dwordx2 v[8:9], v[1:2]
	s_waitcnt vmcnt(1) lgkmcnt(1)
	v_cmp_eq_f32_e32 vcc_lo, 0, v10
	v_cmp_eq_f32_e64 s0, 0, v11
	s_and_b32 s7, vcc_lo, s0
	s_mov_b32 s0, -1
	s_and_saveexec_b32 s1, s7
	s_cbranch_execz .LBB130_2
; %bb.1:
	s_waitcnt vmcnt(0) lgkmcnt(0)
	v_cmp_neq_f32_e32 vcc_lo, 1.0, v8
	v_cmp_neq_f32_e64 s0, 0, v9
	s_or_b32 s0, vcc_lo, s0
	s_orn2_b32 s0, s0, exec_lo
.LBB130_2:
	s_or_b32 exec_lo, exec_lo, s1
	s_and_saveexec_b32 s1, s0
	s_cbranch_execz .LBB130_8
; %bb.3:
	s_load_dwordx2 s[0:1], s[4:5], 0x20
	v_lshrrev_b32_e32 v1, 2, v0
	v_mov_b32_e32 v2, 0
	v_lshl_or_b32 v1, s6, 5, v1
	s_waitcnt lgkmcnt(0)
	s_cmp_lg_u64 s[0:1], 0
	s_cbranch_scc0 .LBB130_9
; %bb.4:
	v_cmp_gt_i64_e32 vcc_lo, s[2:3], v[1:2]
	s_mov_b32 s3, 0
	s_mov_b32 s2, 0
                                        ; implicit-def: $vgpr12_vgpr13
                                        ; implicit-def: $vgpr14_vgpr15
	s_and_saveexec_b32 s6, vcc_lo
	s_xor_b32 s6, exec_lo, s6
	s_cbranch_execz .LBB130_6
; %bb.5:
	v_lshlrev_b64 v[3:4], 3, v[1:2]
	s_mov_b32 s9, 0
	s_mov_b32 s2, exec_lo
	v_mov_b32_e32 v15, s9
	v_mov_b32_e32 v14, s8
	v_add_co_u32 v3, vcc_lo, s0, v3
	v_add_co_ci_u32_e64 v4, null, s1, v4, vcc_lo
	global_load_dwordx2 v[3:4], v[3:4], off
	s_waitcnt vmcnt(0)
	v_sub_co_u32 v12, vcc_lo, v3, s8
	v_subrev_co_ci_u32_e64 v13, null, 0, v4, vcc_lo
.LBB130_6:
	s_or_b32 exec_lo, exec_lo, s6
	s_and_b32 vcc_lo, exec_lo, s3
	s_cbranch_vccnz .LBB130_10
.LBB130_7:
	s_and_b32 exec_lo, exec_lo, s2
	s_cbranch_execnz .LBB130_13
.LBB130_8:
	s_endpgm
.LBB130_9:
	s_mov_b32 s2, 0
                                        ; implicit-def: $vgpr12_vgpr13
                                        ; implicit-def: $vgpr14_vgpr15
	s_cbranch_execz .LBB130_7
.LBB130_10:
	s_load_dwordx2 s[0:1], s[4:5], 0x0
	s_waitcnt lgkmcnt(0)
	v_cmp_gt_i64_e32 vcc_lo, s[0:1], v[1:2]
	s_and_saveexec_b32 s0, vcc_lo
; %bb.11:
	s_mov_b32 s9, 0
	s_or_b32 s2, s2, exec_lo
; %bb.12:
	s_or_b32 exec_lo, exec_lo, s0
	v_mov_b32_e32 v15, s9
	v_mov_b32_e32 v13, v2
	v_mov_b32_e32 v14, s8
	v_mov_b32_e32 v12, v1
	s_and_b32 exec_lo, exec_lo, s2
	s_cbranch_execz .LBB130_8
.LBB130_13:
	s_load_dwordx8 s[8:15], s[4:5], 0x28
	v_lshlrev_b64 v[1:2], 3, v[12:13]
	v_and_b32_e32 v34, 3, v0
	s_clause 0x1
	s_load_dword s1, s[4:5], 0x8
	s_load_dwordx2 s[2:3], s[4:5], 0x48
	v_mov_b32_e32 v35, 0
	s_waitcnt lgkmcnt(0)
	v_add_co_u32 v3, vcc_lo, s8, v1
	v_add_co_ci_u32_e64 v4, null, s9, v2, vcc_lo
	v_add_co_u32 v1, vcc_lo, s10, v1
	v_add_co_ci_u32_e64 v2, null, s11, v2, vcc_lo
	v_add_co_u32 v5, vcc_lo, v3, 8
	global_load_dwordx2 v[24:25], v[3:4], off
	v_add_co_ci_u32_e64 v6, null, 0, v4, vcc_lo
	s_cmp_eq_u64 s[10:11], 0
	s_cselect_b32 vcc_lo, -1, 0
	s_cmp_eq_u32 s1, 1
	v_cndmask_b32_e32 v2, v2, v6, vcc_lo
	v_cndmask_b32_e32 v1, v1, v5, vcc_lo
	global_load_dwordx2 v[1:2], v[1:2], off
	s_waitcnt vmcnt(1)
	v_sub_co_u32 v0, vcc_lo, v24, v14
	v_sub_co_ci_u32_e64 v3, null, v25, v15, vcc_lo
	v_add_co_u32 v16, vcc_lo, v0, v34
	v_add_co_ci_u32_e64 v17, null, 0, v3, vcc_lo
	s_waitcnt vmcnt(0)
	v_sub_co_u32 v18, vcc_lo, v1, v14
	v_lshlrev_b64 v[0:1], 6, v[16:17]
	v_sub_co_ci_u32_e64 v19, null, v2, v15, vcc_lo
	v_add_co_u32 v20, vcc_lo, s14, v0
	v_cmp_lt_i64_e64 s0, v[16:17], v[18:19]
	v_add_co_ci_u32_e64 v21, null, s15, v1, vcc_lo
	s_cbranch_scc1 .LBB130_25
; %bb.14:
	v_mov_b32_e32 v36, 0
	v_mov_b32_e32 v37, 0
	;; [unrolled: 1-line block ×7, first 2 shown]
	s_and_saveexec_b32 s6, s0
	s_cbranch_execz .LBB130_24
; %bb.15:
	v_or_b32_e32 v0, 4, v34
	v_not_b32_e32 v3, v24
	v_sub_co_u32 v4, s1, v14, v34
	v_not_b32_e32 v2, v25
	v_sub_co_u32 v0, vcc_lo, v0, v14
	v_sub_co_ci_u32_e64 v1, null, 0, v15, vcc_lo
	v_subrev_co_ci_u32_e64 v5, null, 0, v15, s1
	v_add_co_u32 v0, vcc_lo, v0, v24
	v_add_co_ci_u32_e64 v1, null, v1, v25, vcc_lo
	v_mov_b32_e32 v23, 0
	v_mov_b32_e32 v27, v21
	;; [unrolled: 1-line block ×3, first 2 shown]
	v_cmp_gt_i64_e32 vcc_lo, v[0:1], v[18:19]
	v_mov_b32_e32 v26, v20
	v_mov_b32_e32 v40, v23
	;; [unrolled: 1-line block ×5, first 2 shown]
	v_cndmask_b32_e32 v1, v19, v1, vcc_lo
	v_cndmask_b32_e32 v0, v18, v0, vcc_lo
	v_add_co_u32 v3, vcc_lo, v4, v3
	v_add_co_ci_u32_e64 v2, null, v5, v2, vcc_lo
	v_mov_b32_e32 v37, v23
	v_add_co_u32 v0, vcc_lo, v3, v0
	v_add_co_ci_u32_e64 v1, null, v2, v1, vcc_lo
	v_mov_b32_e32 v36, v23
	v_and_b32_e32 v22, 12, v0
	v_mov_b32_e32 v35, v23
	v_mov_b32_e32 v28, v16
	s_mov_b32 s1, exec_lo
	v_cmpx_ne_u64_e32 12, v[22:23]
	s_cbranch_execz .LBB130_19
; %bb.16:
	v_lshrrev_b32_e32 v2, 2, v0
	v_mov_b32_e32 v29, v17
	v_mov_b32_e32 v27, v21
	v_mov_b32_e32 v35, 0
	v_mov_b32_e32 v28, v16
	v_add_nc_u32_e32 v4, 1, v2
	v_lshlrev_b64 v[2:3], 3, v[16:17]
	v_mov_b32_e32 v26, v20
	v_mov_b32_e32 v36, 0
	;; [unrolled: 1-line block ×3, first 2 shown]
	v_and_b32_e32 v4, 3, v4
	v_mov_b32_e32 v38, 0
	v_add_co_u32 v2, vcc_lo, s12, v2
	v_add_co_ci_u32_e64 v3, null, s13, v3, vcc_lo
	v_sub_co_u32 v4, s7, 0, v4
	v_sub_co_ci_u32_e64 v5, null, 0, 0, s7
	v_mov_b32_e32 v39, 0
	v_mov_b32_e32 v41, 0
	;; [unrolled: 1-line block ×4, first 2 shown]
	s_mov_b32 s7, 0
.LBB130_17:                             ; =>This Inner Loop Header: Depth=1
	global_load_dwordx2 v[6:7], v[2:3], off
	s_clause 0x3
	global_load_dwordx4 v[30:33], v[26:27], off offset:48
	global_load_dwordx4 v[42:45], v[26:27], off offset:32
	;; [unrolled: 1-line block ×3, first 2 shown]
	global_load_dwordx4 v[50:53], v[26:27], off
	s_waitcnt vmcnt(4)
	v_sub_co_u32 v6, vcc_lo, v6, v14
	v_sub_co_ci_u32_e64 v7, null, v7, v15, vcc_lo
	v_lshlrev_b64 v[6:7], 5, v[6:7]
	v_add_co_u32 v6, vcc_lo, s2, v6
	v_add_co_ci_u32_e64 v7, null, s3, v7, vcc_lo
	v_add_co_u32 v26, vcc_lo, 0x100, v26
	v_add_co_ci_u32_e64 v27, null, 0, v27, vcc_lo
	s_clause 0x1
	global_load_dwordx4 v[54:57], v[6:7], off
	global_load_dwordx4 v[58:61], v[6:7], off offset:16
	v_add_co_u32 v28, vcc_lo, v28, 4
	v_add_co_ci_u32_e64 v29, null, 0, v29, vcc_lo
	v_add_co_u32 v4, vcc_lo, v4, 1
	v_add_co_ci_u32_e64 v5, null, 0, v5, vcc_lo
	v_add_co_u32 v2, vcc_lo, v2, 32
	v_add_co_ci_u32_e64 v3, null, 0, v3, vcc_lo
	v_cmp_eq_u64_e32 vcc_lo, 0, v[4:5]
	s_or_b32 s7, vcc_lo, s7
	s_waitcnt vmcnt(1)
	v_fmac_f32_e32 v36, v50, v54
	v_fmac_f32_e32 v35, 0, v54
	;; [unrolled: 1-line block ×32, first 2 shown]
	s_waitcnt vmcnt(0)
	v_fmac_f32_e32 v36, v52, v58
	v_fmac_f32_e32 v35, 0, v58
	;; [unrolled: 1-line block ×32, first 2 shown]
	s_andn2_b32 exec_lo, exec_lo, s7
	s_cbranch_execnz .LBB130_17
; %bb.18:
	s_or_b32 exec_lo, exec_lo, s7
.LBB130_19:
	s_or_b32 exec_lo, exec_lo, s1
	s_mov_b32 s1, exec_lo
	v_cmpx_lt_u64_e32 11, v[0:1]
	s_cbranch_execz .LBB130_23
; %bb.20:
	v_lshlrev_b64 v[0:1], 3, v[28:29]
	s_mov_b32 s7, 0
	v_add_co_u32 v0, vcc_lo, s12, v0
	v_add_co_ci_u32_e64 v1, null, s13, v1, vcc_lo
	v_add_co_u32 v30, vcc_lo, v0, 64
	v_add_co_ci_u32_e64 v31, null, 0, v1, vcc_lo
.LBB130_21:                             ; =>This Inner Loop Header: Depth=1
	s_clause 0x3
	global_load_dwordx2 v[32:33], v[30:31], off offset:-64
	global_load_dwordx2 v[98:99], v[30:31], off offset:-32
	global_load_dwordx2 v[100:101], v[30:31], off
	global_load_dwordx2 v[102:103], v[30:31], off offset:32
	s_clause 0xf
	global_load_dwordx4 v[42:45], v[26:27], off offset:48
	global_load_dwordx4 v[46:49], v[26:27], off offset:32
	;; [unrolled: 1-line block ×3, first 2 shown]
	global_load_dwordx4 v[54:57], v[26:27], off
	global_load_dwordx4 v[58:61], v[26:27], off offset:304
	global_load_dwordx4 v[62:65], v[26:27], off offset:288
	;; [unrolled: 1-line block ×12, first 2 shown]
	s_waitcnt vmcnt(19)
	v_sub_co_u32 v32, vcc_lo, v32, v14
	v_sub_co_ci_u32_e64 v33, null, v33, v15, vcc_lo
	s_waitcnt vmcnt(18)
	v_sub_co_u32 v98, vcc_lo, v98, v14
	v_sub_co_ci_u32_e64 v99, null, v99, v15, vcc_lo
	;; [unrolled: 3-line block ×3, first 2 shown]
	s_waitcnt vmcnt(16)
	v_sub_co_u32 v102, vcc_lo, v102, v14
	v_lshlrev_b64 v[32:33], 5, v[32:33]
	v_sub_co_ci_u32_e64 v103, null, v103, v15, vcc_lo
	v_lshlrev_b64 v[98:99], 5, v[98:99]
	v_lshlrev_b64 v[100:101], 5, v[100:101]
	;; [unrolled: 1-line block ×3, first 2 shown]
	v_add_co_u32 v32, vcc_lo, s2, v32
	v_add_co_ci_u32_e64 v33, null, s3, v33, vcc_lo
	v_add_co_u32 v110, vcc_lo, s2, v98
	v_add_co_ci_u32_e64 v111, null, s3, v99, vcc_lo
	;; [unrolled: 2-line block ×4, first 2 shown]
	s_clause 0x4
	global_load_dwordx4 v[98:101], v[32:33], off
	global_load_dwordx4 v[102:105], v[32:33], off offset:16
	global_load_dwordx4 v[106:109], v[110:111], off
	global_load_dwordx4 v[110:113], v[110:111], off offset:16
	global_load_dwordx4 v[114:117], v[118:119], off
	v_add_co_u32 v28, vcc_lo, v28, 16
	v_add_co_ci_u32_e64 v29, null, 0, v29, vcc_lo
	v_add_co_u32 v26, vcc_lo, 0x400, v26
	v_add_co_ci_u32_e64 v27, null, 0, v27, vcc_lo
	v_add_co_u32 v30, vcc_lo, 0x80, v30
	v_add_co_ci_u32_e64 v31, null, 0, v31, vcc_lo
	v_cmp_ge_i64_e32 vcc_lo, v[28:29], v[18:19]
	s_or_b32 s7, vcc_lo, s7
	s_waitcnt vmcnt(4)
	v_fmac_f32_e32 v36, v54, v98
	v_fmac_f32_e32 v35, 0, v98
	;; [unrolled: 1-line block ×32, first 2 shown]
	global_load_dwordx4 v[98:101], v[118:119], off offset:16
	s_waitcnt vmcnt(4)
	v_fmac_f32_e32 v35, 0, v102
	v_fmac_f32_e32 v36, v56, v102
	;; [unrolled: 1-line block ×16, first 2 shown]
	s_clause 0x1
	global_load_dwordx4 v[54:57], v[120:121], off
	global_load_dwordx4 v[118:121], v[120:121], off offset:16
	v_fmac_f32_e32 v41, 0x80000000, v103
	v_fmac_f32_e32 v40, v44, v103
	v_fmac_f32_e32 v23, 0x80000000, v103
	v_fmac_f32_e32 v37, 0, v104
	v_fmac_f32_e32 v38, v53, v104
	v_fmac_f32_e32 v39, 0, v104
	v_fmac_f32_e32 v41, v49, v104
	v_fmac_f32_e32 v40, 0, v104
	v_fmac_f32_e32 v23, v45, v104
	v_fmac_f32_e32 v37, v53, v105
	v_fmac_f32_e32 v39, v49, v105
	v_fmac_f32_e32 v36, 0x80000000, v105
	v_fmac_f32_e32 v40, v45, v105
	v_fmac_f32_e32 v38, 0x80000000, v105
	v_fmac_f32_e32 v41, 0x80000000, v105
	v_fmac_f32_e32 v23, 0x80000000, v105
	s_waitcnt vmcnt(5)
	v_fmac_f32_e32 v36, v70, v106
	v_fmac_f32_e32 v35, 0, v106
	v_fmac_f32_e32 v38, v66, v106
	v_fmac_f32_e32 v37, 0, v106
	v_fmac_f32_e32 v41, v62, v106
	v_fmac_f32_e32 v39, 0, v106
	v_fmac_f32_e32 v23, v58, v106
	v_fmac_f32_e32 v40, 0, v106
	v_fmac_f32_e32 v36, 0x80000000, v107
	v_fmac_f32_e32 v35, v70, v107
	v_fmac_f32_e32 v38, 0x80000000, v107
	v_fmac_f32_e32 v37, v66, v107
	v_fmac_f32_e32 v41, 0x80000000, v107
	v_fmac_f32_e32 v39, v62, v107
	v_fmac_f32_e32 v23, 0x80000000, v107
	v_fmac_f32_e32 v40, v58, v107
	v_fmac_f32_e32 v36, v71, v108
	v_fmac_f32_e32 v35, 0, v108
	v_fmac_f32_e32 v38, v67, v108
	v_fmac_f32_e32 v37, 0, v108
	v_fmac_f32_e32 v41, v63, v108
	v_fmac_f32_e32 v39, 0, v108
	v_fmac_f32_e32 v23, v59, v108
	v_fmac_f32_e32 v40, 0, v108
	v_fmac_f32_e32 v36, 0x80000000, v109
	v_fmac_f32_e32 v35, v71, v109
	v_fmac_f32_e32 v38, 0x80000000, v109
	v_fmac_f32_e32 v37, v67, v109
	v_fmac_f32_e32 v41, 0x80000000, v109
	v_fmac_f32_e32 v39, v63, v109
	v_fmac_f32_e32 v23, 0x80000000, v109
	v_fmac_f32_e32 v40, v59, v109
	s_waitcnt vmcnt(4)
	v_fmac_f32_e32 v35, 0, v110
	v_fmac_f32_e32 v36, v72, v110
	v_fmac_f32_e32 v37, 0, v110
	v_fmac_f32_e32 v38, v68, v110
	v_fmac_f32_e32 v39, 0, v110
	v_fmac_f32_e32 v41, v64, v110
	v_fmac_f32_e32 v40, 0, v110
	v_fmac_f32_e32 v23, v60, v110
	v_fmac_f32_e32 v35, v72, v111
	v_fmac_f32_e32 v36, 0x80000000, v111
	v_fmac_f32_e32 v37, v68, v111
	v_fmac_f32_e32 v38, 0x80000000, v111
	v_fmac_f32_e32 v39, v64, v111
	v_fmac_f32_e32 v41, 0x80000000, v111
	v_fmac_f32_e32 v40, v60, v111
	v_fmac_f32_e32 v23, 0x80000000, v111
	;; [unrolled: 33-line block ×6, first 2 shown]
	v_fmac_f32_e32 v36, v97, v120
	v_fmac_f32_e32 v35, 0, v120
	;; [unrolled: 1-line block ×16, first 2 shown]
	s_andn2_b32 exec_lo, exec_lo, s7
	s_cbranch_execnz .LBB130_21
; %bb.22:
	s_or_b32 exec_lo, exec_lo, s7
.LBB130_23:
	s_or_b32 exec_lo, exec_lo, s1
.LBB130_24:
	s_or_b32 exec_lo, exec_lo, s6
	s_cbranch_execz .LBB130_26
	s_branch .LBB130_37
.LBB130_25:
                                        ; implicit-def: $vgpr35
                                        ; implicit-def: $vgpr36
                                        ; implicit-def: $vgpr37
                                        ; implicit-def: $vgpr38
                                        ; implicit-def: $vgpr39
                                        ; implicit-def: $vgpr41
                                        ; implicit-def: $vgpr40
                                        ; implicit-def: $vgpr23
.LBB130_26:
	v_mov_b32_e32 v35, 0
	v_mov_b32_e32 v36, 0
	;; [unrolled: 1-line block ×8, first 2 shown]
	s_and_saveexec_b32 s1, s0
	s_cbranch_execz .LBB130_36
; %bb.27:
	v_or_b32_e32 v0, 4, v34
	v_not_b32_e32 v3, v24
	v_not_b32_e32 v2, v25
	v_mov_b32_e32 v23, 0
	v_sub_co_u32 v0, vcc_lo, v0, v14
	v_sub_co_ci_u32_e64 v1, null, 0, v15, vcc_lo
	v_mov_b32_e32 v40, v23
	v_add_co_u32 v0, vcc_lo, v0, v24
	v_add_co_ci_u32_e64 v1, null, v1, v25, vcc_lo
	v_sub_co_u32 v4, vcc_lo, v14, v34
	v_subrev_co_ci_u32_e64 v5, null, 0, v15, vcc_lo
	v_cmp_gt_i64_e64 s0, v[0:1], v[18:19]
	v_add_co_u32 v3, vcc_lo, v4, v3
	v_add_co_ci_u32_e64 v2, null, v5, v2, vcc_lo
	v_mov_b32_e32 v41, v23
	v_cndmask_b32_e64 v0, v18, v0, s0
	v_cndmask_b32_e64 v1, v19, v1, s0
	v_mov_b32_e32 v39, v23
	v_mov_b32_e32 v38, v23
	;; [unrolled: 1-line block ×3, first 2 shown]
	v_add_co_u32 v0, vcc_lo, v3, v0
	v_add_co_ci_u32_e64 v1, null, v2, v1, vcc_lo
	v_mov_b32_e32 v36, v23
	v_and_b32_e32 v22, 12, v0
	v_mov_b32_e32 v35, v23
	s_mov_b32 s0, exec_lo
	v_cmpx_ne_u64_e32 12, v[22:23]
	s_cbranch_execz .LBB130_31
; %bb.28:
	v_lshrrev_b32_e32 v2, 2, v0
	v_mov_b32_e32 v35, 0
	v_mov_b32_e32 v36, 0
	;; [unrolled: 1-line block ×4, first 2 shown]
	v_add_nc_u32_e32 v4, 1, v2
	v_lshlrev_b64 v[2:3], 3, v[16:17]
	v_mov_b32_e32 v39, 0
	v_mov_b32_e32 v41, 0
	;; [unrolled: 1-line block ×3, first 2 shown]
	v_and_b32_e32 v4, 3, v4
	v_mov_b32_e32 v23, 0
	v_add_co_u32 v2, vcc_lo, s12, v2
	v_add_co_ci_u32_e64 v3, null, s13, v3, vcc_lo
	v_sub_co_u32 v4, s6, 0, v4
	v_sub_co_ci_u32_e64 v5, null, 0, 0, s6
	s_mov_b32 s6, 0
.LBB130_29:                             ; =>This Inner Loop Header: Depth=1
	global_load_dwordx2 v[6:7], v[2:3], off
	s_clause 0x1
	global_load_dwordx4 v[24:27], v[20:21], off offset:16
	global_load_dwordx4 v[28:31], v[20:21], off
	s_waitcnt vmcnt(2)
	v_sub_co_u32 v6, vcc_lo, v6, v14
	v_sub_co_ci_u32_e64 v7, null, v7, v15, vcc_lo
	v_lshlrev_b64 v[6:7], 5, v[6:7]
	v_add_co_u32 v6, vcc_lo, s2, v6
	v_add_co_ci_u32_e64 v7, null, s3, v7, vcc_lo
	s_clause 0x1
	global_load_dwordx4 v[42:45], v[6:7], off
	global_load_dwordx4 v[46:49], v[6:7], off offset:16
	s_clause 0x1
	global_load_dwordx4 v[50:53], v[20:21], off offset:32
	global_load_dwordx4 v[54:57], v[20:21], off offset:48
	v_add_co_u32 v20, vcc_lo, 0x100, v20
	v_add_co_ci_u32_e64 v21, null, 0, v21, vcc_lo
	v_add_co_u32 v16, vcc_lo, v16, 4
	v_add_co_ci_u32_e64 v17, null, 0, v17, vcc_lo
	;; [unrolled: 2-line block ×4, first 2 shown]
	v_cmp_eq_u64_e32 vcc_lo, 0, v[4:5]
	s_or_b32 s6, vcc_lo, s6
	s_waitcnt vmcnt(3)
	v_fmac_f32_e32 v36, v28, v42
	v_fmac_f32_e32 v35, 0, v42
	;; [unrolled: 1-line block ×32, first 2 shown]
	s_waitcnt vmcnt(1)
	v_fmac_f32_e32 v36, v50, v46
	v_fmac_f32_e32 v35, 0, v46
	;; [unrolled: 1-line block ×16, first 2 shown]
	s_waitcnt vmcnt(0)
	v_fmac_f32_e32 v36, v54, v48
	v_fmac_f32_e32 v35, 0, v48
	;; [unrolled: 1-line block ×16, first 2 shown]
	s_andn2_b32 exec_lo, exec_lo, s6
	s_cbranch_execnz .LBB130_29
; %bb.30:
	s_or_b32 exec_lo, exec_lo, s6
.LBB130_31:
	s_or_b32 exec_lo, exec_lo, s0
	s_mov_b32 s0, exec_lo
	v_cmpx_lt_u64_e32 11, v[0:1]
	s_cbranch_execz .LBB130_35
; %bb.32:
	v_lshlrev_b64 v[0:1], 3, v[16:17]
	s_mov_b32 s6, 0
	v_add_co_u32 v0, vcc_lo, s12, v0
	v_add_co_ci_u32_e64 v1, null, s13, v1, vcc_lo
	v_add_co_u32 v4, vcc_lo, v0, 64
	v_add_co_ci_u32_e64 v5, null, 0, v1, vcc_lo
.LBB130_33:                             ; =>This Inner Loop Header: Depth=1
	s_clause 0x3
	global_load_dwordx2 v[6:7], v[4:5], off offset:-64
	global_load_dwordx2 v[32:33], v[4:5], off offset:-32
	global_load_dwordx2 v[86:87], v[4:5], off
	global_load_dwordx2 v[88:89], v[4:5], off offset:32
	s_clause 0xd
	global_load_dwordx4 v[24:27], v[20:21], off offset:48
	global_load_dwordx4 v[28:31], v[20:21], off offset:32
	;; [unrolled: 1-line block ×3, first 2 shown]
	global_load_dwordx4 v[46:49], v[20:21], off
	global_load_dwordx4 v[50:53], v[20:21], off offset:304
	global_load_dwordx4 v[54:57], v[20:21], off offset:288
	;; [unrolled: 1-line block ×10, first 2 shown]
	s_waitcnt vmcnt(17)
	v_sub_co_u32 v6, vcc_lo, v6, v14
	v_sub_co_ci_u32_e64 v7, null, v7, v15, vcc_lo
	s_waitcnt vmcnt(16)
	v_sub_co_u32 v32, vcc_lo, v32, v14
	v_sub_co_ci_u32_e64 v33, null, v33, v15, vcc_lo
	;; [unrolled: 3-line block ×3, first 2 shown]
	s_waitcnt vmcnt(14)
	v_sub_co_u32 v88, vcc_lo, v88, v14
	v_lshlrev_b64 v[6:7], 5, v[6:7]
	v_sub_co_ci_u32_e64 v89, null, v89, v15, vcc_lo
	v_lshlrev_b64 v[32:33], 5, v[32:33]
	v_lshlrev_b64 v[86:87], 5, v[86:87]
	;; [unrolled: 1-line block ×3, first 2 shown]
	v_add_co_u32 v6, vcc_lo, s2, v6
	v_add_co_ci_u32_e64 v7, null, s3, v7, vcc_lo
	v_add_co_u32 v32, vcc_lo, s2, v32
	v_add_co_ci_u32_e64 v33, null, s3, v33, vcc_lo
	;; [unrolled: 2-line block ×4, first 2 shown]
	s_clause 0x1
	global_load_dwordx4 v[86:89], v[6:7], off
	global_load_dwordx4 v[90:93], v[6:7], off offset:16
	s_waitcnt vmcnt(1)
	v_fmac_f32_e32 v35, 0, v86
	v_fmac_f32_e32 v37, 0, v86
	;; [unrolled: 1-line block ×12, first 2 shown]
	s_clause 0x1
	global_load_dwordx4 v[46:49], v[32:33], off
	global_load_dwordx4 v[94:97], v[32:33], off offset:16
	v_fmac_f32_e32 v36, 0x80000000, v87
	v_fmac_f32_e32 v38, 0x80000000, v87
	;; [unrolled: 1-line block ×16, first 2 shown]
	global_load_dwordx4 v[42:45], v[98:99], off
	v_fmac_f32_e32 v36, 0x80000000, v89
	v_fmac_f32_e32 v38, 0x80000000, v89
	;; [unrolled: 1-line block ×4, first 2 shown]
	global_load_dwordx4 v[86:89], v[98:99], off offset:16
	s_waitcnt vmcnt(4)
	v_fmac_f32_e32 v35, 0, v90
	v_fmac_f32_e32 v37, 0, v90
	;; [unrolled: 1-line block ×12, first 2 shown]
	global_load_dwordx4 v[28:31], v[100:101], off
	v_fmac_f32_e32 v36, 0x80000000, v91
	v_fmac_f32_e32 v38, 0x80000000, v91
	;; [unrolled: 1-line block ×16, first 2 shown]
	global_load_dwordx4 v[24:27], v[20:21], off offset:800
	global_load_dwordx4 v[98:101], v[100:101], off offset:16
	v_fmac_f32_e32 v36, 0x80000000, v93
	v_fmac_f32_e32 v38, 0x80000000, v93
	;; [unrolled: 1-line block ×4, first 2 shown]
	global_load_dwordx4 v[90:93], v[20:21], off offset:816
	v_add_co_u32 v20, vcc_lo, 0x400, v20
	v_add_co_ci_u32_e64 v21, null, 0, v21, vcc_lo
	v_add_co_u32 v16, vcc_lo, v16, 16
	v_add_co_ci_u32_e64 v17, null, 0, v17, vcc_lo
	v_add_co_u32 v4, vcc_lo, 0x80, v4
	v_add_co_ci_u32_e64 v5, null, 0, v5, vcc_lo
	v_cmp_ge_i64_e32 vcc_lo, v[16:17], v[18:19]
	s_or_b32 s6, vcc_lo, s6
	s_waitcnt vmcnt(7)
	v_fmac_f32_e32 v36, v62, v46
	v_fmac_f32_e32 v35, 0, v46
	v_fmac_f32_e32 v38, v63, v46
	v_fmac_f32_e32 v37, 0, v46
	v_fmac_f32_e32 v41, v64, v46
	v_fmac_f32_e32 v39, 0, v46
	v_fmac_f32_e32 v40, 0, v46
	v_fmac_f32_e32 v23, v65, v46
	v_fmac_f32_e32 v35, v62, v47
	v_fmac_f32_e32 v37, v63, v47
	v_fmac_f32_e32 v39, v64, v47
	v_fmac_f32_e32 v36, 0x80000000, v47
	v_fmac_f32_e32 v40, v65, v47
	v_fmac_f32_e32 v38, 0x80000000, v47
	v_fmac_f32_e32 v41, 0x80000000, v47
	v_fmac_f32_e32 v23, 0x80000000, v47
	v_fmac_f32_e32 v36, v58, v48
	v_fmac_f32_e32 v35, 0, v48
	v_fmac_f32_e32 v38, v59, v48
	v_fmac_f32_e32 v37, 0, v48
	v_fmac_f32_e32 v41, v60, v48
	v_fmac_f32_e32 v39, 0, v48
	v_fmac_f32_e32 v40, 0, v48
	v_fmac_f32_e32 v23, v61, v48
	v_fmac_f32_e32 v35, v58, v49
	v_fmac_f32_e32 v37, v59, v49
	v_fmac_f32_e32 v39, v60, v49
	v_fmac_f32_e32 v36, 0x80000000, v49
	v_fmac_f32_e32 v40, v61, v49
	v_fmac_f32_e32 v38, 0x80000000, v49
	v_fmac_f32_e32 v41, 0x80000000, v49
	v_fmac_f32_e32 v23, 0x80000000, v49
	s_waitcnt vmcnt(6)
	v_fmac_f32_e32 v36, v54, v94
	v_fmac_f32_e32 v35, 0, v94
	v_fmac_f32_e32 v38, v55, v94
	v_fmac_f32_e32 v37, 0, v94
	v_fmac_f32_e32 v41, v56, v94
	v_fmac_f32_e32 v39, 0, v94
	v_fmac_f32_e32 v40, 0, v94
	v_fmac_f32_e32 v23, v57, v94
	v_fmac_f32_e32 v35, v54, v95
	v_fmac_f32_e32 v37, v55, v95
	v_fmac_f32_e32 v39, v56, v95
	v_fmac_f32_e32 v36, 0x80000000, v95
	v_fmac_f32_e32 v40, v57, v95
	v_fmac_f32_e32 v38, 0x80000000, v95
	v_fmac_f32_e32 v41, 0x80000000, v95
	v_fmac_f32_e32 v23, 0x80000000, v95
	v_fmac_f32_e32 v36, v50, v96
	v_fmac_f32_e32 v35, 0, v96
	v_fmac_f32_e32 v38, v51, v96
	v_fmac_f32_e32 v37, 0, v96
	v_fmac_f32_e32 v41, v52, v96
	v_fmac_f32_e32 v39, 0, v96
	v_fmac_f32_e32 v40, 0, v96
	v_fmac_f32_e32 v23, v53, v96
	v_fmac_f32_e32 v35, v50, v97
	v_fmac_f32_e32 v37, v51, v97
	v_fmac_f32_e32 v39, v52, v97
	v_fmac_f32_e32 v36, 0x80000000, v97
	v_fmac_f32_e32 v40, v53, v97
	v_fmac_f32_e32 v38, 0x80000000, v97
	v_fmac_f32_e32 v41, 0x80000000, v97
	v_fmac_f32_e32 v23, 0x80000000, v97
	;; [unrolled: 33-line block ×5, first 2 shown]
	s_waitcnt vmcnt(1)
	v_fmac_f32_e32 v36, v24, v98
	v_fmac_f32_e32 v35, 0, v98
	;; [unrolled: 1-line block ×16, first 2 shown]
	s_waitcnt vmcnt(0)
	v_fmac_f32_e32 v36, v90, v100
	v_fmac_f32_e32 v35, 0, v100
	;; [unrolled: 1-line block ×16, first 2 shown]
	s_andn2_b32 exec_lo, exec_lo, s6
	s_cbranch_execnz .LBB130_33
; %bb.34:
	s_or_b32 exec_lo, exec_lo, s6
.LBB130_35:
	s_or_b32 exec_lo, exec_lo, s0
.LBB130_36:
	s_or_b32 exec_lo, exec_lo, s1
.LBB130_37:
	v_mbcnt_lo_u32_b32 v0, -1, 0
	v_xor_b32_e32 v1, 2, v0
	v_cmp_gt_i32_e32 vcc_lo, 32, v1
	v_cndmask_b32_e32 v1, v0, v1, vcc_lo
	v_lshlrev_b32_e32 v1, 2, v1
	ds_bpermute_b32 v2, v1, v36
	ds_bpermute_b32 v3, v1, v35
	;; [unrolled: 1-line block ×8, first 2 shown]
	v_xor_b32_e32 v1, 1, v0
	v_cmp_gt_i32_e32 vcc_lo, 32, v1
	v_cndmask_b32_e32 v0, v0, v1, vcc_lo
	v_cmp_eq_u32_e32 vcc_lo, 3, v34
	s_waitcnt lgkmcnt(6)
	v_add_f32_e32 v1, v35, v3
	v_lshlrev_b32_e32 v21, 2, v0
	v_add_f32_e32 v0, v36, v2
	s_waitcnt lgkmcnt(5)
	v_add_f32_e32 v2, v38, v4
	s_waitcnt lgkmcnt(4)
	;; [unrolled: 2-line block ×6, first 2 shown]
	v_add_f32_e32 v7, v40, v15
	ds_bpermute_b32 v14, v21, v0
	ds_bpermute_b32 v15, v21, v1
	;; [unrolled: 1-line block ×8, first 2 shown]
	s_and_b32 exec_lo, exec_lo, vcc_lo
	s_cbranch_execz .LBB130_8
; %bb.38:
	s_load_dwordx2 s[2:3], s[4:5], 0x58
	s_waitcnt lgkmcnt(0)
	v_add_f32_e32 v14, v0, v14
	v_add_f32_e32 v0, v1, v15
	;; [unrolled: 1-line block ×8, first 2 shown]
	v_mul_f32_e64 v4, v0, -v11
	v_mul_f32_e32 v5, v10, v0
	v_mul_f32_e64 v6, v1, -v11
	v_mul_f32_e32 v7, v10, v1
	;; [unrolled: 2-line block ×4, first 2 shown]
	v_cmp_eq_f32_e32 vcc_lo, 0, v8
	v_cmp_eq_f32_e64 s0, 0, v9
	v_lshlrev_b64 v[12:13], 5, v[12:13]
	v_fmac_f32_e32 v4, v10, v14
	v_fmac_f32_e32 v5, v11, v14
	;; [unrolled: 1-line block ×8, first 2 shown]
	s_and_b32 s0, vcc_lo, s0
	s_and_saveexec_b32 s1, s0
	s_xor_b32 s0, exec_lo, s1
	s_cbranch_execz .LBB130_40
; %bb.39:
	v_add_co_u32 v8, vcc_lo, s2, v12
	v_add_co_ci_u32_e64 v9, null, s3, v13, vcc_lo
                                        ; implicit-def: $vgpr12_vgpr13
	global_store_dwordx4 v[8:9], v[4:7], off
	global_store_dwordx4 v[8:9], v[0:3], off offset:16
                                        ; implicit-def: $vgpr8_vgpr9
                                        ; implicit-def: $vgpr4
                                        ; implicit-def: $vgpr0
.LBB130_40:
	s_andn2_saveexec_b32 s0, s0
	s_cbranch_execz .LBB130_8
; %bb.41:
	v_add_co_u32 v18, vcc_lo, s2, v12
	v_add_co_ci_u32_e64 v19, null, s3, v13, vcc_lo
	s_clause 0x1
	global_load_dwordx4 v[10:13], v[18:19], off
	global_load_dwordx4 v[14:17], v[18:19], off offset:16
	s_waitcnt vmcnt(1)
	v_fmac_f32_e32 v4, v8, v10
	v_fmac_f32_e32 v5, v9, v10
	;; [unrolled: 1-line block ×4, first 2 shown]
	s_waitcnt vmcnt(0)
	v_fmac_f32_e32 v0, v8, v14
	v_fmac_f32_e32 v1, v9, v14
	;; [unrolled: 1-line block ×4, first 2 shown]
	v_fma_f32 v4, -v9, v11, v4
	v_fmac_f32_e32 v5, v8, v11
	v_fma_f32 v6, -v9, v13, v6
	v_fmac_f32_e32 v7, v8, v13
	;; [unrolled: 2-line block ×4, first 2 shown]
	global_store_dwordx4 v[18:19], v[4:7], off
	global_store_dwordx4 v[18:19], v[0:3], off offset:16
	s_endpgm
	.section	.rodata,"a",@progbits
	.p2align	6, 0x0
	.amdhsa_kernel _ZN9rocsparseL18bsrxmvn_4x4_kernelILj128ELj4E21rocsparse_complex_numIfEllfS2_S2_EEvT3_20rocsparse_direction_NS_24const_host_device_scalarIT1_EES3_PKS3_PKT2_SC_S9_PKT4_PKT5_S7_PT6_21rocsparse_index_base_b
		.amdhsa_group_segment_fixed_size 0
		.amdhsa_private_segment_fixed_size 0
		.amdhsa_kernarg_size 104
		.amdhsa_user_sgpr_count 6
		.amdhsa_user_sgpr_private_segment_buffer 1
		.amdhsa_user_sgpr_dispatch_ptr 0
		.amdhsa_user_sgpr_queue_ptr 0
		.amdhsa_user_sgpr_kernarg_segment_ptr 1
		.amdhsa_user_sgpr_dispatch_id 0
		.amdhsa_user_sgpr_flat_scratch_init 0
		.amdhsa_user_sgpr_private_segment_size 0
		.amdhsa_wavefront_size32 1
		.amdhsa_uses_dynamic_stack 0
		.amdhsa_system_sgpr_private_segment_wavefront_offset 0
		.amdhsa_system_sgpr_workgroup_id_x 1
		.amdhsa_system_sgpr_workgroup_id_y 0
		.amdhsa_system_sgpr_workgroup_id_z 0
		.amdhsa_system_sgpr_workgroup_info 0
		.amdhsa_system_vgpr_workitem_id 0
		.amdhsa_next_free_vgpr 122
		.amdhsa_next_free_sgpr 16
		.amdhsa_reserve_vcc 1
		.amdhsa_reserve_flat_scratch 0
		.amdhsa_float_round_mode_32 0
		.amdhsa_float_round_mode_16_64 0
		.amdhsa_float_denorm_mode_32 3
		.amdhsa_float_denorm_mode_16_64 3
		.amdhsa_dx10_clamp 1
		.amdhsa_ieee_mode 1
		.amdhsa_fp16_overflow 0
		.amdhsa_workgroup_processor_mode 1
		.amdhsa_memory_ordered 1
		.amdhsa_forward_progress 1
		.amdhsa_shared_vgpr_count 0
		.amdhsa_exception_fp_ieee_invalid_op 0
		.amdhsa_exception_fp_denorm_src 0
		.amdhsa_exception_fp_ieee_div_zero 0
		.amdhsa_exception_fp_ieee_overflow 0
		.amdhsa_exception_fp_ieee_underflow 0
		.amdhsa_exception_fp_ieee_inexact 0
		.amdhsa_exception_int_div_zero 0
	.end_amdhsa_kernel
	.section	.text._ZN9rocsparseL18bsrxmvn_4x4_kernelILj128ELj4E21rocsparse_complex_numIfEllfS2_S2_EEvT3_20rocsparse_direction_NS_24const_host_device_scalarIT1_EES3_PKS3_PKT2_SC_S9_PKT4_PKT5_S7_PT6_21rocsparse_index_base_b,"axG",@progbits,_ZN9rocsparseL18bsrxmvn_4x4_kernelILj128ELj4E21rocsparse_complex_numIfEllfS2_S2_EEvT3_20rocsparse_direction_NS_24const_host_device_scalarIT1_EES3_PKS3_PKT2_SC_S9_PKT4_PKT5_S7_PT6_21rocsparse_index_base_b,comdat
.Lfunc_end130:
	.size	_ZN9rocsparseL18bsrxmvn_4x4_kernelILj128ELj4E21rocsparse_complex_numIfEllfS2_S2_EEvT3_20rocsparse_direction_NS_24const_host_device_scalarIT1_EES3_PKS3_PKT2_SC_S9_PKT4_PKT5_S7_PT6_21rocsparse_index_base_b, .Lfunc_end130-_ZN9rocsparseL18bsrxmvn_4x4_kernelILj128ELj4E21rocsparse_complex_numIfEllfS2_S2_EEvT3_20rocsparse_direction_NS_24const_host_device_scalarIT1_EES3_PKS3_PKT2_SC_S9_PKT4_PKT5_S7_PT6_21rocsparse_index_base_b
                                        ; -- End function
	.set _ZN9rocsparseL18bsrxmvn_4x4_kernelILj128ELj4E21rocsparse_complex_numIfEllfS2_S2_EEvT3_20rocsparse_direction_NS_24const_host_device_scalarIT1_EES3_PKS3_PKT2_SC_S9_PKT4_PKT5_S7_PT6_21rocsparse_index_base_b.num_vgpr, 122
	.set _ZN9rocsparseL18bsrxmvn_4x4_kernelILj128ELj4E21rocsparse_complex_numIfEllfS2_S2_EEvT3_20rocsparse_direction_NS_24const_host_device_scalarIT1_EES3_PKS3_PKT2_SC_S9_PKT4_PKT5_S7_PT6_21rocsparse_index_base_b.num_agpr, 0
	.set _ZN9rocsparseL18bsrxmvn_4x4_kernelILj128ELj4E21rocsparse_complex_numIfEllfS2_S2_EEvT3_20rocsparse_direction_NS_24const_host_device_scalarIT1_EES3_PKS3_PKT2_SC_S9_PKT4_PKT5_S7_PT6_21rocsparse_index_base_b.numbered_sgpr, 16
	.set _ZN9rocsparseL18bsrxmvn_4x4_kernelILj128ELj4E21rocsparse_complex_numIfEllfS2_S2_EEvT3_20rocsparse_direction_NS_24const_host_device_scalarIT1_EES3_PKS3_PKT2_SC_S9_PKT4_PKT5_S7_PT6_21rocsparse_index_base_b.num_named_barrier, 0
	.set _ZN9rocsparseL18bsrxmvn_4x4_kernelILj128ELj4E21rocsparse_complex_numIfEllfS2_S2_EEvT3_20rocsparse_direction_NS_24const_host_device_scalarIT1_EES3_PKS3_PKT2_SC_S9_PKT4_PKT5_S7_PT6_21rocsparse_index_base_b.private_seg_size, 0
	.set _ZN9rocsparseL18bsrxmvn_4x4_kernelILj128ELj4E21rocsparse_complex_numIfEllfS2_S2_EEvT3_20rocsparse_direction_NS_24const_host_device_scalarIT1_EES3_PKS3_PKT2_SC_S9_PKT4_PKT5_S7_PT6_21rocsparse_index_base_b.uses_vcc, 1
	.set _ZN9rocsparseL18bsrxmvn_4x4_kernelILj128ELj4E21rocsparse_complex_numIfEllfS2_S2_EEvT3_20rocsparse_direction_NS_24const_host_device_scalarIT1_EES3_PKS3_PKT2_SC_S9_PKT4_PKT5_S7_PT6_21rocsparse_index_base_b.uses_flat_scratch, 0
	.set _ZN9rocsparseL18bsrxmvn_4x4_kernelILj128ELj4E21rocsparse_complex_numIfEllfS2_S2_EEvT3_20rocsparse_direction_NS_24const_host_device_scalarIT1_EES3_PKS3_PKT2_SC_S9_PKT4_PKT5_S7_PT6_21rocsparse_index_base_b.has_dyn_sized_stack, 0
	.set _ZN9rocsparseL18bsrxmvn_4x4_kernelILj128ELj4E21rocsparse_complex_numIfEllfS2_S2_EEvT3_20rocsparse_direction_NS_24const_host_device_scalarIT1_EES3_PKS3_PKT2_SC_S9_PKT4_PKT5_S7_PT6_21rocsparse_index_base_b.has_recursion, 0
	.set _ZN9rocsparseL18bsrxmvn_4x4_kernelILj128ELj4E21rocsparse_complex_numIfEllfS2_S2_EEvT3_20rocsparse_direction_NS_24const_host_device_scalarIT1_EES3_PKS3_PKT2_SC_S9_PKT4_PKT5_S7_PT6_21rocsparse_index_base_b.has_indirect_call, 0
	.section	.AMDGPU.csdata,"",@progbits
; Kernel info:
; codeLenInByte = 6608
; TotalNumSgprs: 18
; NumVgprs: 122
; ScratchSize: 0
; MemoryBound: 0
; FloatMode: 240
; IeeeMode: 1
; LDSByteSize: 0 bytes/workgroup (compile time only)
; SGPRBlocks: 0
; VGPRBlocks: 15
; NumSGPRsForWavesPerEU: 18
; NumVGPRsForWavesPerEU: 122
; Occupancy: 8
; WaveLimiterHint : 1
; COMPUTE_PGM_RSRC2:SCRATCH_EN: 0
; COMPUTE_PGM_RSRC2:USER_SGPR: 6
; COMPUTE_PGM_RSRC2:TRAP_HANDLER: 0
; COMPUTE_PGM_RSRC2:TGID_X_EN: 1
; COMPUTE_PGM_RSRC2:TGID_Y_EN: 0
; COMPUTE_PGM_RSRC2:TGID_Z_EN: 0
; COMPUTE_PGM_RSRC2:TIDIG_COMP_CNT: 0
	.section	.text._ZN9rocsparseL18bsrxmvn_4x4_kernelILj128ELj8E21rocsparse_complex_numIfEllfS2_S2_EEvT3_20rocsparse_direction_NS_24const_host_device_scalarIT1_EES3_PKS3_PKT2_SC_S9_PKT4_PKT5_S7_PT6_21rocsparse_index_base_b,"axG",@progbits,_ZN9rocsparseL18bsrxmvn_4x4_kernelILj128ELj8E21rocsparse_complex_numIfEllfS2_S2_EEvT3_20rocsparse_direction_NS_24const_host_device_scalarIT1_EES3_PKS3_PKT2_SC_S9_PKT4_PKT5_S7_PT6_21rocsparse_index_base_b,comdat
	.globl	_ZN9rocsparseL18bsrxmvn_4x4_kernelILj128ELj8E21rocsparse_complex_numIfEllfS2_S2_EEvT3_20rocsparse_direction_NS_24const_host_device_scalarIT1_EES3_PKS3_PKT2_SC_S9_PKT4_PKT5_S7_PT6_21rocsparse_index_base_b ; -- Begin function _ZN9rocsparseL18bsrxmvn_4x4_kernelILj128ELj8E21rocsparse_complex_numIfEllfS2_S2_EEvT3_20rocsparse_direction_NS_24const_host_device_scalarIT1_EES3_PKS3_PKT2_SC_S9_PKT4_PKT5_S7_PT6_21rocsparse_index_base_b
	.p2align	8
	.type	_ZN9rocsparseL18bsrxmvn_4x4_kernelILj128ELj8E21rocsparse_complex_numIfEllfS2_S2_EEvT3_20rocsparse_direction_NS_24const_host_device_scalarIT1_EES3_PKS3_PKT2_SC_S9_PKT4_PKT5_S7_PT6_21rocsparse_index_base_b,@function
_ZN9rocsparseL18bsrxmvn_4x4_kernelILj128ELj8E21rocsparse_complex_numIfEllfS2_S2_EEvT3_20rocsparse_direction_NS_24const_host_device_scalarIT1_EES3_PKS3_PKT2_SC_S9_PKT4_PKT5_S7_PT6_21rocsparse_index_base_b: ; @_ZN9rocsparseL18bsrxmvn_4x4_kernelILj128ELj8E21rocsparse_complex_numIfEllfS2_S2_EEvT3_20rocsparse_direction_NS_24const_host_device_scalarIT1_EES3_PKS3_PKT2_SC_S9_PKT4_PKT5_S7_PT6_21rocsparse_index_base_b
; %bb.0:
	s_clause 0x2
	s_load_dwordx2 s[8:9], s[4:5], 0x60
	s_load_dwordx4 s[0:3], s[4:5], 0x10
	s_load_dwordx2 s[10:11], s[4:5], 0x50
	s_add_u32 s7, s4, 16
	s_addc_u32 s12, s5, 0
	s_add_u32 s13, s4, 0x50
	s_addc_u32 s14, s5, 0
	s_waitcnt lgkmcnt(0)
	s_bitcmp1_b32 s9, 0
	s_cselect_b32 s0, s7, s0
	s_cselect_b32 s1, s12, s1
	v_mov_b32_e32 v1, s0
	v_mov_b32_e32 v2, s1
	s_cselect_b32 s0, s13, s10
	s_cselect_b32 s1, s14, s11
	flat_load_dwordx2 v[10:11], v[1:2]
	v_mov_b32_e32 v1, s0
	v_mov_b32_e32 v2, s1
	flat_load_dwordx2 v[8:9], v[1:2]
	s_waitcnt vmcnt(1) lgkmcnt(1)
	v_cmp_eq_f32_e32 vcc_lo, 0, v10
	v_cmp_eq_f32_e64 s0, 0, v11
	s_and_b32 s7, vcc_lo, s0
	s_mov_b32 s0, -1
	s_and_saveexec_b32 s1, s7
	s_cbranch_execz .LBB131_2
; %bb.1:
	s_waitcnt vmcnt(0) lgkmcnt(0)
	v_cmp_neq_f32_e32 vcc_lo, 1.0, v8
	v_cmp_neq_f32_e64 s0, 0, v9
	s_or_b32 s0, vcc_lo, s0
	s_orn2_b32 s0, s0, exec_lo
.LBB131_2:
	s_or_b32 exec_lo, exec_lo, s1
	s_and_saveexec_b32 s1, s0
	s_cbranch_execz .LBB131_8
; %bb.3:
	s_load_dwordx2 s[0:1], s[4:5], 0x20
	v_lshrrev_b32_e32 v1, 3, v0
	v_mov_b32_e32 v2, 0
	v_lshl_or_b32 v1, s6, 4, v1
	s_waitcnt lgkmcnt(0)
	s_cmp_lg_u64 s[0:1], 0
	s_cbranch_scc0 .LBB131_9
; %bb.4:
	v_cmp_gt_i64_e32 vcc_lo, s[2:3], v[1:2]
	s_mov_b32 s3, 0
	s_mov_b32 s2, 0
                                        ; implicit-def: $vgpr12_vgpr13
                                        ; implicit-def: $vgpr14_vgpr15
	s_and_saveexec_b32 s6, vcc_lo
	s_xor_b32 s6, exec_lo, s6
	s_cbranch_execz .LBB131_6
; %bb.5:
	v_lshlrev_b64 v[3:4], 3, v[1:2]
	s_mov_b32 s9, 0
	s_mov_b32 s2, exec_lo
	v_mov_b32_e32 v15, s9
	v_mov_b32_e32 v14, s8
	v_add_co_u32 v3, vcc_lo, s0, v3
	v_add_co_ci_u32_e64 v4, null, s1, v4, vcc_lo
	global_load_dwordx2 v[3:4], v[3:4], off
	s_waitcnt vmcnt(0)
	v_sub_co_u32 v12, vcc_lo, v3, s8
	v_subrev_co_ci_u32_e64 v13, null, 0, v4, vcc_lo
.LBB131_6:
	s_or_b32 exec_lo, exec_lo, s6
	s_and_b32 vcc_lo, exec_lo, s3
	s_cbranch_vccnz .LBB131_10
.LBB131_7:
	s_and_b32 exec_lo, exec_lo, s2
	s_cbranch_execnz .LBB131_13
.LBB131_8:
	s_endpgm
.LBB131_9:
	s_mov_b32 s2, 0
                                        ; implicit-def: $vgpr12_vgpr13
                                        ; implicit-def: $vgpr14_vgpr15
	s_cbranch_execz .LBB131_7
.LBB131_10:
	s_load_dwordx2 s[0:1], s[4:5], 0x0
	s_waitcnt lgkmcnt(0)
	v_cmp_gt_i64_e32 vcc_lo, s[0:1], v[1:2]
	s_and_saveexec_b32 s0, vcc_lo
; %bb.11:
	s_mov_b32 s9, 0
	s_or_b32 s2, s2, exec_lo
; %bb.12:
	s_or_b32 exec_lo, exec_lo, s0
	v_mov_b32_e32 v15, s9
	v_mov_b32_e32 v13, v2
	;; [unrolled: 1-line block ×4, first 2 shown]
	s_and_b32 exec_lo, exec_lo, s2
	s_cbranch_execz .LBB131_8
.LBB131_13:
	s_load_dwordx8 s[8:15], s[4:5], 0x28
	v_lshlrev_b64 v[1:2], 3, v[12:13]
	v_and_b32_e32 v34, 7, v0
	s_clause 0x1
	s_load_dword s1, s[4:5], 0x8
	s_load_dwordx2 s[2:3], s[4:5], 0x48
	v_mov_b32_e32 v35, 0
	s_waitcnt lgkmcnt(0)
	v_add_co_u32 v3, vcc_lo, s8, v1
	v_add_co_ci_u32_e64 v4, null, s9, v2, vcc_lo
	v_add_co_u32 v1, vcc_lo, s10, v1
	v_add_co_ci_u32_e64 v2, null, s11, v2, vcc_lo
	v_add_co_u32 v5, vcc_lo, v3, 8
	global_load_dwordx2 v[24:25], v[3:4], off
	v_add_co_ci_u32_e64 v6, null, 0, v4, vcc_lo
	s_cmp_eq_u64 s[10:11], 0
	s_cselect_b32 vcc_lo, -1, 0
	s_cmp_eq_u32 s1, 1
	v_cndmask_b32_e32 v2, v2, v6, vcc_lo
	v_cndmask_b32_e32 v1, v1, v5, vcc_lo
	global_load_dwordx2 v[1:2], v[1:2], off
	s_waitcnt vmcnt(1)
	v_sub_co_u32 v0, vcc_lo, v24, v14
	v_sub_co_ci_u32_e64 v3, null, v25, v15, vcc_lo
	v_add_co_u32 v16, vcc_lo, v0, v34
	v_add_co_ci_u32_e64 v17, null, 0, v3, vcc_lo
	s_waitcnt vmcnt(0)
	v_sub_co_u32 v18, vcc_lo, v1, v14
	v_lshlrev_b64 v[0:1], 6, v[16:17]
	v_sub_co_ci_u32_e64 v19, null, v2, v15, vcc_lo
	v_add_co_u32 v20, vcc_lo, s14, v0
	v_cmp_lt_i64_e64 s0, v[16:17], v[18:19]
	v_add_co_ci_u32_e64 v21, null, s15, v1, vcc_lo
	s_cbranch_scc1 .LBB131_25
; %bb.14:
	v_mov_b32_e32 v36, 0
	v_mov_b32_e32 v37, 0
	;; [unrolled: 1-line block ×7, first 2 shown]
	s_and_saveexec_b32 s6, s0
	s_cbranch_execz .LBB131_24
; %bb.15:
	v_or_b32_e32 v0, 8, v34
	v_not_b32_e32 v3, v24
	v_sub_co_u32 v4, s1, v14, v34
	v_not_b32_e32 v2, v25
	v_sub_co_u32 v0, vcc_lo, v0, v14
	v_sub_co_ci_u32_e64 v1, null, 0, v15, vcc_lo
	v_subrev_co_ci_u32_e64 v5, null, 0, v15, s1
	v_add_co_u32 v0, vcc_lo, v0, v24
	v_add_co_ci_u32_e64 v1, null, v1, v25, vcc_lo
	v_mov_b32_e32 v23, 0
	v_mov_b32_e32 v27, v21
	;; [unrolled: 1-line block ×3, first 2 shown]
	v_cmp_gt_i64_e32 vcc_lo, v[0:1], v[18:19]
	v_mov_b32_e32 v26, v20
	v_mov_b32_e32 v40, v23
	;; [unrolled: 1-line block ×5, first 2 shown]
	v_cndmask_b32_e32 v1, v19, v1, vcc_lo
	v_cndmask_b32_e32 v0, v18, v0, vcc_lo
	v_add_co_u32 v3, vcc_lo, v4, v3
	v_add_co_ci_u32_e64 v2, null, v5, v2, vcc_lo
	v_mov_b32_e32 v37, v23
	v_add_co_u32 v0, vcc_lo, v3, v0
	v_add_co_ci_u32_e64 v1, null, v2, v1, vcc_lo
	v_mov_b32_e32 v36, v23
	v_and_b32_e32 v22, 24, v0
	v_mov_b32_e32 v35, v23
	v_mov_b32_e32 v28, v16
	s_mov_b32 s1, exec_lo
	v_cmpx_ne_u64_e32 24, v[22:23]
	s_cbranch_execz .LBB131_19
; %bb.16:
	v_lshrrev_b32_e32 v2, 3, v0
	v_mov_b32_e32 v29, v17
	v_mov_b32_e32 v27, v21
	;; [unrolled: 1-line block ×4, first 2 shown]
	v_add_nc_u32_e32 v4, 1, v2
	v_lshlrev_b64 v[2:3], 3, v[16:17]
	v_mov_b32_e32 v26, v20
	v_mov_b32_e32 v36, 0
	;; [unrolled: 1-line block ×3, first 2 shown]
	v_and_b32_e32 v4, 3, v4
	v_mov_b32_e32 v38, 0
	v_add_co_u32 v2, vcc_lo, s12, v2
	v_add_co_ci_u32_e64 v3, null, s13, v3, vcc_lo
	v_sub_co_u32 v4, s7, 0, v4
	v_sub_co_ci_u32_e64 v5, null, 0, 0, s7
	v_mov_b32_e32 v39, 0
	v_mov_b32_e32 v41, 0
	;; [unrolled: 1-line block ×4, first 2 shown]
	s_mov_b32 s7, 0
.LBB131_17:                             ; =>This Inner Loop Header: Depth=1
	global_load_dwordx2 v[6:7], v[2:3], off
	s_clause 0x3
	global_load_dwordx4 v[30:33], v[26:27], off offset:48
	global_load_dwordx4 v[42:45], v[26:27], off offset:32
	;; [unrolled: 1-line block ×3, first 2 shown]
	global_load_dwordx4 v[50:53], v[26:27], off
	s_waitcnt vmcnt(4)
	v_sub_co_u32 v6, vcc_lo, v6, v14
	v_sub_co_ci_u32_e64 v7, null, v7, v15, vcc_lo
	v_lshlrev_b64 v[6:7], 5, v[6:7]
	v_add_co_u32 v6, vcc_lo, s2, v6
	v_add_co_ci_u32_e64 v7, null, s3, v7, vcc_lo
	v_add_co_u32 v26, vcc_lo, 0x200, v26
	v_add_co_ci_u32_e64 v27, null, 0, v27, vcc_lo
	s_clause 0x1
	global_load_dwordx4 v[54:57], v[6:7], off
	global_load_dwordx4 v[58:61], v[6:7], off offset:16
	v_add_co_u32 v28, vcc_lo, v28, 8
	v_add_co_ci_u32_e64 v29, null, 0, v29, vcc_lo
	v_add_co_u32 v4, vcc_lo, v4, 1
	v_add_co_ci_u32_e64 v5, null, 0, v5, vcc_lo
	;; [unrolled: 2-line block ×3, first 2 shown]
	v_cmp_eq_u64_e32 vcc_lo, 0, v[4:5]
	s_or_b32 s7, vcc_lo, s7
	s_waitcnt vmcnt(1)
	v_fmac_f32_e32 v36, v50, v54
	v_fmac_f32_e32 v35, 0, v54
	;; [unrolled: 1-line block ×32, first 2 shown]
	s_waitcnt vmcnt(0)
	v_fmac_f32_e32 v36, v52, v58
	v_fmac_f32_e32 v35, 0, v58
	;; [unrolled: 1-line block ×32, first 2 shown]
	s_andn2_b32 exec_lo, exec_lo, s7
	s_cbranch_execnz .LBB131_17
; %bb.18:
	s_or_b32 exec_lo, exec_lo, s7
.LBB131_19:
	s_or_b32 exec_lo, exec_lo, s1
	s_mov_b32 s1, exec_lo
	v_cmpx_lt_u64_e32 23, v[0:1]
	s_cbranch_execz .LBB131_23
; %bb.20:
	v_lshlrev_b64 v[0:1], 3, v[28:29]
	s_mov_b32 s7, 0
	v_add_co_u32 v0, vcc_lo, s12, v0
	v_add_co_ci_u32_e64 v1, null, s13, v1, vcc_lo
	v_add_co_u32 v30, vcc_lo, 0x80, v0
	v_add_co_ci_u32_e64 v31, null, 0, v1, vcc_lo
.LBB131_21:                             ; =>This Inner Loop Header: Depth=1
	s_clause 0x3
	global_load_dwordx2 v[32:33], v[30:31], off offset:-128
	global_load_dwordx2 v[98:99], v[30:31], off offset:-64
	global_load_dwordx2 v[100:101], v[30:31], off
	global_load_dwordx2 v[102:103], v[30:31], off offset:64
	s_clause 0xf
	global_load_dwordx4 v[42:45], v[26:27], off offset:48
	global_load_dwordx4 v[46:49], v[26:27], off offset:32
	;; [unrolled: 1-line block ×3, first 2 shown]
	global_load_dwordx4 v[54:57], v[26:27], off
	global_load_dwordx4 v[58:61], v[26:27], off offset:560
	global_load_dwordx4 v[62:65], v[26:27], off offset:544
	;; [unrolled: 1-line block ×12, first 2 shown]
	s_waitcnt vmcnt(19)
	v_sub_co_u32 v32, vcc_lo, v32, v14
	v_sub_co_ci_u32_e64 v33, null, v33, v15, vcc_lo
	s_waitcnt vmcnt(18)
	v_sub_co_u32 v98, vcc_lo, v98, v14
	v_sub_co_ci_u32_e64 v99, null, v99, v15, vcc_lo
	s_waitcnt vmcnt(17)
	v_sub_co_u32 v100, vcc_lo, v100, v14
	v_sub_co_ci_u32_e64 v101, null, v101, v15, vcc_lo
	s_waitcnt vmcnt(16)
	v_sub_co_u32 v102, vcc_lo, v102, v14
	v_lshlrev_b64 v[32:33], 5, v[32:33]
	v_sub_co_ci_u32_e64 v103, null, v103, v15, vcc_lo
	v_lshlrev_b64 v[98:99], 5, v[98:99]
	v_lshlrev_b64 v[100:101], 5, v[100:101]
	;; [unrolled: 1-line block ×3, first 2 shown]
	v_add_co_u32 v32, vcc_lo, s2, v32
	v_add_co_ci_u32_e64 v33, null, s3, v33, vcc_lo
	v_add_co_u32 v110, vcc_lo, s2, v98
	v_add_co_ci_u32_e64 v111, null, s3, v99, vcc_lo
	;; [unrolled: 2-line block ×4, first 2 shown]
	s_clause 0x4
	global_load_dwordx4 v[98:101], v[32:33], off
	global_load_dwordx4 v[102:105], v[32:33], off offset:16
	global_load_dwordx4 v[106:109], v[110:111], off
	global_load_dwordx4 v[110:113], v[110:111], off offset:16
	global_load_dwordx4 v[114:117], v[118:119], off
	v_add_co_u32 v28, vcc_lo, v28, 32
	v_add_co_ci_u32_e64 v29, null, 0, v29, vcc_lo
	v_add_co_u32 v26, vcc_lo, 0x800, v26
	v_add_co_ci_u32_e64 v27, null, 0, v27, vcc_lo
	v_add_co_u32 v30, vcc_lo, 0x100, v30
	v_add_co_ci_u32_e64 v31, null, 0, v31, vcc_lo
	v_cmp_ge_i64_e32 vcc_lo, v[28:29], v[18:19]
	s_or_b32 s7, vcc_lo, s7
	s_waitcnt vmcnt(4)
	v_fmac_f32_e32 v36, v54, v98
	v_fmac_f32_e32 v35, 0, v98
	;; [unrolled: 1-line block ×32, first 2 shown]
	global_load_dwordx4 v[98:101], v[118:119], off offset:16
	s_waitcnt vmcnt(4)
	v_fmac_f32_e32 v35, 0, v102
	v_fmac_f32_e32 v36, v56, v102
	;; [unrolled: 1-line block ×16, first 2 shown]
	s_clause 0x1
	global_load_dwordx4 v[54:57], v[120:121], off
	global_load_dwordx4 v[118:121], v[120:121], off offset:16
	v_fmac_f32_e32 v41, 0x80000000, v103
	v_fmac_f32_e32 v40, v44, v103
	v_fmac_f32_e32 v23, 0x80000000, v103
	v_fmac_f32_e32 v37, 0, v104
	v_fmac_f32_e32 v38, v53, v104
	v_fmac_f32_e32 v39, 0, v104
	v_fmac_f32_e32 v41, v49, v104
	v_fmac_f32_e32 v40, 0, v104
	v_fmac_f32_e32 v23, v45, v104
	v_fmac_f32_e32 v37, v53, v105
	v_fmac_f32_e32 v39, v49, v105
	v_fmac_f32_e32 v36, 0x80000000, v105
	v_fmac_f32_e32 v40, v45, v105
	v_fmac_f32_e32 v38, 0x80000000, v105
	v_fmac_f32_e32 v41, 0x80000000, v105
	v_fmac_f32_e32 v23, 0x80000000, v105
	s_waitcnt vmcnt(5)
	v_fmac_f32_e32 v36, v70, v106
	v_fmac_f32_e32 v35, 0, v106
	v_fmac_f32_e32 v38, v66, v106
	v_fmac_f32_e32 v37, 0, v106
	v_fmac_f32_e32 v41, v62, v106
	v_fmac_f32_e32 v39, 0, v106
	v_fmac_f32_e32 v23, v58, v106
	v_fmac_f32_e32 v40, 0, v106
	v_fmac_f32_e32 v36, 0x80000000, v107
	v_fmac_f32_e32 v35, v70, v107
	v_fmac_f32_e32 v38, 0x80000000, v107
	v_fmac_f32_e32 v37, v66, v107
	v_fmac_f32_e32 v41, 0x80000000, v107
	v_fmac_f32_e32 v39, v62, v107
	v_fmac_f32_e32 v23, 0x80000000, v107
	v_fmac_f32_e32 v40, v58, v107
	v_fmac_f32_e32 v36, v71, v108
	v_fmac_f32_e32 v35, 0, v108
	v_fmac_f32_e32 v38, v67, v108
	v_fmac_f32_e32 v37, 0, v108
	v_fmac_f32_e32 v41, v63, v108
	v_fmac_f32_e32 v39, 0, v108
	v_fmac_f32_e32 v23, v59, v108
	v_fmac_f32_e32 v40, 0, v108
	v_fmac_f32_e32 v36, 0x80000000, v109
	v_fmac_f32_e32 v35, v71, v109
	v_fmac_f32_e32 v38, 0x80000000, v109
	v_fmac_f32_e32 v37, v67, v109
	v_fmac_f32_e32 v41, 0x80000000, v109
	v_fmac_f32_e32 v39, v63, v109
	v_fmac_f32_e32 v23, 0x80000000, v109
	v_fmac_f32_e32 v40, v59, v109
	s_waitcnt vmcnt(4)
	v_fmac_f32_e32 v35, 0, v110
	v_fmac_f32_e32 v36, v72, v110
	v_fmac_f32_e32 v37, 0, v110
	v_fmac_f32_e32 v38, v68, v110
	v_fmac_f32_e32 v39, 0, v110
	v_fmac_f32_e32 v41, v64, v110
	v_fmac_f32_e32 v40, 0, v110
	v_fmac_f32_e32 v23, v60, v110
	v_fmac_f32_e32 v35, v72, v111
	v_fmac_f32_e32 v36, 0x80000000, v111
	v_fmac_f32_e32 v37, v68, v111
	v_fmac_f32_e32 v38, 0x80000000, v111
	v_fmac_f32_e32 v39, v64, v111
	v_fmac_f32_e32 v41, 0x80000000, v111
	v_fmac_f32_e32 v40, v60, v111
	v_fmac_f32_e32 v23, 0x80000000, v111
	v_fmac_f32_e32 v35, 0, v112
	v_fmac_f32_e32 v36, v73, v112
	v_fmac_f32_e32 v37, 0, v112
	v_fmac_f32_e32 v38, v69, v112
	v_fmac_f32_e32 v39, 0, v112
	v_fmac_f32_e32 v41, v65, v112
	v_fmac_f32_e32 v40, 0, v112
	v_fmac_f32_e32 v23, v61, v112
	v_fmac_f32_e32 v35, v73, v113
	v_fmac_f32_e32 v37, v69, v113
	v_fmac_f32_e32 v39, v65, v113
	v_fmac_f32_e32 v36, 0x80000000, v113
	v_fmac_f32_e32 v40, v61, v113
	v_fmac_f32_e32 v38, 0x80000000, v113
	v_fmac_f32_e32 v41, 0x80000000, v113
	v_fmac_f32_e32 v23, 0x80000000, v113
	s_waitcnt vmcnt(3)
	v_fmac_f32_e32 v36, v86, v114
	v_fmac_f32_e32 v35, 0, v114
	v_fmac_f32_e32 v38, v82, v114
	v_fmac_f32_e32 v37, 0, v114
	v_fmac_f32_e32 v41, v78, v114
	v_fmac_f32_e32 v39, 0, v114
	v_fmac_f32_e32 v23, v74, v114
	v_fmac_f32_e32 v40, 0, v114
	v_fmac_f32_e32 v36, 0x80000000, v115
	v_fmac_f32_e32 v35, v86, v115
	v_fmac_f32_e32 v38, 0x80000000, v115
	v_fmac_f32_e32 v37, v82, v115
	v_fmac_f32_e32 v41, 0x80000000, v115
	v_fmac_f32_e32 v39, v78, v115
	v_fmac_f32_e32 v23, 0x80000000, v115
	v_fmac_f32_e32 v40, v74, v115
	v_fmac_f32_e32 v36, v87, v116
	v_fmac_f32_e32 v35, 0, v116
	v_fmac_f32_e32 v38, v83, v116
	v_fmac_f32_e32 v37, 0, v116
	v_fmac_f32_e32 v41, v79, v116
	v_fmac_f32_e32 v39, 0, v116
	v_fmac_f32_e32 v23, v75, v116
	v_fmac_f32_e32 v40, 0, v116
	v_fmac_f32_e32 v36, 0x80000000, v117
	v_fmac_f32_e32 v35, v87, v117
	v_fmac_f32_e32 v38, 0x80000000, v117
	v_fmac_f32_e32 v37, v83, v117
	v_fmac_f32_e32 v41, 0x80000000, v117
	v_fmac_f32_e32 v39, v79, v117
	v_fmac_f32_e32 v23, 0x80000000, v117
	v_fmac_f32_e32 v40, v75, v117
	s_waitcnt vmcnt(2)
	v_fmac_f32_e32 v36, v88, v98
	v_fmac_f32_e32 v35, 0, v98
	v_fmac_f32_e32 v38, v84, v98
	v_fmac_f32_e32 v37, 0, v98
	v_fmac_f32_e32 v41, v80, v98
	v_fmac_f32_e32 v39, 0, v98
	v_fmac_f32_e32 v23, v76, v98
	v_fmac_f32_e32 v40, 0, v98
	v_fmac_f32_e32 v36, 0x80000000, v99
	v_fmac_f32_e32 v35, v88, v99
	v_fmac_f32_e32 v38, 0x80000000, v99
	v_fmac_f32_e32 v37, v84, v99
	v_fmac_f32_e32 v41, 0x80000000, v99
	v_fmac_f32_e32 v39, v80, v99
	v_fmac_f32_e32 v23, 0x80000000, v99
	v_fmac_f32_e32 v40, v76, v99
	v_fmac_f32_e32 v36, v89, v100
	v_fmac_f32_e32 v35, 0, v100
	v_fmac_f32_e32 v38, v85, v100
	v_fmac_f32_e32 v37, 0, v100
	v_fmac_f32_e32 v41, v81, v100
	v_fmac_f32_e32 v39, 0, v100
	v_fmac_f32_e32 v23, v77, v100
	v_fmac_f32_e32 v40, 0, v100
	v_fmac_f32_e32 v36, 0x80000000, v101
	v_fmac_f32_e32 v35, v89, v101
	v_fmac_f32_e32 v38, 0x80000000, v101
	v_fmac_f32_e32 v37, v85, v101
	v_fmac_f32_e32 v41, 0x80000000, v101
	v_fmac_f32_e32 v39, v81, v101
	v_fmac_f32_e32 v23, 0x80000000, v101
	v_fmac_f32_e32 v40, v77, v101
	s_waitcnt vmcnt(1)
	v_fmac_f32_e32 v36, v94, v54
	v_fmac_f32_e32 v35, 0, v54
	v_fmac_f32_e32 v38, v90, v54
	v_fmac_f32_e32 v37, 0, v54
	v_fmac_f32_e32 v41, v4, v54
	v_fmac_f32_e32 v39, 0, v54
	v_fmac_f32_e32 v23, v0, v54
	v_fmac_f32_e32 v40, 0, v54
	v_fmac_f32_e32 v36, 0x80000000, v55
	v_fmac_f32_e32 v35, v94, v55
	v_fmac_f32_e32 v38, 0x80000000, v55
	v_fmac_f32_e32 v37, v90, v55
	v_fmac_f32_e32 v41, 0x80000000, v55
	v_fmac_f32_e32 v39, v4, v55
	v_fmac_f32_e32 v23, 0x80000000, v55
	v_fmac_f32_e32 v40, v0, v55
	v_fmac_f32_e32 v36, v95, v56
	v_fmac_f32_e32 v35, 0, v56
	v_fmac_f32_e32 v38, v91, v56
	v_fmac_f32_e32 v37, 0, v56
	v_fmac_f32_e32 v41, v5, v56
	v_fmac_f32_e32 v39, 0, v56
	v_fmac_f32_e32 v23, v1, v56
	v_fmac_f32_e32 v40, 0, v56
	v_fmac_f32_e32 v36, 0x80000000, v57
	v_fmac_f32_e32 v35, v95, v57
	v_fmac_f32_e32 v38, 0x80000000, v57
	v_fmac_f32_e32 v37, v91, v57
	v_fmac_f32_e32 v41, 0x80000000, v57
	v_fmac_f32_e32 v39, v5, v57
	v_fmac_f32_e32 v23, 0x80000000, v57
	v_fmac_f32_e32 v40, v1, v57
	s_waitcnt vmcnt(0)
	v_fmac_f32_e32 v36, v96, v118
	v_fmac_f32_e32 v35, 0, v118
	v_fmac_f32_e32 v38, v92, v118
	v_fmac_f32_e32 v37, 0, v118
	v_fmac_f32_e32 v41, v6, v118
	v_fmac_f32_e32 v39, 0, v118
	v_fmac_f32_e32 v23, v2, v118
	v_fmac_f32_e32 v40, 0, v118
	v_fmac_f32_e32 v36, 0x80000000, v119
	v_fmac_f32_e32 v35, v96, v119
	v_fmac_f32_e32 v38, 0x80000000, v119
	v_fmac_f32_e32 v37, v92, v119
	v_fmac_f32_e32 v41, 0x80000000, v119
	v_fmac_f32_e32 v39, v6, v119
	v_fmac_f32_e32 v23, 0x80000000, v119
	v_fmac_f32_e32 v40, v2, v119
	v_fmac_f32_e32 v36, v97, v120
	v_fmac_f32_e32 v35, 0, v120
	;; [unrolled: 1-line block ×16, first 2 shown]
	s_andn2_b32 exec_lo, exec_lo, s7
	s_cbranch_execnz .LBB131_21
; %bb.22:
	s_or_b32 exec_lo, exec_lo, s7
.LBB131_23:
	s_or_b32 exec_lo, exec_lo, s1
.LBB131_24:
	s_or_b32 exec_lo, exec_lo, s6
	s_cbranch_execz .LBB131_26
	s_branch .LBB131_37
.LBB131_25:
                                        ; implicit-def: $vgpr35
                                        ; implicit-def: $vgpr36
                                        ; implicit-def: $vgpr37
                                        ; implicit-def: $vgpr38
                                        ; implicit-def: $vgpr39
                                        ; implicit-def: $vgpr41
                                        ; implicit-def: $vgpr40
                                        ; implicit-def: $vgpr23
.LBB131_26:
	v_mov_b32_e32 v35, 0
	v_mov_b32_e32 v36, 0
	;; [unrolled: 1-line block ×8, first 2 shown]
	s_and_saveexec_b32 s1, s0
	s_cbranch_execz .LBB131_36
; %bb.27:
	v_or_b32_e32 v0, 8, v34
	v_not_b32_e32 v3, v24
	v_not_b32_e32 v2, v25
	v_mov_b32_e32 v23, 0
	v_sub_co_u32 v0, vcc_lo, v0, v14
	v_sub_co_ci_u32_e64 v1, null, 0, v15, vcc_lo
	v_mov_b32_e32 v40, v23
	v_add_co_u32 v0, vcc_lo, v0, v24
	v_add_co_ci_u32_e64 v1, null, v1, v25, vcc_lo
	v_sub_co_u32 v4, vcc_lo, v14, v34
	v_subrev_co_ci_u32_e64 v5, null, 0, v15, vcc_lo
	v_cmp_gt_i64_e64 s0, v[0:1], v[18:19]
	v_add_co_u32 v3, vcc_lo, v4, v3
	v_add_co_ci_u32_e64 v2, null, v5, v2, vcc_lo
	v_mov_b32_e32 v41, v23
	v_cndmask_b32_e64 v0, v18, v0, s0
	v_cndmask_b32_e64 v1, v19, v1, s0
	v_mov_b32_e32 v39, v23
	v_mov_b32_e32 v38, v23
	;; [unrolled: 1-line block ×3, first 2 shown]
	v_add_co_u32 v0, vcc_lo, v3, v0
	v_add_co_ci_u32_e64 v1, null, v2, v1, vcc_lo
	v_mov_b32_e32 v36, v23
	v_and_b32_e32 v22, 24, v0
	v_mov_b32_e32 v35, v23
	s_mov_b32 s0, exec_lo
	v_cmpx_ne_u64_e32 24, v[22:23]
	s_cbranch_execz .LBB131_31
; %bb.28:
	v_lshrrev_b32_e32 v2, 3, v0
	v_mov_b32_e32 v35, 0
	v_mov_b32_e32 v36, 0
	v_mov_b32_e32 v37, 0
	v_mov_b32_e32 v38, 0
	v_add_nc_u32_e32 v4, 1, v2
	v_lshlrev_b64 v[2:3], 3, v[16:17]
	v_mov_b32_e32 v39, 0
	v_mov_b32_e32 v41, 0
	;; [unrolled: 1-line block ×3, first 2 shown]
	v_and_b32_e32 v4, 3, v4
	v_mov_b32_e32 v23, 0
	v_add_co_u32 v2, vcc_lo, s12, v2
	v_add_co_ci_u32_e64 v3, null, s13, v3, vcc_lo
	v_sub_co_u32 v4, s6, 0, v4
	v_sub_co_ci_u32_e64 v5, null, 0, 0, s6
	s_mov_b32 s6, 0
.LBB131_29:                             ; =>This Inner Loop Header: Depth=1
	global_load_dwordx2 v[6:7], v[2:3], off
	s_clause 0x1
	global_load_dwordx4 v[24:27], v[20:21], off offset:16
	global_load_dwordx4 v[28:31], v[20:21], off
	s_waitcnt vmcnt(2)
	v_sub_co_u32 v6, vcc_lo, v6, v14
	v_sub_co_ci_u32_e64 v7, null, v7, v15, vcc_lo
	v_lshlrev_b64 v[6:7], 5, v[6:7]
	v_add_co_u32 v6, vcc_lo, s2, v6
	v_add_co_ci_u32_e64 v7, null, s3, v7, vcc_lo
	s_clause 0x1
	global_load_dwordx4 v[42:45], v[6:7], off
	global_load_dwordx4 v[46:49], v[6:7], off offset:16
	s_clause 0x1
	global_load_dwordx4 v[50:53], v[20:21], off offset:32
	global_load_dwordx4 v[54:57], v[20:21], off offset:48
	v_add_co_u32 v20, vcc_lo, 0x200, v20
	v_add_co_ci_u32_e64 v21, null, 0, v21, vcc_lo
	v_add_co_u32 v16, vcc_lo, v16, 8
	v_add_co_ci_u32_e64 v17, null, 0, v17, vcc_lo
	v_add_co_u32 v4, vcc_lo, v4, 1
	v_add_co_ci_u32_e64 v5, null, 0, v5, vcc_lo
	v_add_co_u32 v2, vcc_lo, v2, 64
	v_add_co_ci_u32_e64 v3, null, 0, v3, vcc_lo
	v_cmp_eq_u64_e32 vcc_lo, 0, v[4:5]
	s_or_b32 s6, vcc_lo, s6
	s_waitcnt vmcnt(3)
	v_fmac_f32_e32 v36, v28, v42
	v_fmac_f32_e32 v35, 0, v42
	;; [unrolled: 1-line block ×32, first 2 shown]
	s_waitcnt vmcnt(1)
	v_fmac_f32_e32 v36, v50, v46
	v_fmac_f32_e32 v35, 0, v46
	;; [unrolled: 1-line block ×16, first 2 shown]
	s_waitcnt vmcnt(0)
	v_fmac_f32_e32 v36, v54, v48
	v_fmac_f32_e32 v35, 0, v48
	;; [unrolled: 1-line block ×16, first 2 shown]
	s_andn2_b32 exec_lo, exec_lo, s6
	s_cbranch_execnz .LBB131_29
; %bb.30:
	s_or_b32 exec_lo, exec_lo, s6
.LBB131_31:
	s_or_b32 exec_lo, exec_lo, s0
	s_mov_b32 s0, exec_lo
	v_cmpx_lt_u64_e32 23, v[0:1]
	s_cbranch_execz .LBB131_35
; %bb.32:
	v_lshlrev_b64 v[0:1], 3, v[16:17]
	s_mov_b32 s6, 0
	v_add_co_u32 v0, vcc_lo, s12, v0
	v_add_co_ci_u32_e64 v1, null, s13, v1, vcc_lo
	v_add_co_u32 v4, vcc_lo, 0x80, v0
	v_add_co_ci_u32_e64 v5, null, 0, v1, vcc_lo
.LBB131_33:                             ; =>This Inner Loop Header: Depth=1
	s_clause 0x3
	global_load_dwordx2 v[6:7], v[4:5], off offset:-128
	global_load_dwordx2 v[32:33], v[4:5], off offset:-64
	global_load_dwordx2 v[86:87], v[4:5], off
	global_load_dwordx2 v[88:89], v[4:5], off offset:64
	s_clause 0xd
	global_load_dwordx4 v[24:27], v[20:21], off offset:48
	global_load_dwordx4 v[28:31], v[20:21], off offset:32
	;; [unrolled: 1-line block ×3, first 2 shown]
	global_load_dwordx4 v[46:49], v[20:21], off
	global_load_dwordx4 v[50:53], v[20:21], off offset:560
	global_load_dwordx4 v[54:57], v[20:21], off offset:544
	global_load_dwordx4 v[58:61], v[20:21], off offset:528
	global_load_dwordx4 v[62:65], v[20:21], off offset:512
	global_load_dwordx4 v[0:3], v[20:21], off offset:1072
	global_load_dwordx4 v[66:69], v[20:21], off offset:1056
	global_load_dwordx4 v[70:73], v[20:21], off offset:1040
	global_load_dwordx4 v[74:77], v[20:21], off offset:1024
	global_load_dwordx4 v[78:81], v[20:21], off offset:1552
	global_load_dwordx4 v[82:85], v[20:21], off offset:1536
	s_waitcnt vmcnt(17)
	v_sub_co_u32 v6, vcc_lo, v6, v14
	v_sub_co_ci_u32_e64 v7, null, v7, v15, vcc_lo
	s_waitcnt vmcnt(16)
	v_sub_co_u32 v32, vcc_lo, v32, v14
	v_sub_co_ci_u32_e64 v33, null, v33, v15, vcc_lo
	;; [unrolled: 3-line block ×3, first 2 shown]
	s_waitcnt vmcnt(14)
	v_sub_co_u32 v88, vcc_lo, v88, v14
	v_lshlrev_b64 v[6:7], 5, v[6:7]
	v_sub_co_ci_u32_e64 v89, null, v89, v15, vcc_lo
	v_lshlrev_b64 v[32:33], 5, v[32:33]
	v_lshlrev_b64 v[86:87], 5, v[86:87]
	;; [unrolled: 1-line block ×3, first 2 shown]
	v_add_co_u32 v6, vcc_lo, s2, v6
	v_add_co_ci_u32_e64 v7, null, s3, v7, vcc_lo
	v_add_co_u32 v32, vcc_lo, s2, v32
	v_add_co_ci_u32_e64 v33, null, s3, v33, vcc_lo
	;; [unrolled: 2-line block ×4, first 2 shown]
	s_clause 0x1
	global_load_dwordx4 v[86:89], v[6:7], off
	global_load_dwordx4 v[90:93], v[6:7], off offset:16
	s_waitcnt vmcnt(1)
	v_fmac_f32_e32 v35, 0, v86
	v_fmac_f32_e32 v37, 0, v86
	v_fmac_f32_e32 v39, 0, v86
	v_fmac_f32_e32 v40, 0, v86
	v_fmac_f32_e32 v36, v46, v86
	v_fmac_f32_e32 v38, v47, v86
	v_fmac_f32_e32 v41, v48, v86
	v_fmac_f32_e32 v23, v49, v86
	v_fmac_f32_e32 v35, v46, v87
	v_fmac_f32_e32 v37, v47, v87
	v_fmac_f32_e32 v39, v48, v87
	v_fmac_f32_e32 v40, v49, v87
	s_clause 0x1
	global_load_dwordx4 v[46:49], v[32:33], off
	global_load_dwordx4 v[94:97], v[32:33], off offset:16
	v_fmac_f32_e32 v36, 0x80000000, v87
	v_fmac_f32_e32 v38, 0x80000000, v87
	;; [unrolled: 1-line block ×16, first 2 shown]
	global_load_dwordx4 v[42:45], v[98:99], off
	v_fmac_f32_e32 v36, 0x80000000, v89
	v_fmac_f32_e32 v38, 0x80000000, v89
	;; [unrolled: 1-line block ×4, first 2 shown]
	global_load_dwordx4 v[86:89], v[98:99], off offset:16
	s_waitcnt vmcnt(4)
	v_fmac_f32_e32 v35, 0, v90
	v_fmac_f32_e32 v37, 0, v90
	;; [unrolled: 1-line block ×12, first 2 shown]
	global_load_dwordx4 v[28:31], v[100:101], off
	v_fmac_f32_e32 v36, 0x80000000, v91
	v_fmac_f32_e32 v38, 0x80000000, v91
	;; [unrolled: 1-line block ×16, first 2 shown]
	global_load_dwordx4 v[24:27], v[20:21], off offset:1568
	global_load_dwordx4 v[98:101], v[100:101], off offset:16
	v_fmac_f32_e32 v36, 0x80000000, v93
	v_fmac_f32_e32 v38, 0x80000000, v93
	;; [unrolled: 1-line block ×4, first 2 shown]
	global_load_dwordx4 v[90:93], v[20:21], off offset:1584
	v_add_co_u32 v20, vcc_lo, 0x800, v20
	v_add_co_ci_u32_e64 v21, null, 0, v21, vcc_lo
	v_add_co_u32 v16, vcc_lo, v16, 32
	v_add_co_ci_u32_e64 v17, null, 0, v17, vcc_lo
	;; [unrolled: 2-line block ×3, first 2 shown]
	v_cmp_ge_i64_e32 vcc_lo, v[16:17], v[18:19]
	s_or_b32 s6, vcc_lo, s6
	s_waitcnt vmcnt(7)
	v_fmac_f32_e32 v36, v62, v46
	v_fmac_f32_e32 v35, 0, v46
	v_fmac_f32_e32 v38, v63, v46
	v_fmac_f32_e32 v37, 0, v46
	v_fmac_f32_e32 v41, v64, v46
	v_fmac_f32_e32 v39, 0, v46
	v_fmac_f32_e32 v40, 0, v46
	v_fmac_f32_e32 v23, v65, v46
	v_fmac_f32_e32 v35, v62, v47
	v_fmac_f32_e32 v37, v63, v47
	v_fmac_f32_e32 v39, v64, v47
	v_fmac_f32_e32 v36, 0x80000000, v47
	v_fmac_f32_e32 v40, v65, v47
	v_fmac_f32_e32 v38, 0x80000000, v47
	v_fmac_f32_e32 v41, 0x80000000, v47
	v_fmac_f32_e32 v23, 0x80000000, v47
	v_fmac_f32_e32 v36, v58, v48
	v_fmac_f32_e32 v35, 0, v48
	v_fmac_f32_e32 v38, v59, v48
	v_fmac_f32_e32 v37, 0, v48
	v_fmac_f32_e32 v41, v60, v48
	v_fmac_f32_e32 v39, 0, v48
	v_fmac_f32_e32 v40, 0, v48
	v_fmac_f32_e32 v23, v61, v48
	v_fmac_f32_e32 v35, v58, v49
	v_fmac_f32_e32 v37, v59, v49
	v_fmac_f32_e32 v39, v60, v49
	v_fmac_f32_e32 v36, 0x80000000, v49
	v_fmac_f32_e32 v40, v61, v49
	v_fmac_f32_e32 v38, 0x80000000, v49
	v_fmac_f32_e32 v41, 0x80000000, v49
	v_fmac_f32_e32 v23, 0x80000000, v49
	s_waitcnt vmcnt(6)
	v_fmac_f32_e32 v36, v54, v94
	v_fmac_f32_e32 v35, 0, v94
	v_fmac_f32_e32 v38, v55, v94
	v_fmac_f32_e32 v37, 0, v94
	v_fmac_f32_e32 v41, v56, v94
	v_fmac_f32_e32 v39, 0, v94
	v_fmac_f32_e32 v40, 0, v94
	v_fmac_f32_e32 v23, v57, v94
	v_fmac_f32_e32 v35, v54, v95
	v_fmac_f32_e32 v37, v55, v95
	v_fmac_f32_e32 v39, v56, v95
	v_fmac_f32_e32 v36, 0x80000000, v95
	v_fmac_f32_e32 v40, v57, v95
	v_fmac_f32_e32 v38, 0x80000000, v95
	v_fmac_f32_e32 v41, 0x80000000, v95
	v_fmac_f32_e32 v23, 0x80000000, v95
	v_fmac_f32_e32 v36, v50, v96
	v_fmac_f32_e32 v35, 0, v96
	v_fmac_f32_e32 v38, v51, v96
	v_fmac_f32_e32 v37, 0, v96
	v_fmac_f32_e32 v41, v52, v96
	v_fmac_f32_e32 v39, 0, v96
	v_fmac_f32_e32 v40, 0, v96
	v_fmac_f32_e32 v23, v53, v96
	v_fmac_f32_e32 v35, v50, v97
	v_fmac_f32_e32 v37, v51, v97
	v_fmac_f32_e32 v39, v52, v97
	v_fmac_f32_e32 v36, 0x80000000, v97
	v_fmac_f32_e32 v40, v53, v97
	v_fmac_f32_e32 v38, 0x80000000, v97
	v_fmac_f32_e32 v41, 0x80000000, v97
	v_fmac_f32_e32 v23, 0x80000000, v97
	;; [unrolled: 33-line block ×5, first 2 shown]
	s_waitcnt vmcnt(1)
	v_fmac_f32_e32 v36, v24, v98
	v_fmac_f32_e32 v35, 0, v98
	v_fmac_f32_e32 v38, v25, v98
	v_fmac_f32_e32 v37, 0, v98
	v_fmac_f32_e32 v41, v26, v98
	v_fmac_f32_e32 v39, 0, v98
	v_fmac_f32_e32 v23, v27, v98
	v_fmac_f32_e32 v40, 0, v98
	v_fmac_f32_e32 v36, 0x80000000, v99
	v_fmac_f32_e32 v35, v24, v99
	v_fmac_f32_e32 v38, 0x80000000, v99
	v_fmac_f32_e32 v37, v25, v99
	v_fmac_f32_e32 v41, 0x80000000, v99
	v_fmac_f32_e32 v39, v26, v99
	v_fmac_f32_e32 v23, 0x80000000, v99
	v_fmac_f32_e32 v40, v27, v99
	s_waitcnt vmcnt(0)
	v_fmac_f32_e32 v36, v90, v100
	v_fmac_f32_e32 v35, 0, v100
	;; [unrolled: 1-line block ×16, first 2 shown]
	s_andn2_b32 exec_lo, exec_lo, s6
	s_cbranch_execnz .LBB131_33
; %bb.34:
	s_or_b32 exec_lo, exec_lo, s6
.LBB131_35:
	s_or_b32 exec_lo, exec_lo, s0
.LBB131_36:
	s_or_b32 exec_lo, exec_lo, s1
.LBB131_37:
	v_mbcnt_lo_u32_b32 v0, -1, 0
	v_xor_b32_e32 v1, 4, v0
	v_xor_b32_e32 v15, 2, v0
	v_cmp_gt_i32_e32 vcc_lo, 32, v1
	v_cndmask_b32_e32 v1, v0, v1, vcc_lo
	v_cmp_gt_i32_e32 vcc_lo, 32, v15
	v_lshlrev_b32_e32 v1, 2, v1
	v_cndmask_b32_e32 v15, v0, v15, vcc_lo
	ds_bpermute_b32 v2, v1, v36
	ds_bpermute_b32 v3, v1, v35
	;; [unrolled: 1-line block ×8, first 2 shown]
	v_lshlrev_b32_e32 v15, 2, v15
	s_waitcnt lgkmcnt(7)
	v_add_f32_e32 v2, v36, v2
	s_waitcnt lgkmcnt(6)
	v_add_f32_e32 v3, v35, v3
	;; [unrolled: 2-line block ×8, first 2 shown]
	ds_bpermute_b32 v1, v15, v2
	ds_bpermute_b32 v17, v15, v3
	;; [unrolled: 1-line block ×8, first 2 shown]
	v_xor_b32_e32 v23, 1, v0
	v_cmp_gt_i32_e32 vcc_lo, 32, v23
	v_cndmask_b32_e32 v0, v0, v23, vcc_lo
	v_cmp_eq_u32_e32 vcc_lo, 7, v34
	v_lshlrev_b32_e32 v23, 2, v0
	s_waitcnt lgkmcnt(7)
	v_add_f32_e32 v0, v2, v1
	s_waitcnt lgkmcnt(6)
	v_add_f32_e32 v1, v3, v17
	;; [unrolled: 2-line block ×8, first 2 shown]
	ds_bpermute_b32 v14, v23, v0
	ds_bpermute_b32 v15, v23, v1
	;; [unrolled: 1-line block ×8, first 2 shown]
	s_and_b32 exec_lo, exec_lo, vcc_lo
	s_cbranch_execz .LBB131_8
; %bb.38:
	s_load_dwordx2 s[2:3], s[4:5], 0x58
	s_waitcnt lgkmcnt(0)
	v_add_f32_e32 v14, v0, v14
	v_add_f32_e32 v0, v1, v15
	;; [unrolled: 1-line block ×8, first 2 shown]
	v_mul_f32_e64 v4, v0, -v11
	v_mul_f32_e32 v5, v10, v0
	v_mul_f32_e64 v6, v1, -v11
	v_mul_f32_e32 v7, v10, v1
	v_mul_f32_e64 v0, v2, -v11
	v_mul_f32_e32 v1, v10, v2
	v_mul_f32_e64 v2, v3, -v11
	v_mul_f32_e32 v3, v10, v3
	v_cmp_eq_f32_e32 vcc_lo, 0, v8
	v_cmp_eq_f32_e64 s0, 0, v9
	v_lshlrev_b64 v[12:13], 5, v[12:13]
	v_fmac_f32_e32 v4, v10, v14
	v_fmac_f32_e32 v5, v11, v14
	;; [unrolled: 1-line block ×8, first 2 shown]
	s_and_b32 s0, vcc_lo, s0
	s_and_saveexec_b32 s1, s0
	s_xor_b32 s0, exec_lo, s1
	s_cbranch_execz .LBB131_40
; %bb.39:
	v_add_co_u32 v8, vcc_lo, s2, v12
	v_add_co_ci_u32_e64 v9, null, s3, v13, vcc_lo
                                        ; implicit-def: $vgpr12_vgpr13
	global_store_dwordx4 v[8:9], v[4:7], off
	global_store_dwordx4 v[8:9], v[0:3], off offset:16
                                        ; implicit-def: $vgpr8_vgpr9
                                        ; implicit-def: $vgpr4
                                        ; implicit-def: $vgpr0
.LBB131_40:
	s_andn2_saveexec_b32 s0, s0
	s_cbranch_execz .LBB131_8
; %bb.41:
	v_add_co_u32 v18, vcc_lo, s2, v12
	v_add_co_ci_u32_e64 v19, null, s3, v13, vcc_lo
	s_clause 0x1
	global_load_dwordx4 v[10:13], v[18:19], off
	global_load_dwordx4 v[14:17], v[18:19], off offset:16
	s_waitcnt vmcnt(1)
	v_fmac_f32_e32 v4, v8, v10
	v_fmac_f32_e32 v5, v9, v10
	;; [unrolled: 1-line block ×4, first 2 shown]
	s_waitcnt vmcnt(0)
	v_fmac_f32_e32 v0, v8, v14
	v_fmac_f32_e32 v1, v9, v14
	v_fmac_f32_e32 v2, v8, v16
	v_fmac_f32_e32 v3, v9, v16
	v_fma_f32 v4, -v9, v11, v4
	v_fmac_f32_e32 v5, v8, v11
	v_fma_f32 v6, -v9, v13, v6
	v_fmac_f32_e32 v7, v8, v13
	v_fma_f32 v0, -v9, v15, v0
	v_fmac_f32_e32 v1, v8, v15
	v_fma_f32 v2, -v9, v17, v2
	v_fmac_f32_e32 v3, v8, v17
	global_store_dwordx4 v[18:19], v[4:7], off
	global_store_dwordx4 v[18:19], v[0:3], off offset:16
	s_endpgm
	.section	.rodata,"a",@progbits
	.p2align	6, 0x0
	.amdhsa_kernel _ZN9rocsparseL18bsrxmvn_4x4_kernelILj128ELj8E21rocsparse_complex_numIfEllfS2_S2_EEvT3_20rocsparse_direction_NS_24const_host_device_scalarIT1_EES3_PKS3_PKT2_SC_S9_PKT4_PKT5_S7_PT6_21rocsparse_index_base_b
		.amdhsa_group_segment_fixed_size 0
		.amdhsa_private_segment_fixed_size 0
		.amdhsa_kernarg_size 104
		.amdhsa_user_sgpr_count 6
		.amdhsa_user_sgpr_private_segment_buffer 1
		.amdhsa_user_sgpr_dispatch_ptr 0
		.amdhsa_user_sgpr_queue_ptr 0
		.amdhsa_user_sgpr_kernarg_segment_ptr 1
		.amdhsa_user_sgpr_dispatch_id 0
		.amdhsa_user_sgpr_flat_scratch_init 0
		.amdhsa_user_sgpr_private_segment_size 0
		.amdhsa_wavefront_size32 1
		.amdhsa_uses_dynamic_stack 0
		.amdhsa_system_sgpr_private_segment_wavefront_offset 0
		.amdhsa_system_sgpr_workgroup_id_x 1
		.amdhsa_system_sgpr_workgroup_id_y 0
		.amdhsa_system_sgpr_workgroup_id_z 0
		.amdhsa_system_sgpr_workgroup_info 0
		.amdhsa_system_vgpr_workitem_id 0
		.amdhsa_next_free_vgpr 122
		.amdhsa_next_free_sgpr 16
		.amdhsa_reserve_vcc 1
		.amdhsa_reserve_flat_scratch 0
		.amdhsa_float_round_mode_32 0
		.amdhsa_float_round_mode_16_64 0
		.amdhsa_float_denorm_mode_32 3
		.amdhsa_float_denorm_mode_16_64 3
		.amdhsa_dx10_clamp 1
		.amdhsa_ieee_mode 1
		.amdhsa_fp16_overflow 0
		.amdhsa_workgroup_processor_mode 1
		.amdhsa_memory_ordered 1
		.amdhsa_forward_progress 1
		.amdhsa_shared_vgpr_count 0
		.amdhsa_exception_fp_ieee_invalid_op 0
		.amdhsa_exception_fp_denorm_src 0
		.amdhsa_exception_fp_ieee_div_zero 0
		.amdhsa_exception_fp_ieee_overflow 0
		.amdhsa_exception_fp_ieee_underflow 0
		.amdhsa_exception_fp_ieee_inexact 0
		.amdhsa_exception_int_div_zero 0
	.end_amdhsa_kernel
	.section	.text._ZN9rocsparseL18bsrxmvn_4x4_kernelILj128ELj8E21rocsparse_complex_numIfEllfS2_S2_EEvT3_20rocsparse_direction_NS_24const_host_device_scalarIT1_EES3_PKS3_PKT2_SC_S9_PKT4_PKT5_S7_PT6_21rocsparse_index_base_b,"axG",@progbits,_ZN9rocsparseL18bsrxmvn_4x4_kernelILj128ELj8E21rocsparse_complex_numIfEllfS2_S2_EEvT3_20rocsparse_direction_NS_24const_host_device_scalarIT1_EES3_PKS3_PKT2_SC_S9_PKT4_PKT5_S7_PT6_21rocsparse_index_base_b,comdat
.Lfunc_end131:
	.size	_ZN9rocsparseL18bsrxmvn_4x4_kernelILj128ELj8E21rocsparse_complex_numIfEllfS2_S2_EEvT3_20rocsparse_direction_NS_24const_host_device_scalarIT1_EES3_PKS3_PKT2_SC_S9_PKT4_PKT5_S7_PT6_21rocsparse_index_base_b, .Lfunc_end131-_ZN9rocsparseL18bsrxmvn_4x4_kernelILj128ELj8E21rocsparse_complex_numIfEllfS2_S2_EEvT3_20rocsparse_direction_NS_24const_host_device_scalarIT1_EES3_PKS3_PKT2_SC_S9_PKT4_PKT5_S7_PT6_21rocsparse_index_base_b
                                        ; -- End function
	.set _ZN9rocsparseL18bsrxmvn_4x4_kernelILj128ELj8E21rocsparse_complex_numIfEllfS2_S2_EEvT3_20rocsparse_direction_NS_24const_host_device_scalarIT1_EES3_PKS3_PKT2_SC_S9_PKT4_PKT5_S7_PT6_21rocsparse_index_base_b.num_vgpr, 122
	.set _ZN9rocsparseL18bsrxmvn_4x4_kernelILj128ELj8E21rocsparse_complex_numIfEllfS2_S2_EEvT3_20rocsparse_direction_NS_24const_host_device_scalarIT1_EES3_PKS3_PKT2_SC_S9_PKT4_PKT5_S7_PT6_21rocsparse_index_base_b.num_agpr, 0
	.set _ZN9rocsparseL18bsrxmvn_4x4_kernelILj128ELj8E21rocsparse_complex_numIfEllfS2_S2_EEvT3_20rocsparse_direction_NS_24const_host_device_scalarIT1_EES3_PKS3_PKT2_SC_S9_PKT4_PKT5_S7_PT6_21rocsparse_index_base_b.numbered_sgpr, 16
	.set _ZN9rocsparseL18bsrxmvn_4x4_kernelILj128ELj8E21rocsparse_complex_numIfEllfS2_S2_EEvT3_20rocsparse_direction_NS_24const_host_device_scalarIT1_EES3_PKS3_PKT2_SC_S9_PKT4_PKT5_S7_PT6_21rocsparse_index_base_b.num_named_barrier, 0
	.set _ZN9rocsparseL18bsrxmvn_4x4_kernelILj128ELj8E21rocsparse_complex_numIfEllfS2_S2_EEvT3_20rocsparse_direction_NS_24const_host_device_scalarIT1_EES3_PKS3_PKT2_SC_S9_PKT4_PKT5_S7_PT6_21rocsparse_index_base_b.private_seg_size, 0
	.set _ZN9rocsparseL18bsrxmvn_4x4_kernelILj128ELj8E21rocsparse_complex_numIfEllfS2_S2_EEvT3_20rocsparse_direction_NS_24const_host_device_scalarIT1_EES3_PKS3_PKT2_SC_S9_PKT4_PKT5_S7_PT6_21rocsparse_index_base_b.uses_vcc, 1
	.set _ZN9rocsparseL18bsrxmvn_4x4_kernelILj128ELj8E21rocsparse_complex_numIfEllfS2_S2_EEvT3_20rocsparse_direction_NS_24const_host_device_scalarIT1_EES3_PKS3_PKT2_SC_S9_PKT4_PKT5_S7_PT6_21rocsparse_index_base_b.uses_flat_scratch, 0
	.set _ZN9rocsparseL18bsrxmvn_4x4_kernelILj128ELj8E21rocsparse_complex_numIfEllfS2_S2_EEvT3_20rocsparse_direction_NS_24const_host_device_scalarIT1_EES3_PKS3_PKT2_SC_S9_PKT4_PKT5_S7_PT6_21rocsparse_index_base_b.has_dyn_sized_stack, 0
	.set _ZN9rocsparseL18bsrxmvn_4x4_kernelILj128ELj8E21rocsparse_complex_numIfEllfS2_S2_EEvT3_20rocsparse_direction_NS_24const_host_device_scalarIT1_EES3_PKS3_PKT2_SC_S9_PKT4_PKT5_S7_PT6_21rocsparse_index_base_b.has_recursion, 0
	.set _ZN9rocsparseL18bsrxmvn_4x4_kernelILj128ELj8E21rocsparse_complex_numIfEllfS2_S2_EEvT3_20rocsparse_direction_NS_24const_host_device_scalarIT1_EES3_PKS3_PKT2_SC_S9_PKT4_PKT5_S7_PT6_21rocsparse_index_base_b.has_indirect_call, 0
	.section	.AMDGPU.csdata,"",@progbits
; Kernel info:
; codeLenInByte = 6764
; TotalNumSgprs: 18
; NumVgprs: 122
; ScratchSize: 0
; MemoryBound: 0
; FloatMode: 240
; IeeeMode: 1
; LDSByteSize: 0 bytes/workgroup (compile time only)
; SGPRBlocks: 0
; VGPRBlocks: 15
; NumSGPRsForWavesPerEU: 18
; NumVGPRsForWavesPerEU: 122
; Occupancy: 8
; WaveLimiterHint : 1
; COMPUTE_PGM_RSRC2:SCRATCH_EN: 0
; COMPUTE_PGM_RSRC2:USER_SGPR: 6
; COMPUTE_PGM_RSRC2:TRAP_HANDLER: 0
; COMPUTE_PGM_RSRC2:TGID_X_EN: 1
; COMPUTE_PGM_RSRC2:TGID_Y_EN: 0
; COMPUTE_PGM_RSRC2:TGID_Z_EN: 0
; COMPUTE_PGM_RSRC2:TIDIG_COMP_CNT: 0
	.section	.text._ZN9rocsparseL18bsrxmvn_4x4_kernelILj128ELj16E21rocsparse_complex_numIfEllfS2_S2_EEvT3_20rocsparse_direction_NS_24const_host_device_scalarIT1_EES3_PKS3_PKT2_SC_S9_PKT4_PKT5_S7_PT6_21rocsparse_index_base_b,"axG",@progbits,_ZN9rocsparseL18bsrxmvn_4x4_kernelILj128ELj16E21rocsparse_complex_numIfEllfS2_S2_EEvT3_20rocsparse_direction_NS_24const_host_device_scalarIT1_EES3_PKS3_PKT2_SC_S9_PKT4_PKT5_S7_PT6_21rocsparse_index_base_b,comdat
	.globl	_ZN9rocsparseL18bsrxmvn_4x4_kernelILj128ELj16E21rocsparse_complex_numIfEllfS2_S2_EEvT3_20rocsparse_direction_NS_24const_host_device_scalarIT1_EES3_PKS3_PKT2_SC_S9_PKT4_PKT5_S7_PT6_21rocsparse_index_base_b ; -- Begin function _ZN9rocsparseL18bsrxmvn_4x4_kernelILj128ELj16E21rocsparse_complex_numIfEllfS2_S2_EEvT3_20rocsparse_direction_NS_24const_host_device_scalarIT1_EES3_PKS3_PKT2_SC_S9_PKT4_PKT5_S7_PT6_21rocsparse_index_base_b
	.p2align	8
	.type	_ZN9rocsparseL18bsrxmvn_4x4_kernelILj128ELj16E21rocsparse_complex_numIfEllfS2_S2_EEvT3_20rocsparse_direction_NS_24const_host_device_scalarIT1_EES3_PKS3_PKT2_SC_S9_PKT4_PKT5_S7_PT6_21rocsparse_index_base_b,@function
_ZN9rocsparseL18bsrxmvn_4x4_kernelILj128ELj16E21rocsparse_complex_numIfEllfS2_S2_EEvT3_20rocsparse_direction_NS_24const_host_device_scalarIT1_EES3_PKS3_PKT2_SC_S9_PKT4_PKT5_S7_PT6_21rocsparse_index_base_b: ; @_ZN9rocsparseL18bsrxmvn_4x4_kernelILj128ELj16E21rocsparse_complex_numIfEllfS2_S2_EEvT3_20rocsparse_direction_NS_24const_host_device_scalarIT1_EES3_PKS3_PKT2_SC_S9_PKT4_PKT5_S7_PT6_21rocsparse_index_base_b
; %bb.0:
	s_clause 0x2
	s_load_dwordx2 s[8:9], s[4:5], 0x60
	s_load_dwordx4 s[0:3], s[4:5], 0x10
	s_load_dwordx2 s[10:11], s[4:5], 0x50
	s_add_u32 s7, s4, 16
	s_addc_u32 s12, s5, 0
	s_add_u32 s13, s4, 0x50
	s_addc_u32 s14, s5, 0
	s_waitcnt lgkmcnt(0)
	s_bitcmp1_b32 s9, 0
	s_cselect_b32 s0, s7, s0
	s_cselect_b32 s1, s12, s1
	v_mov_b32_e32 v1, s0
	v_mov_b32_e32 v2, s1
	s_cselect_b32 s0, s13, s10
	s_cselect_b32 s1, s14, s11
	flat_load_dwordx2 v[10:11], v[1:2]
	v_mov_b32_e32 v1, s0
	v_mov_b32_e32 v2, s1
	flat_load_dwordx2 v[8:9], v[1:2]
	s_waitcnt vmcnt(1) lgkmcnt(1)
	v_cmp_eq_f32_e32 vcc_lo, 0, v10
	v_cmp_eq_f32_e64 s0, 0, v11
	s_and_b32 s7, vcc_lo, s0
	s_mov_b32 s0, -1
	s_and_saveexec_b32 s1, s7
	s_cbranch_execz .LBB132_2
; %bb.1:
	s_waitcnt vmcnt(0) lgkmcnt(0)
	v_cmp_neq_f32_e32 vcc_lo, 1.0, v8
	v_cmp_neq_f32_e64 s0, 0, v9
	s_or_b32 s0, vcc_lo, s0
	s_orn2_b32 s0, s0, exec_lo
.LBB132_2:
	s_or_b32 exec_lo, exec_lo, s1
	s_and_saveexec_b32 s1, s0
	s_cbranch_execz .LBB132_8
; %bb.3:
	s_load_dwordx2 s[0:1], s[4:5], 0x20
	v_lshrrev_b32_e32 v1, 4, v0
	v_mov_b32_e32 v2, 0
	v_lshl_or_b32 v1, s6, 3, v1
	s_waitcnt lgkmcnt(0)
	s_cmp_lg_u64 s[0:1], 0
	s_cbranch_scc0 .LBB132_9
; %bb.4:
	v_cmp_gt_i64_e32 vcc_lo, s[2:3], v[1:2]
	s_mov_b32 s3, 0
	s_mov_b32 s2, 0
                                        ; implicit-def: $vgpr12_vgpr13
                                        ; implicit-def: $vgpr4_vgpr5
	s_and_saveexec_b32 s6, vcc_lo
	s_xor_b32 s6, exec_lo, s6
	s_cbranch_execz .LBB132_6
; %bb.5:
	v_lshlrev_b64 v[3:4], 3, v[1:2]
	s_mov_b32 s9, 0
	s_mov_b32 s2, exec_lo
	v_add_co_u32 v3, vcc_lo, s0, v3
	v_add_co_ci_u32_e64 v4, null, s1, v4, vcc_lo
	global_load_dwordx2 v[3:4], v[3:4], off
	s_waitcnt vmcnt(0)
	v_sub_co_u32 v12, vcc_lo, v3, s8
	v_subrev_co_ci_u32_e64 v13, null, 0, v4, vcc_lo
	v_mov_b32_e32 v4, s8
	v_mov_b32_e32 v5, s9
.LBB132_6:
	s_or_b32 exec_lo, exec_lo, s6
	s_and_b32 vcc_lo, exec_lo, s3
	s_cbranch_vccnz .LBB132_10
.LBB132_7:
	s_and_b32 exec_lo, exec_lo, s2
	s_cbranch_execnz .LBB132_13
.LBB132_8:
	s_endpgm
.LBB132_9:
	s_mov_b32 s2, 0
                                        ; implicit-def: $vgpr12_vgpr13
                                        ; implicit-def: $vgpr4_vgpr5
	s_cbranch_execz .LBB132_7
.LBB132_10:
	s_load_dwordx2 s[0:1], s[4:5], 0x0
	s_waitcnt lgkmcnt(0)
	v_cmp_gt_i64_e32 vcc_lo, s[0:1], v[1:2]
	s_and_saveexec_b32 s0, vcc_lo
; %bb.11:
	s_mov_b32 s9, 0
	s_or_b32 s2, s2, exec_lo
; %bb.12:
	s_or_b32 exec_lo, exec_lo, s0
	v_mov_b32_e32 v4, s8
	v_mov_b32_e32 v13, v2
	;; [unrolled: 1-line block ×4, first 2 shown]
	s_and_b32 exec_lo, exec_lo, s2
	s_cbranch_execz .LBB132_8
.LBB132_13:
	s_load_dwordx8 s[8:15], s[4:5], 0x28
	v_lshlrev_b64 v[1:2], 3, v[12:13]
	v_and_b32_e32 v30, 15, v0
	s_clause 0x1
	s_load_dword s1, s[4:5], 0x8
	s_load_dwordx2 s[2:3], s[4:5], 0x48
	v_mov_b32_e32 v31, 0
	s_waitcnt lgkmcnt(0)
	v_add_co_u32 v6, vcc_lo, s8, v1
	v_add_co_ci_u32_e64 v7, null, s9, v2, vcc_lo
	v_add_co_u32 v1, vcc_lo, s10, v1
	v_add_co_ci_u32_e64 v2, null, s11, v2, vcc_lo
	v_add_co_u32 v3, vcc_lo, v6, 8
	global_load_dwordx2 v[20:21], v[6:7], off
	v_add_co_ci_u32_e64 v14, null, 0, v7, vcc_lo
	s_cmp_eq_u64 s[10:11], 0
	s_cselect_b32 vcc_lo, -1, 0
	s_cmp_eq_u32 s1, 1
	v_cndmask_b32_e32 v2, v2, v14, vcc_lo
	v_cndmask_b32_e32 v1, v1, v3, vcc_lo
	global_load_dwordx2 v[1:2], v[1:2], off
	s_waitcnt vmcnt(1)
	v_sub_co_u32 v0, vcc_lo, v20, v4
	v_sub_co_ci_u32_e64 v3, null, v21, v5, vcc_lo
	v_add_co_u32 v6, vcc_lo, v0, v30
	v_add_co_ci_u32_e64 v7, null, 0, v3, vcc_lo
	s_waitcnt vmcnt(0)
	v_sub_co_u32 v14, vcc_lo, v1, v4
	v_lshlrev_b64 v[0:1], 6, v[6:7]
	v_sub_co_ci_u32_e64 v15, null, v2, v5, vcc_lo
	v_add_co_u32 v16, vcc_lo, s14, v0
	v_cmp_lt_i64_e64 s0, v[6:7], v[14:15]
	v_add_co_ci_u32_e64 v17, null, s15, v1, vcc_lo
	s_cbranch_scc1 .LBB132_25
; %bb.14:
	v_mov_b32_e32 v32, 0
	v_mov_b32_e32 v33, 0
	;; [unrolled: 1-line block ×7, first 2 shown]
	s_and_saveexec_b32 s6, s0
	s_cbranch_execz .LBB132_24
; %bb.15:
	v_or_b32_e32 v0, 16, v30
	v_not_b32_e32 v3, v20
	v_sub_co_u32 v18, s1, v4, v30
	v_not_b32_e32 v2, v21
	v_sub_co_u32 v0, vcc_lo, v0, v4
	v_sub_co_ci_u32_e64 v1, null, 0, v5, vcc_lo
	v_subrev_co_ci_u32_e64 v22, null, 0, v5, s1
	v_add_co_u32 v0, vcc_lo, v0, v20
	v_add_co_ci_u32_e64 v1, null, v1, v21, vcc_lo
	v_mov_b32_e32 v19, 0
	v_mov_b32_e32 v25, v7
	;; [unrolled: 1-line block ×3, first 2 shown]
	v_cmp_gt_i64_e32 vcc_lo, v[0:1], v[14:15]
	s_mov_b32 s1, exec_lo
	v_mov_b32_e32 v36, v19
	v_mov_b32_e32 v37, v19
	;; [unrolled: 1-line block ×4, first 2 shown]
	v_cndmask_b32_e32 v1, v15, v1, vcc_lo
	v_cndmask_b32_e32 v0, v14, v0, vcc_lo
	v_add_co_u32 v3, vcc_lo, v18, v3
	v_add_co_ci_u32_e64 v2, null, v22, v2, vcc_lo
	v_mov_b32_e32 v23, v17
	v_add_co_u32 v0, vcc_lo, v3, v0
	v_add_co_ci_u32_e64 v1, null, v2, v1, vcc_lo
	v_mov_b32_e32 v33, v19
	v_and_b32_e32 v18, 48, v0
	v_mov_b32_e32 v32, v19
	v_mov_b32_e32 v31, v19
	;; [unrolled: 1-line block ×3, first 2 shown]
	v_cmpx_ne_u64_e32 48, v[18:19]
	s_cbranch_execz .LBB132_19
; %bb.16:
	v_lshrrev_b32_e32 v2, 4, v0
	v_mov_b32_e32 v25, v7
	v_mov_b32_e32 v23, v17
	;; [unrolled: 1-line block ×4, first 2 shown]
	v_add_nc_u32_e32 v18, 1, v2
	v_lshlrev_b64 v[2:3], 3, v[6:7]
	v_mov_b32_e32 v22, v16
	v_mov_b32_e32 v32, 0
	;; [unrolled: 1-line block ×3, first 2 shown]
	v_and_b32_e32 v18, 3, v18
	v_mov_b32_e32 v34, 0
	v_add_co_u32 v2, vcc_lo, s12, v2
	v_add_co_ci_u32_e64 v3, null, s13, v3, vcc_lo
	v_sub_co_u32 v26, s7, 0, v18
	v_sub_co_ci_u32_e64 v27, null, 0, 0, s7
	v_mov_b32_e32 v35, 0
	v_mov_b32_e32 v37, 0
	;; [unrolled: 1-line block ×4, first 2 shown]
	s_mov_b32 s7, 0
.LBB132_17:                             ; =>This Inner Loop Header: Depth=1
	global_load_dwordx2 v[28:29], v[2:3], off
	s_clause 0x3
	global_load_dwordx4 v[38:41], v[22:23], off offset:48
	global_load_dwordx4 v[42:45], v[22:23], off offset:32
	;; [unrolled: 1-line block ×3, first 2 shown]
	global_load_dwordx4 v[50:53], v[22:23], off
	s_waitcnt vmcnt(4)
	v_sub_co_u32 v28, vcc_lo, v28, v4
	v_sub_co_ci_u32_e64 v29, null, v29, v5, vcc_lo
	v_lshlrev_b64 v[28:29], 5, v[28:29]
	v_add_co_u32 v28, vcc_lo, s2, v28
	v_add_co_ci_u32_e64 v29, null, s3, v29, vcc_lo
	v_add_co_u32 v22, vcc_lo, 0x400, v22
	v_add_co_ci_u32_e64 v23, null, 0, v23, vcc_lo
	s_clause 0x1
	global_load_dwordx4 v[54:57], v[28:29], off
	global_load_dwordx4 v[58:61], v[28:29], off offset:16
	v_add_co_u32 v24, vcc_lo, v24, 16
	v_add_co_ci_u32_e64 v25, null, 0, v25, vcc_lo
	v_add_co_u32 v26, vcc_lo, v26, 1
	v_add_co_ci_u32_e64 v27, null, 0, v27, vcc_lo
	;; [unrolled: 2-line block ×3, first 2 shown]
	v_cmp_eq_u64_e32 vcc_lo, 0, v[26:27]
	s_or_b32 s7, vcc_lo, s7
	s_waitcnt vmcnt(1)
	v_fmac_f32_e32 v32, v50, v54
	v_fmac_f32_e32 v31, 0, v54
	;; [unrolled: 1-line block ×32, first 2 shown]
	s_waitcnt vmcnt(0)
	v_fmac_f32_e32 v32, v52, v58
	v_fmac_f32_e32 v31, 0, v58
	;; [unrolled: 1-line block ×32, first 2 shown]
	s_andn2_b32 exec_lo, exec_lo, s7
	s_cbranch_execnz .LBB132_17
; %bb.18:
	s_or_b32 exec_lo, exec_lo, s7
.LBB132_19:
	s_or_b32 exec_lo, exec_lo, s1
	s_mov_b32 s1, exec_lo
	v_cmpx_lt_u64_e32 47, v[0:1]
	s_cbranch_execz .LBB132_23
; %bb.20:
	v_lshlrev_b64 v[0:1], 3, v[24:25]
	s_mov_b32 s7, 0
	v_add_co_u32 v0, vcc_lo, s12, v0
	v_add_co_ci_u32_e64 v1, null, s13, v1, vcc_lo
	v_add_co_u32 v26, vcc_lo, 0x100, v0
	v_add_co_ci_u32_e64 v27, null, 0, v1, vcc_lo
.LBB132_21:                             ; =>This Inner Loop Header: Depth=1
	s_clause 0x3
	global_load_dwordx2 v[28:29], v[26:27], off offset:-256
	global_load_dwordx2 v[98:99], v[26:27], off offset:-128
	global_load_dwordx2 v[100:101], v[26:27], off
	global_load_dwordx2 v[102:103], v[26:27], off offset:128
	s_clause 0x3
	global_load_dwordx4 v[38:41], v[22:23], off offset:48
	global_load_dwordx4 v[42:45], v[22:23], off offset:32
	;; [unrolled: 1-line block ×3, first 2 shown]
	global_load_dwordx4 v[50:53], v[22:23], off
	v_add_co_u32 v94, vcc_lo, 0x800, v22
	v_add_co_ci_u32_e64 v95, null, 0, v23, vcc_lo
	s_clause 0xb
	global_load_dwordx4 v[54:57], v[22:23], off offset:1072
	global_load_dwordx4 v[58:61], v[22:23], off offset:1056
	;; [unrolled: 1-line block ×6, first 2 shown]
	global_load_dwordx4 v[78:81], v[94:95], off
	global_load_dwordx4 v[82:85], v[94:95], off offset:16
	global_load_dwordx4 v[0:3], v[94:95], off offset:1072
	;; [unrolled: 1-line block ×5, first 2 shown]
	s_waitcnt vmcnt(19)
	v_sub_co_u32 v28, vcc_lo, v28, v4
	v_sub_co_ci_u32_e64 v29, null, v29, v5, vcc_lo
	s_waitcnt vmcnt(18)
	v_sub_co_u32 v98, vcc_lo, v98, v4
	v_sub_co_ci_u32_e64 v99, null, v99, v5, vcc_lo
	;; [unrolled: 3-line block ×3, first 2 shown]
	s_waitcnt vmcnt(16)
	v_sub_co_u32 v102, vcc_lo, v102, v4
	v_lshlrev_b64 v[28:29], 5, v[28:29]
	v_sub_co_ci_u32_e64 v103, null, v103, v5, vcc_lo
	v_lshlrev_b64 v[98:99], 5, v[98:99]
	v_lshlrev_b64 v[100:101], 5, v[100:101]
	;; [unrolled: 1-line block ×3, first 2 shown]
	v_add_co_u32 v28, vcc_lo, s2, v28
	v_add_co_ci_u32_e64 v29, null, s3, v29, vcc_lo
	v_add_co_u32 v110, vcc_lo, s2, v98
	v_add_co_ci_u32_e64 v111, null, s3, v99, vcc_lo
	;; [unrolled: 2-line block ×4, first 2 shown]
	s_clause 0x4
	global_load_dwordx4 v[98:101], v[28:29], off
	global_load_dwordx4 v[102:105], v[28:29], off offset:16
	global_load_dwordx4 v[106:109], v[110:111], off
	global_load_dwordx4 v[110:113], v[110:111], off offset:16
	global_load_dwordx4 v[114:117], v[118:119], off
	v_add_co_u32 v24, vcc_lo, v24, 64
	v_add_co_ci_u32_e64 v25, null, 0, v25, vcc_lo
	v_add_co_u32 v26, vcc_lo, 0x200, v26
	v_add_co_ci_u32_e64 v27, null, 0, v27, vcc_lo
	;; [unrolled: 2-line block ×3, first 2 shown]
	v_cmp_ge_i64_e32 vcc_lo, v[24:25], v[14:15]
	s_or_b32 s7, vcc_lo, s7
	s_waitcnt vmcnt(4)
	v_fmac_f32_e32 v32, v50, v98
	v_fmac_f32_e32 v31, 0, v98
	v_fmac_f32_e32 v34, v46, v98
	v_fmac_f32_e32 v33, 0, v98
	v_fmac_f32_e32 v37, v42, v98
	v_fmac_f32_e32 v35, 0, v98
	v_fmac_f32_e32 v19, v38, v98
	v_fmac_f32_e32 v36, 0, v98
	v_fmac_f32_e32 v32, 0x80000000, v99
	v_fmac_f32_e32 v31, v50, v99
	v_fmac_f32_e32 v34, 0x80000000, v99
	v_fmac_f32_e32 v33, v46, v99
	v_fmac_f32_e32 v37, 0x80000000, v99
	v_fmac_f32_e32 v35, v42, v99
	v_fmac_f32_e32 v19, 0x80000000, v99
	v_fmac_f32_e32 v36, v38, v99
	v_fmac_f32_e32 v32, v51, v100
	v_fmac_f32_e32 v31, 0, v100
	v_fmac_f32_e32 v34, v47, v100
	v_fmac_f32_e32 v33, 0, v100
	v_fmac_f32_e32 v37, v43, v100
	v_fmac_f32_e32 v35, 0, v100
	v_fmac_f32_e32 v19, v39, v100
	v_fmac_f32_e32 v36, 0, v100
	v_fmac_f32_e32 v32, 0x80000000, v101
	v_fmac_f32_e32 v31, v51, v101
	v_fmac_f32_e32 v34, 0x80000000, v101
	v_fmac_f32_e32 v33, v47, v101
	v_fmac_f32_e32 v37, 0x80000000, v101
	v_fmac_f32_e32 v35, v43, v101
	v_fmac_f32_e32 v19, 0x80000000, v101
	v_fmac_f32_e32 v36, v39, v101
	global_load_dwordx4 v[98:101], v[118:119], off offset:16
	s_waitcnt vmcnt(4)
	v_fmac_f32_e32 v31, 0, v102
	v_fmac_f32_e32 v32, v52, v102
	;; [unrolled: 1-line block ×16, first 2 shown]
	s_clause 0x1
	global_load_dwordx4 v[50:53], v[120:121], off
	global_load_dwordx4 v[118:121], v[120:121], off offset:16
	v_fmac_f32_e32 v37, 0x80000000, v103
	v_fmac_f32_e32 v36, v40, v103
	v_fmac_f32_e32 v19, 0x80000000, v103
	v_fmac_f32_e32 v33, 0, v104
	v_fmac_f32_e32 v34, v49, v104
	v_fmac_f32_e32 v35, 0, v104
	v_fmac_f32_e32 v37, v45, v104
	v_fmac_f32_e32 v36, 0, v104
	v_fmac_f32_e32 v19, v41, v104
	v_fmac_f32_e32 v33, v49, v105
	v_fmac_f32_e32 v35, v45, v105
	v_fmac_f32_e32 v32, 0x80000000, v105
	v_fmac_f32_e32 v36, v41, v105
	v_fmac_f32_e32 v34, 0x80000000, v105
	v_fmac_f32_e32 v37, 0x80000000, v105
	v_fmac_f32_e32 v19, 0x80000000, v105
	s_waitcnt vmcnt(5)
	v_fmac_f32_e32 v32, v66, v106
	v_fmac_f32_e32 v31, 0, v106
	v_fmac_f32_e32 v34, v62, v106
	v_fmac_f32_e32 v33, 0, v106
	v_fmac_f32_e32 v37, v58, v106
	v_fmac_f32_e32 v35, 0, v106
	v_fmac_f32_e32 v19, v54, v106
	v_fmac_f32_e32 v36, 0, v106
	v_fmac_f32_e32 v32, 0x80000000, v107
	v_fmac_f32_e32 v31, v66, v107
	v_fmac_f32_e32 v34, 0x80000000, v107
	v_fmac_f32_e32 v33, v62, v107
	v_fmac_f32_e32 v37, 0x80000000, v107
	v_fmac_f32_e32 v35, v58, v107
	v_fmac_f32_e32 v19, 0x80000000, v107
	v_fmac_f32_e32 v36, v54, v107
	v_fmac_f32_e32 v32, v67, v108
	v_fmac_f32_e32 v31, 0, v108
	v_fmac_f32_e32 v34, v63, v108
	v_fmac_f32_e32 v33, 0, v108
	v_fmac_f32_e32 v37, v59, v108
	v_fmac_f32_e32 v35, 0, v108
	v_fmac_f32_e32 v19, v55, v108
	v_fmac_f32_e32 v36, 0, v108
	v_fmac_f32_e32 v32, 0x80000000, v109
	v_fmac_f32_e32 v31, v67, v109
	v_fmac_f32_e32 v34, 0x80000000, v109
	v_fmac_f32_e32 v33, v63, v109
	v_fmac_f32_e32 v37, 0x80000000, v109
	v_fmac_f32_e32 v35, v59, v109
	v_fmac_f32_e32 v19, 0x80000000, v109
	v_fmac_f32_e32 v36, v55, v109
	s_waitcnt vmcnt(4)
	v_fmac_f32_e32 v31, 0, v110
	v_fmac_f32_e32 v32, v68, v110
	v_fmac_f32_e32 v33, 0, v110
	v_fmac_f32_e32 v34, v64, v110
	v_fmac_f32_e32 v35, 0, v110
	v_fmac_f32_e32 v37, v60, v110
	v_fmac_f32_e32 v36, 0, v110
	v_fmac_f32_e32 v19, v56, v110
	v_fmac_f32_e32 v31, v68, v111
	v_fmac_f32_e32 v32, 0x80000000, v111
	v_fmac_f32_e32 v33, v64, v111
	v_fmac_f32_e32 v34, 0x80000000, v111
	v_fmac_f32_e32 v35, v60, v111
	v_fmac_f32_e32 v37, 0x80000000, v111
	v_fmac_f32_e32 v36, v56, v111
	v_fmac_f32_e32 v19, 0x80000000, v111
	;; [unrolled: 33-line block ×6, first 2 shown]
	v_fmac_f32_e32 v32, v97, v120
	v_fmac_f32_e32 v31, 0, v120
	;; [unrolled: 1-line block ×16, first 2 shown]
	s_andn2_b32 exec_lo, exec_lo, s7
	s_cbranch_execnz .LBB132_21
; %bb.22:
	s_or_b32 exec_lo, exec_lo, s7
.LBB132_23:
	s_or_b32 exec_lo, exec_lo, s1
.LBB132_24:
	s_or_b32 exec_lo, exec_lo, s6
	s_cbranch_execz .LBB132_26
	s_branch .LBB132_37
.LBB132_25:
                                        ; implicit-def: $vgpr31
                                        ; implicit-def: $vgpr32
                                        ; implicit-def: $vgpr33
                                        ; implicit-def: $vgpr34
                                        ; implicit-def: $vgpr35
                                        ; implicit-def: $vgpr37
                                        ; implicit-def: $vgpr36
                                        ; implicit-def: $vgpr19
.LBB132_26:
	v_mov_b32_e32 v31, 0
	v_mov_b32_e32 v32, 0
	;; [unrolled: 1-line block ×8, first 2 shown]
	s_and_saveexec_b32 s1, s0
	s_cbranch_execz .LBB132_36
; %bb.27:
	v_or_b32_e32 v0, 16, v30
	v_not_b32_e32 v3, v20
	v_not_b32_e32 v2, v21
	v_mov_b32_e32 v19, 0
	v_sub_co_u32 v0, vcc_lo, v0, v4
	v_sub_co_ci_u32_e64 v1, null, 0, v5, vcc_lo
	v_mov_b32_e32 v36, v19
	v_add_co_u32 v0, vcc_lo, v0, v20
	v_add_co_ci_u32_e64 v1, null, v1, v21, vcc_lo
	v_sub_co_u32 v18, vcc_lo, v4, v30
	v_subrev_co_ci_u32_e64 v20, null, 0, v5, vcc_lo
	v_cmp_gt_i64_e64 s0, v[0:1], v[14:15]
	v_add_co_u32 v3, vcc_lo, v18, v3
	v_add_co_ci_u32_e64 v2, null, v20, v2, vcc_lo
	v_mov_b32_e32 v37, v19
	v_cndmask_b32_e64 v0, v14, v0, s0
	v_cndmask_b32_e64 v1, v15, v1, s0
	v_mov_b32_e32 v35, v19
	v_mov_b32_e32 v34, v19
	;; [unrolled: 1-line block ×3, first 2 shown]
	v_add_co_u32 v0, vcc_lo, v3, v0
	v_add_co_ci_u32_e64 v1, null, v2, v1, vcc_lo
	v_mov_b32_e32 v32, v19
	v_and_b32_e32 v18, 48, v0
	v_mov_b32_e32 v31, v19
	s_mov_b32 s0, exec_lo
	v_cmpx_ne_u64_e32 48, v[18:19]
	s_cbranch_execz .LBB132_31
; %bb.28:
	v_lshrrev_b32_e32 v2, 4, v0
	v_mov_b32_e32 v31, 0
	v_mov_b32_e32 v32, 0
	;; [unrolled: 1-line block ×4, first 2 shown]
	v_add_nc_u32_e32 v18, 1, v2
	v_lshlrev_b64 v[2:3], 3, v[6:7]
	v_mov_b32_e32 v35, 0
	v_mov_b32_e32 v37, 0
	;; [unrolled: 1-line block ×3, first 2 shown]
	v_and_b32_e32 v18, 3, v18
	v_mov_b32_e32 v19, 0
	v_add_co_u32 v2, vcc_lo, s12, v2
	v_add_co_ci_u32_e64 v3, null, s13, v3, vcc_lo
	v_sub_co_u32 v20, s6, 0, v18
	v_sub_co_ci_u32_e64 v21, null, 0, 0, s6
	s_mov_b32 s6, 0
.LBB132_29:                             ; =>This Inner Loop Header: Depth=1
	global_load_dwordx2 v[38:39], v[2:3], off
	s_clause 0x1
	global_load_dwordx4 v[22:25], v[16:17], off offset:16
	global_load_dwordx4 v[26:29], v[16:17], off
	s_waitcnt vmcnt(2)
	v_sub_co_u32 v38, vcc_lo, v38, v4
	v_sub_co_ci_u32_e64 v39, null, v39, v5, vcc_lo
	v_lshlrev_b64 v[38:39], 5, v[38:39]
	v_add_co_u32 v42, vcc_lo, s2, v38
	v_add_co_ci_u32_e64 v43, null, s3, v39, vcc_lo
	s_clause 0x1
	global_load_dwordx4 v[38:41], v[42:43], off
	global_load_dwordx4 v[42:45], v[42:43], off offset:16
	s_clause 0x1
	global_load_dwordx4 v[46:49], v[16:17], off offset:32
	global_load_dwordx4 v[50:53], v[16:17], off offset:48
	v_add_co_u32 v16, vcc_lo, 0x400, v16
	v_add_co_ci_u32_e64 v17, null, 0, v17, vcc_lo
	v_add_co_u32 v6, vcc_lo, v6, 16
	v_add_co_ci_u32_e64 v7, null, 0, v7, vcc_lo
	;; [unrolled: 2-line block ×4, first 2 shown]
	v_cmp_eq_u64_e32 vcc_lo, 0, v[20:21]
	s_or_b32 s6, vcc_lo, s6
	s_waitcnt vmcnt(3)
	v_fmac_f32_e32 v32, v26, v38
	v_fmac_f32_e32 v31, 0, v38
	;; [unrolled: 1-line block ×32, first 2 shown]
	s_waitcnt vmcnt(1)
	v_fmac_f32_e32 v32, v46, v42
	v_fmac_f32_e32 v31, 0, v42
	;; [unrolled: 1-line block ×16, first 2 shown]
	s_waitcnt vmcnt(0)
	v_fmac_f32_e32 v32, v50, v44
	v_fmac_f32_e32 v31, 0, v44
	;; [unrolled: 1-line block ×16, first 2 shown]
	s_andn2_b32 exec_lo, exec_lo, s6
	s_cbranch_execnz .LBB132_29
; %bb.30:
	s_or_b32 exec_lo, exec_lo, s6
.LBB132_31:
	s_or_b32 exec_lo, exec_lo, s0
	s_mov_b32 s0, exec_lo
	v_cmpx_lt_u64_e32 47, v[0:1]
	s_cbranch_execz .LBB132_35
; %bb.32:
	v_lshlrev_b64 v[0:1], 3, v[6:7]
	s_mov_b32 s6, 0
	v_add_co_u32 v0, vcc_lo, s12, v0
	v_add_co_ci_u32_e64 v1, null, s13, v1, vcc_lo
	v_add_co_u32 v0, vcc_lo, 0x100, v0
	v_add_co_ci_u32_e64 v1, null, 0, v1, vcc_lo
.LBB132_33:                             ; =>This Inner Loop Header: Depth=1
	s_clause 0x3
	global_load_dwordx2 v[2:3], v[0:1], off offset:-256
	global_load_dwordx2 v[28:29], v[0:1], off offset:-128
	global_load_dwordx2 v[86:87], v[0:1], off
	global_load_dwordx2 v[88:89], v[0:1], off offset:128
	s_clause 0x3
	global_load_dwordx4 v[20:23], v[16:17], off offset:48
	global_load_dwordx4 v[24:27], v[16:17], off offset:32
	;; [unrolled: 1-line block ×3, first 2 shown]
	global_load_dwordx4 v[42:45], v[16:17], off
	v_add_co_u32 v98, vcc_lo, 0x800, v16
	v_add_co_ci_u32_e64 v99, null, 0, v17, vcc_lo
	s_clause 0x9
	global_load_dwordx4 v[46:49], v[16:17], off offset:1072
	global_load_dwordx4 v[50:53], v[16:17], off offset:1056
	;; [unrolled: 1-line block ×6, first 2 shown]
	global_load_dwordx4 v[70:73], v[98:99], off
	global_load_dwordx4 v[74:77], v[98:99], off offset:16
	global_load_dwordx4 v[78:81], v[98:99], off offset:1040
	;; [unrolled: 1-line block ×3, first 2 shown]
	s_waitcnt vmcnt(17)
	v_sub_co_u32 v2, vcc_lo, v2, v4
	v_sub_co_ci_u32_e64 v3, null, v3, v5, vcc_lo
	s_waitcnt vmcnt(16)
	v_sub_co_u32 v28, vcc_lo, v28, v4
	v_sub_co_ci_u32_e64 v29, null, v29, v5, vcc_lo
	;; [unrolled: 3-line block ×3, first 2 shown]
	s_waitcnt vmcnt(14)
	v_sub_co_u32 v88, vcc_lo, v88, v4
	v_lshlrev_b64 v[2:3], 5, v[2:3]
	v_sub_co_ci_u32_e64 v89, null, v89, v5, vcc_lo
	v_lshlrev_b64 v[28:29], 5, v[28:29]
	v_lshlrev_b64 v[86:87], 5, v[86:87]
	;; [unrolled: 1-line block ×3, first 2 shown]
	v_add_co_u32 v2, vcc_lo, s2, v2
	v_add_co_ci_u32_e64 v3, null, s3, v3, vcc_lo
	v_add_co_u32 v28, vcc_lo, s2, v28
	v_add_co_ci_u32_e64 v29, null, s3, v29, vcc_lo
	;; [unrolled: 2-line block ×4, first 2 shown]
	s_clause 0x1
	global_load_dwordx4 v[86:89], v[2:3], off
	global_load_dwordx4 v[90:93], v[2:3], off offset:16
	v_add_co_u32 v6, vcc_lo, v6, 64
	v_add_co_ci_u32_e64 v7, null, 0, v7, vcc_lo
	v_add_co_u32 v0, vcc_lo, 0x200, v0
	v_add_co_ci_u32_e64 v1, null, 0, v1, vcc_lo
	;; [unrolled: 2-line block ×3, first 2 shown]
	v_cmp_ge_i64_e32 vcc_lo, v[6:7], v[14:15]
	s_or_b32 s6, vcc_lo, s6
	s_waitcnt vmcnt(1)
	v_fmac_f32_e32 v31, 0, v86
	v_fmac_f32_e32 v33, 0, v86
	;; [unrolled: 1-line block ×28, first 2 shown]
	global_load_dwordx4 v[38:41], v[28:29], off
	v_fmac_f32_e32 v32, 0x80000000, v89
	v_fmac_f32_e32 v34, 0x80000000, v89
	;; [unrolled: 1-line block ×4, first 2 shown]
	global_load_dwordx4 v[86:89], v[28:29], off offset:16
	s_waitcnt vmcnt(2)
	v_fmac_f32_e32 v31, 0, v90
	v_fmac_f32_e32 v33, 0, v90
	;; [unrolled: 1-line block ×4, first 2 shown]
	global_load_dwordx4 v[42:45], v[98:99], off offset:1056
	v_fmac_f32_e32 v32, v24, v90
	v_fmac_f32_e32 v34, v25, v90
	;; [unrolled: 1-line block ×8, first 2 shown]
	s_clause 0x1
	global_load_dwordx4 v[24:27], v[94:95], off
	global_load_dwordx4 v[94:97], v[94:95], off offset:16
	v_fmac_f32_e32 v32, 0x80000000, v91
	v_fmac_f32_e32 v34, 0x80000000, v91
	;; [unrolled: 1-line block ×16, first 2 shown]
	global_load_dwordx4 v[20:23], v[100:101], off
	v_fmac_f32_e32 v32, 0x80000000, v93
	v_fmac_f32_e32 v34, 0x80000000, v93
	;; [unrolled: 1-line block ×4, first 2 shown]
	global_load_dwordx4 v[90:93], v[100:101], off offset:16
	global_load_dwordx4 v[98:101], v[98:99], off offset:1072
	s_waitcnt vmcnt(7)
	v_fmac_f32_e32 v32, v58, v38
	v_fmac_f32_e32 v31, 0, v38
	v_fmac_f32_e32 v34, v59, v38
	v_fmac_f32_e32 v33, 0, v38
	v_fmac_f32_e32 v37, v60, v38
	v_fmac_f32_e32 v35, 0, v38
	v_fmac_f32_e32 v36, 0, v38
	v_fmac_f32_e32 v19, v61, v38
	v_fmac_f32_e32 v31, v58, v39
	v_fmac_f32_e32 v33, v59, v39
	v_fmac_f32_e32 v35, v60, v39
	v_fmac_f32_e32 v32, 0x80000000, v39
	v_fmac_f32_e32 v36, v61, v39
	v_fmac_f32_e32 v34, 0x80000000, v39
	v_fmac_f32_e32 v37, 0x80000000, v39
	v_fmac_f32_e32 v19, 0x80000000, v39
	v_fmac_f32_e32 v32, v54, v40
	v_fmac_f32_e32 v31, 0, v40
	v_fmac_f32_e32 v34, v55, v40
	v_fmac_f32_e32 v33, 0, v40
	v_fmac_f32_e32 v37, v56, v40
	v_fmac_f32_e32 v35, 0, v40
	v_fmac_f32_e32 v36, 0, v40
	v_fmac_f32_e32 v19, v57, v40
	v_fmac_f32_e32 v31, v54, v41
	v_fmac_f32_e32 v33, v55, v41
	v_fmac_f32_e32 v35, v56, v41
	v_fmac_f32_e32 v32, 0x80000000, v41
	v_fmac_f32_e32 v36, v57, v41
	v_fmac_f32_e32 v34, 0x80000000, v41
	v_fmac_f32_e32 v37, 0x80000000, v41
	v_fmac_f32_e32 v19, 0x80000000, v41
	s_waitcnt vmcnt(6)
	v_fmac_f32_e32 v32, v50, v86
	v_fmac_f32_e32 v31, 0, v86
	v_fmac_f32_e32 v34, v51, v86
	v_fmac_f32_e32 v33, 0, v86
	v_fmac_f32_e32 v37, v52, v86
	v_fmac_f32_e32 v35, 0, v86
	v_fmac_f32_e32 v36, 0, v86
	v_fmac_f32_e32 v19, v53, v86
	v_fmac_f32_e32 v31, v50, v87
	v_fmac_f32_e32 v33, v51, v87
	v_fmac_f32_e32 v35, v52, v87
	v_fmac_f32_e32 v32, 0x80000000, v87
	v_fmac_f32_e32 v36, v53, v87
	v_fmac_f32_e32 v34, 0x80000000, v87
	v_fmac_f32_e32 v37, 0x80000000, v87
	v_fmac_f32_e32 v19, 0x80000000, v87
	v_fmac_f32_e32 v32, v46, v88
	v_fmac_f32_e32 v31, 0, v88
	v_fmac_f32_e32 v34, v47, v88
	v_fmac_f32_e32 v33, 0, v88
	v_fmac_f32_e32 v37, v48, v88
	v_fmac_f32_e32 v35, 0, v88
	v_fmac_f32_e32 v36, 0, v88
	v_fmac_f32_e32 v19, v49, v88
	v_fmac_f32_e32 v31, v46, v89
	v_fmac_f32_e32 v33, v47, v89
	v_fmac_f32_e32 v35, v48, v89
	v_fmac_f32_e32 v32, 0x80000000, v89
	v_fmac_f32_e32 v36, v49, v89
	v_fmac_f32_e32 v34, 0x80000000, v89
	v_fmac_f32_e32 v37, 0x80000000, v89
	v_fmac_f32_e32 v19, 0x80000000, v89
	;; [unrolled: 33-line block ×5, first 2 shown]
	s_waitcnt vmcnt(1)
	v_fmac_f32_e32 v32, v42, v90
	v_fmac_f32_e32 v31, 0, v90
	;; [unrolled: 1-line block ×16, first 2 shown]
	s_waitcnt vmcnt(0)
	v_fmac_f32_e32 v32, v98, v92
	v_fmac_f32_e32 v31, 0, v92
	;; [unrolled: 1-line block ×16, first 2 shown]
	s_andn2_b32 exec_lo, exec_lo, s6
	s_cbranch_execnz .LBB132_33
; %bb.34:
	s_or_b32 exec_lo, exec_lo, s6
.LBB132_35:
	s_or_b32 exec_lo, exec_lo, s0
.LBB132_36:
	s_or_b32 exec_lo, exec_lo, s1
.LBB132_37:
	v_mbcnt_lo_u32_b32 v0, -1, 0
	v_xor_b32_e32 v1, 8, v0
	v_xor_b32_e32 v15, 4, v0
	;; [unrolled: 1-line block ×3, first 2 shown]
	v_cmp_gt_i32_e32 vcc_lo, 32, v1
	v_cndmask_b32_e32 v1, v0, v1, vcc_lo
	v_cmp_gt_i32_e32 vcc_lo, 32, v15
	v_lshlrev_b32_e32 v1, 2, v1
	v_cndmask_b32_e32 v15, v0, v15, vcc_lo
	v_cmp_gt_i32_e32 vcc_lo, 32, v23
	ds_bpermute_b32 v2, v1, v32
	ds_bpermute_b32 v3, v1, v31
	;; [unrolled: 1-line block ×8, first 2 shown]
	v_lshlrev_b32_e32 v15, 2, v15
	v_cndmask_b32_e32 v23, v0, v23, vcc_lo
	v_lshlrev_b32_e32 v23, 2, v23
	s_waitcnt lgkmcnt(7)
	v_add_f32_e32 v2, v32, v2
	s_waitcnt lgkmcnt(6)
	v_add_f32_e32 v3, v31, v3
	;; [unrolled: 2-line block ×8, first 2 shown]
	ds_bpermute_b32 v16, v15, v2
	ds_bpermute_b32 v17, v15, v3
	;; [unrolled: 1-line block ×8, first 2 shown]
	s_waitcnt lgkmcnt(7)
	v_add_f32_e32 v2, v2, v16
	s_waitcnt lgkmcnt(6)
	v_add_f32_e32 v3, v3, v17
	;; [unrolled: 2-line block ×8, first 2 shown]
	ds_bpermute_b32 v1, v23, v2
	ds_bpermute_b32 v16, v23, v3
	;; [unrolled: 1-line block ×8, first 2 shown]
	v_xor_b32_e32 v23, 1, v0
	v_cmp_gt_i32_e32 vcc_lo, 32, v23
	v_cndmask_b32_e32 v0, v0, v23, vcc_lo
	v_cmp_eq_u32_e32 vcc_lo, 15, v30
	v_lshlrev_b32_e32 v23, 2, v0
	s_waitcnt lgkmcnt(7)
	v_add_f32_e32 v0, v2, v1
	s_waitcnt lgkmcnt(6)
	v_add_f32_e32 v1, v3, v16
	s_waitcnt lgkmcnt(5)
	v_add_f32_e32 v2, v4, v17
	s_waitcnt lgkmcnt(4)
	v_add_f32_e32 v3, v5, v18
	s_waitcnt lgkmcnt(3)
	v_add_f32_e32 v4, v6, v19
	s_waitcnt lgkmcnt(2)
	v_add_f32_e32 v5, v7, v20
	s_waitcnt lgkmcnt(1)
	v_add_f32_e32 v6, v14, v21
	s_waitcnt lgkmcnt(0)
	v_add_f32_e32 v7, v15, v22
	ds_bpermute_b32 v14, v23, v0
	ds_bpermute_b32 v15, v23, v1
	;; [unrolled: 1-line block ×8, first 2 shown]
	s_and_b32 exec_lo, exec_lo, vcc_lo
	s_cbranch_execz .LBB132_8
; %bb.38:
	s_load_dwordx2 s[2:3], s[4:5], 0x58
	s_waitcnt lgkmcnt(0)
	v_add_f32_e32 v14, v0, v14
	v_add_f32_e32 v0, v1, v15
	;; [unrolled: 1-line block ×8, first 2 shown]
	v_mul_f32_e64 v4, v0, -v11
	v_mul_f32_e32 v5, v10, v0
	v_mul_f32_e64 v6, v1, -v11
	v_mul_f32_e32 v7, v10, v1
	;; [unrolled: 2-line block ×4, first 2 shown]
	v_cmp_eq_f32_e32 vcc_lo, 0, v8
	v_cmp_eq_f32_e64 s0, 0, v9
	v_lshlrev_b64 v[12:13], 5, v[12:13]
	v_fmac_f32_e32 v4, v10, v14
	v_fmac_f32_e32 v5, v11, v14
	;; [unrolled: 1-line block ×8, first 2 shown]
	s_and_b32 s0, vcc_lo, s0
	s_and_saveexec_b32 s1, s0
	s_xor_b32 s0, exec_lo, s1
	s_cbranch_execz .LBB132_40
; %bb.39:
	v_add_co_u32 v8, vcc_lo, s2, v12
	v_add_co_ci_u32_e64 v9, null, s3, v13, vcc_lo
                                        ; implicit-def: $vgpr12_vgpr13
	global_store_dwordx4 v[8:9], v[4:7], off
	global_store_dwordx4 v[8:9], v[0:3], off offset:16
                                        ; implicit-def: $vgpr8_vgpr9
                                        ; implicit-def: $vgpr4
                                        ; implicit-def: $vgpr0
.LBB132_40:
	s_andn2_saveexec_b32 s0, s0
	s_cbranch_execz .LBB132_8
; %bb.41:
	v_add_co_u32 v18, vcc_lo, s2, v12
	v_add_co_ci_u32_e64 v19, null, s3, v13, vcc_lo
	s_clause 0x1
	global_load_dwordx4 v[10:13], v[18:19], off
	global_load_dwordx4 v[14:17], v[18:19], off offset:16
	s_waitcnt vmcnt(1)
	v_fmac_f32_e32 v4, v8, v10
	v_fmac_f32_e32 v5, v9, v10
	v_fmac_f32_e32 v6, v8, v12
	v_fmac_f32_e32 v7, v9, v12
	s_waitcnt vmcnt(0)
	v_fmac_f32_e32 v0, v8, v14
	v_fmac_f32_e32 v1, v9, v14
	;; [unrolled: 1-line block ×4, first 2 shown]
	v_fma_f32 v4, -v9, v11, v4
	v_fmac_f32_e32 v5, v8, v11
	v_fma_f32 v6, -v9, v13, v6
	v_fmac_f32_e32 v7, v8, v13
	;; [unrolled: 2-line block ×4, first 2 shown]
	global_store_dwordx4 v[18:19], v[4:7], off
	global_store_dwordx4 v[18:19], v[0:3], off offset:16
	s_endpgm
	.section	.rodata,"a",@progbits
	.p2align	6, 0x0
	.amdhsa_kernel _ZN9rocsparseL18bsrxmvn_4x4_kernelILj128ELj16E21rocsparse_complex_numIfEllfS2_S2_EEvT3_20rocsparse_direction_NS_24const_host_device_scalarIT1_EES3_PKS3_PKT2_SC_S9_PKT4_PKT5_S7_PT6_21rocsparse_index_base_b
		.amdhsa_group_segment_fixed_size 0
		.amdhsa_private_segment_fixed_size 0
		.amdhsa_kernarg_size 104
		.amdhsa_user_sgpr_count 6
		.amdhsa_user_sgpr_private_segment_buffer 1
		.amdhsa_user_sgpr_dispatch_ptr 0
		.amdhsa_user_sgpr_queue_ptr 0
		.amdhsa_user_sgpr_kernarg_segment_ptr 1
		.amdhsa_user_sgpr_dispatch_id 0
		.amdhsa_user_sgpr_flat_scratch_init 0
		.amdhsa_user_sgpr_private_segment_size 0
		.amdhsa_wavefront_size32 1
		.amdhsa_uses_dynamic_stack 0
		.amdhsa_system_sgpr_private_segment_wavefront_offset 0
		.amdhsa_system_sgpr_workgroup_id_x 1
		.amdhsa_system_sgpr_workgroup_id_y 0
		.amdhsa_system_sgpr_workgroup_id_z 0
		.amdhsa_system_sgpr_workgroup_info 0
		.amdhsa_system_vgpr_workitem_id 0
		.amdhsa_next_free_vgpr 122
		.amdhsa_next_free_sgpr 16
		.amdhsa_reserve_vcc 1
		.amdhsa_reserve_flat_scratch 0
		.amdhsa_float_round_mode_32 0
		.amdhsa_float_round_mode_16_64 0
		.amdhsa_float_denorm_mode_32 3
		.amdhsa_float_denorm_mode_16_64 3
		.amdhsa_dx10_clamp 1
		.amdhsa_ieee_mode 1
		.amdhsa_fp16_overflow 0
		.amdhsa_workgroup_processor_mode 1
		.amdhsa_memory_ordered 1
		.amdhsa_forward_progress 1
		.amdhsa_shared_vgpr_count 0
		.amdhsa_exception_fp_ieee_invalid_op 0
		.amdhsa_exception_fp_denorm_src 0
		.amdhsa_exception_fp_ieee_div_zero 0
		.amdhsa_exception_fp_ieee_overflow 0
		.amdhsa_exception_fp_ieee_underflow 0
		.amdhsa_exception_fp_ieee_inexact 0
		.amdhsa_exception_int_div_zero 0
	.end_amdhsa_kernel
	.section	.text._ZN9rocsparseL18bsrxmvn_4x4_kernelILj128ELj16E21rocsparse_complex_numIfEllfS2_S2_EEvT3_20rocsparse_direction_NS_24const_host_device_scalarIT1_EES3_PKS3_PKT2_SC_S9_PKT4_PKT5_S7_PT6_21rocsparse_index_base_b,"axG",@progbits,_ZN9rocsparseL18bsrxmvn_4x4_kernelILj128ELj16E21rocsparse_complex_numIfEllfS2_S2_EEvT3_20rocsparse_direction_NS_24const_host_device_scalarIT1_EES3_PKS3_PKT2_SC_S9_PKT4_PKT5_S7_PT6_21rocsparse_index_base_b,comdat
.Lfunc_end132:
	.size	_ZN9rocsparseL18bsrxmvn_4x4_kernelILj128ELj16E21rocsparse_complex_numIfEllfS2_S2_EEvT3_20rocsparse_direction_NS_24const_host_device_scalarIT1_EES3_PKS3_PKT2_SC_S9_PKT4_PKT5_S7_PT6_21rocsparse_index_base_b, .Lfunc_end132-_ZN9rocsparseL18bsrxmvn_4x4_kernelILj128ELj16E21rocsparse_complex_numIfEllfS2_S2_EEvT3_20rocsparse_direction_NS_24const_host_device_scalarIT1_EES3_PKS3_PKT2_SC_S9_PKT4_PKT5_S7_PT6_21rocsparse_index_base_b
                                        ; -- End function
	.set _ZN9rocsparseL18bsrxmvn_4x4_kernelILj128ELj16E21rocsparse_complex_numIfEllfS2_S2_EEvT3_20rocsparse_direction_NS_24const_host_device_scalarIT1_EES3_PKS3_PKT2_SC_S9_PKT4_PKT5_S7_PT6_21rocsparse_index_base_b.num_vgpr, 122
	.set _ZN9rocsparseL18bsrxmvn_4x4_kernelILj128ELj16E21rocsparse_complex_numIfEllfS2_S2_EEvT3_20rocsparse_direction_NS_24const_host_device_scalarIT1_EES3_PKS3_PKT2_SC_S9_PKT4_PKT5_S7_PT6_21rocsparse_index_base_b.num_agpr, 0
	.set _ZN9rocsparseL18bsrxmvn_4x4_kernelILj128ELj16E21rocsparse_complex_numIfEllfS2_S2_EEvT3_20rocsparse_direction_NS_24const_host_device_scalarIT1_EES3_PKS3_PKT2_SC_S9_PKT4_PKT5_S7_PT6_21rocsparse_index_base_b.numbered_sgpr, 16
	.set _ZN9rocsparseL18bsrxmvn_4x4_kernelILj128ELj16E21rocsparse_complex_numIfEllfS2_S2_EEvT3_20rocsparse_direction_NS_24const_host_device_scalarIT1_EES3_PKS3_PKT2_SC_S9_PKT4_PKT5_S7_PT6_21rocsparse_index_base_b.num_named_barrier, 0
	.set _ZN9rocsparseL18bsrxmvn_4x4_kernelILj128ELj16E21rocsparse_complex_numIfEllfS2_S2_EEvT3_20rocsparse_direction_NS_24const_host_device_scalarIT1_EES3_PKS3_PKT2_SC_S9_PKT4_PKT5_S7_PT6_21rocsparse_index_base_b.private_seg_size, 0
	.set _ZN9rocsparseL18bsrxmvn_4x4_kernelILj128ELj16E21rocsparse_complex_numIfEllfS2_S2_EEvT3_20rocsparse_direction_NS_24const_host_device_scalarIT1_EES3_PKS3_PKT2_SC_S9_PKT4_PKT5_S7_PT6_21rocsparse_index_base_b.uses_vcc, 1
	.set _ZN9rocsparseL18bsrxmvn_4x4_kernelILj128ELj16E21rocsparse_complex_numIfEllfS2_S2_EEvT3_20rocsparse_direction_NS_24const_host_device_scalarIT1_EES3_PKS3_PKT2_SC_S9_PKT4_PKT5_S7_PT6_21rocsparse_index_base_b.uses_flat_scratch, 0
	.set _ZN9rocsparseL18bsrxmvn_4x4_kernelILj128ELj16E21rocsparse_complex_numIfEllfS2_S2_EEvT3_20rocsparse_direction_NS_24const_host_device_scalarIT1_EES3_PKS3_PKT2_SC_S9_PKT4_PKT5_S7_PT6_21rocsparse_index_base_b.has_dyn_sized_stack, 0
	.set _ZN9rocsparseL18bsrxmvn_4x4_kernelILj128ELj16E21rocsparse_complex_numIfEllfS2_S2_EEvT3_20rocsparse_direction_NS_24const_host_device_scalarIT1_EES3_PKS3_PKT2_SC_S9_PKT4_PKT5_S7_PT6_21rocsparse_index_base_b.has_recursion, 0
	.set _ZN9rocsparseL18bsrxmvn_4x4_kernelILj128ELj16E21rocsparse_complex_numIfEllfS2_S2_EEvT3_20rocsparse_direction_NS_24const_host_device_scalarIT1_EES3_PKS3_PKT2_SC_S9_PKT4_PKT5_S7_PT6_21rocsparse_index_base_b.has_indirect_call, 0
	.section	.AMDGPU.csdata,"",@progbits
; Kernel info:
; codeLenInByte = 6964
; TotalNumSgprs: 18
; NumVgprs: 122
; ScratchSize: 0
; MemoryBound: 0
; FloatMode: 240
; IeeeMode: 1
; LDSByteSize: 0 bytes/workgroup (compile time only)
; SGPRBlocks: 0
; VGPRBlocks: 15
; NumSGPRsForWavesPerEU: 18
; NumVGPRsForWavesPerEU: 122
; Occupancy: 8
; WaveLimiterHint : 1
; COMPUTE_PGM_RSRC2:SCRATCH_EN: 0
; COMPUTE_PGM_RSRC2:USER_SGPR: 6
; COMPUTE_PGM_RSRC2:TRAP_HANDLER: 0
; COMPUTE_PGM_RSRC2:TGID_X_EN: 1
; COMPUTE_PGM_RSRC2:TGID_Y_EN: 0
; COMPUTE_PGM_RSRC2:TGID_Z_EN: 0
; COMPUTE_PGM_RSRC2:TIDIG_COMP_CNT: 0
	.section	.text._ZN9rocsparseL18bsrxmvn_4x4_kernelILj128ELj32E21rocsparse_complex_numIfEllfS2_S2_EEvT3_20rocsparse_direction_NS_24const_host_device_scalarIT1_EES3_PKS3_PKT2_SC_S9_PKT4_PKT5_S7_PT6_21rocsparse_index_base_b,"axG",@progbits,_ZN9rocsparseL18bsrxmvn_4x4_kernelILj128ELj32E21rocsparse_complex_numIfEllfS2_S2_EEvT3_20rocsparse_direction_NS_24const_host_device_scalarIT1_EES3_PKS3_PKT2_SC_S9_PKT4_PKT5_S7_PT6_21rocsparse_index_base_b,comdat
	.globl	_ZN9rocsparseL18bsrxmvn_4x4_kernelILj128ELj32E21rocsparse_complex_numIfEllfS2_S2_EEvT3_20rocsparse_direction_NS_24const_host_device_scalarIT1_EES3_PKS3_PKT2_SC_S9_PKT4_PKT5_S7_PT6_21rocsparse_index_base_b ; -- Begin function _ZN9rocsparseL18bsrxmvn_4x4_kernelILj128ELj32E21rocsparse_complex_numIfEllfS2_S2_EEvT3_20rocsparse_direction_NS_24const_host_device_scalarIT1_EES3_PKS3_PKT2_SC_S9_PKT4_PKT5_S7_PT6_21rocsparse_index_base_b
	.p2align	8
	.type	_ZN9rocsparseL18bsrxmvn_4x4_kernelILj128ELj32E21rocsparse_complex_numIfEllfS2_S2_EEvT3_20rocsparse_direction_NS_24const_host_device_scalarIT1_EES3_PKS3_PKT2_SC_S9_PKT4_PKT5_S7_PT6_21rocsparse_index_base_b,@function
_ZN9rocsparseL18bsrxmvn_4x4_kernelILj128ELj32E21rocsparse_complex_numIfEllfS2_S2_EEvT3_20rocsparse_direction_NS_24const_host_device_scalarIT1_EES3_PKS3_PKT2_SC_S9_PKT4_PKT5_S7_PT6_21rocsparse_index_base_b: ; @_ZN9rocsparseL18bsrxmvn_4x4_kernelILj128ELj32E21rocsparse_complex_numIfEllfS2_S2_EEvT3_20rocsparse_direction_NS_24const_host_device_scalarIT1_EES3_PKS3_PKT2_SC_S9_PKT4_PKT5_S7_PT6_21rocsparse_index_base_b
; %bb.0:
	s_clause 0x2
	s_load_dwordx2 s[8:9], s[4:5], 0x60
	s_load_dwordx4 s[0:3], s[4:5], 0x10
	s_load_dwordx2 s[10:11], s[4:5], 0x50
	s_add_u32 s7, s4, 16
	s_addc_u32 s12, s5, 0
	s_add_u32 s13, s4, 0x50
	s_addc_u32 s14, s5, 0
	s_waitcnt lgkmcnt(0)
	s_bitcmp1_b32 s9, 0
	s_cselect_b32 s0, s7, s0
	s_cselect_b32 s1, s12, s1
	v_mov_b32_e32 v1, s0
	v_mov_b32_e32 v2, s1
	s_cselect_b32 s0, s13, s10
	s_cselect_b32 s1, s14, s11
	flat_load_dwordx2 v[10:11], v[1:2]
	v_mov_b32_e32 v1, s0
	v_mov_b32_e32 v2, s1
	flat_load_dwordx2 v[8:9], v[1:2]
	s_waitcnt vmcnt(1) lgkmcnt(1)
	v_cmp_eq_f32_e32 vcc_lo, 0, v10
	v_cmp_eq_f32_e64 s0, 0, v11
	s_and_b32 s7, vcc_lo, s0
	s_mov_b32 s0, -1
	s_and_saveexec_b32 s1, s7
	s_cbranch_execz .LBB133_2
; %bb.1:
	s_waitcnt vmcnt(0) lgkmcnt(0)
	v_cmp_neq_f32_e32 vcc_lo, 1.0, v8
	v_cmp_neq_f32_e64 s0, 0, v9
	s_or_b32 s0, vcc_lo, s0
	s_orn2_b32 s0, s0, exec_lo
.LBB133_2:
	s_or_b32 exec_lo, exec_lo, s1
	s_and_saveexec_b32 s1, s0
	s_cbranch_execz .LBB133_8
; %bb.3:
	s_load_dwordx2 s[0:1], s[4:5], 0x20
	v_lshrrev_b32_e32 v1, 5, v0
	v_mov_b32_e32 v2, 0
	v_lshl_or_b32 v1, s6, 2, v1
	s_waitcnt lgkmcnt(0)
	s_cmp_lg_u64 s[0:1], 0
	s_cbranch_scc0 .LBB133_9
; %bb.4:
	v_cmp_gt_i64_e32 vcc_lo, s[2:3], v[1:2]
	s_mov_b32 s3, 0
	s_mov_b32 s2, 0
                                        ; implicit-def: $vgpr12_vgpr13
                                        ; implicit-def: $vgpr14_vgpr15
	s_and_saveexec_b32 s6, vcc_lo
	s_xor_b32 s6, exec_lo, s6
	s_cbranch_execz .LBB133_6
; %bb.5:
	v_lshlrev_b64 v[3:4], 3, v[1:2]
	s_mov_b32 s9, 0
	s_mov_b32 s2, exec_lo
	v_mov_b32_e32 v15, s9
	v_mov_b32_e32 v14, s8
	v_add_co_u32 v3, vcc_lo, s0, v3
	v_add_co_ci_u32_e64 v4, null, s1, v4, vcc_lo
	global_load_dwordx2 v[3:4], v[3:4], off
	s_waitcnt vmcnt(0)
	v_sub_co_u32 v12, vcc_lo, v3, s8
	v_subrev_co_ci_u32_e64 v13, null, 0, v4, vcc_lo
.LBB133_6:
	s_or_b32 exec_lo, exec_lo, s6
	s_and_b32 vcc_lo, exec_lo, s3
	s_cbranch_vccnz .LBB133_10
.LBB133_7:
	s_and_b32 exec_lo, exec_lo, s2
	s_cbranch_execnz .LBB133_13
.LBB133_8:
	s_endpgm
.LBB133_9:
	s_mov_b32 s2, 0
                                        ; implicit-def: $vgpr12_vgpr13
                                        ; implicit-def: $vgpr14_vgpr15
	s_cbranch_execz .LBB133_7
.LBB133_10:
	s_load_dwordx2 s[0:1], s[4:5], 0x0
	s_waitcnt lgkmcnt(0)
	v_cmp_gt_i64_e32 vcc_lo, s[0:1], v[1:2]
	s_and_saveexec_b32 s0, vcc_lo
; %bb.11:
	s_mov_b32 s9, 0
	s_or_b32 s2, s2, exec_lo
; %bb.12:
	s_or_b32 exec_lo, exec_lo, s0
	v_mov_b32_e32 v15, s9
	v_mov_b32_e32 v13, v2
	;; [unrolled: 1-line block ×4, first 2 shown]
	s_and_b32 exec_lo, exec_lo, s2
	s_cbranch_execz .LBB133_8
.LBB133_13:
	s_load_dwordx8 s[8:15], s[4:5], 0x28
	v_lshlrev_b64 v[1:2], 3, v[12:13]
	v_and_b32_e32 v34, 31, v0
	s_clause 0x1
	s_load_dword s1, s[4:5], 0x8
	s_load_dwordx2 s[2:3], s[4:5], 0x48
	v_mov_b32_e32 v35, 0
	s_waitcnt lgkmcnt(0)
	v_add_co_u32 v3, vcc_lo, s8, v1
	v_add_co_ci_u32_e64 v4, null, s9, v2, vcc_lo
	v_add_co_u32 v1, vcc_lo, s10, v1
	v_add_co_ci_u32_e64 v2, null, s11, v2, vcc_lo
	v_add_co_u32 v5, vcc_lo, v3, 8
	global_load_dwordx2 v[24:25], v[3:4], off
	v_add_co_ci_u32_e64 v6, null, 0, v4, vcc_lo
	s_cmp_eq_u64 s[10:11], 0
	s_cselect_b32 vcc_lo, -1, 0
	s_cmp_eq_u32 s1, 1
	v_cndmask_b32_e32 v2, v2, v6, vcc_lo
	v_cndmask_b32_e32 v1, v1, v5, vcc_lo
	global_load_dwordx2 v[1:2], v[1:2], off
	s_waitcnt vmcnt(1)
	v_sub_co_u32 v0, vcc_lo, v24, v14
	v_sub_co_ci_u32_e64 v3, null, v25, v15, vcc_lo
	v_add_co_u32 v16, vcc_lo, v0, v34
	v_add_co_ci_u32_e64 v17, null, 0, v3, vcc_lo
	s_waitcnt vmcnt(0)
	v_sub_co_u32 v18, vcc_lo, v1, v14
	v_lshlrev_b64 v[0:1], 6, v[16:17]
	v_sub_co_ci_u32_e64 v19, null, v2, v15, vcc_lo
	v_add_co_u32 v22, vcc_lo, s14, v0
	v_cmp_lt_i64_e64 s0, v[16:17], v[18:19]
	v_add_co_ci_u32_e64 v23, null, s15, v1, vcc_lo
	s_cbranch_scc1 .LBB133_25
; %bb.14:
	v_mov_b32_e32 v36, 0
	v_mov_b32_e32 v37, 0
	;; [unrolled: 1-line block ×7, first 2 shown]
	s_and_saveexec_b32 s6, s0
	s_cbranch_execz .LBB133_24
; %bb.15:
	v_or_b32_e32 v0, 32, v34
	v_not_b32_e32 v3, v24
	v_sub_co_u32 v4, s1, v14, v34
	v_not_b32_e32 v2, v25
	v_sub_co_u32 v0, vcc_lo, v0, v14
	v_sub_co_ci_u32_e64 v1, null, 0, v15, vcc_lo
	v_subrev_co_ci_u32_e64 v5, null, 0, v15, s1
	v_add_co_u32 v0, vcc_lo, v0, v24
	v_add_co_ci_u32_e64 v1, null, v1, v25, vcc_lo
	v_mov_b32_e32 v21, 0
	v_mov_b32_e32 v27, v23
	;; [unrolled: 1-line block ×3, first 2 shown]
	v_cmp_gt_i64_e32 vcc_lo, v[0:1], v[18:19]
	v_mov_b32_e32 v26, v22
	v_mov_b32_e32 v40, v21
	;; [unrolled: 1-line block ×5, first 2 shown]
	v_cndmask_b32_e32 v1, v19, v1, vcc_lo
	v_cndmask_b32_e32 v0, v18, v0, vcc_lo
	v_add_co_u32 v3, vcc_lo, v4, v3
	v_add_co_ci_u32_e64 v2, null, v5, v2, vcc_lo
	v_mov_b32_e32 v37, v21
	v_add_co_u32 v0, vcc_lo, v3, v0
	v_add_co_ci_u32_e64 v1, null, v2, v1, vcc_lo
	v_mov_b32_e32 v36, v21
	v_and_b32_e32 v20, 0x60, v0
	v_mov_b32_e32 v35, v21
	v_mov_b32_e32 v28, v16
	s_mov_b32 s1, exec_lo
	v_cmpx_ne_u64_e32 0x60, v[20:21]
	s_cbranch_execz .LBB133_19
; %bb.16:
	v_lshrrev_b32_e32 v2, 5, v0
	v_mov_b32_e32 v29, v17
	v_mov_b32_e32 v27, v23
	;; [unrolled: 1-line block ×4, first 2 shown]
	v_add_nc_u32_e32 v4, 1, v2
	v_lshlrev_b64 v[2:3], 3, v[16:17]
	v_mov_b32_e32 v26, v22
	v_mov_b32_e32 v36, 0
	;; [unrolled: 1-line block ×3, first 2 shown]
	v_and_b32_e32 v4, 3, v4
	v_mov_b32_e32 v38, 0
	v_add_co_u32 v2, vcc_lo, s12, v2
	v_add_co_ci_u32_e64 v3, null, s13, v3, vcc_lo
	v_sub_co_u32 v4, s7, 0, v4
	v_sub_co_ci_u32_e64 v5, null, 0, 0, s7
	v_mov_b32_e32 v39, 0
	v_mov_b32_e32 v41, 0
	;; [unrolled: 1-line block ×4, first 2 shown]
	s_mov_b32 s7, 0
.LBB133_17:                             ; =>This Inner Loop Header: Depth=1
	global_load_dwordx2 v[6:7], v[2:3], off
	s_clause 0x3
	global_load_dwordx4 v[30:33], v[26:27], off offset:48
	global_load_dwordx4 v[42:45], v[26:27], off offset:32
	;; [unrolled: 1-line block ×3, first 2 shown]
	global_load_dwordx4 v[50:53], v[26:27], off
	s_waitcnt vmcnt(4)
	v_sub_co_u32 v6, vcc_lo, v6, v14
	v_sub_co_ci_u32_e64 v7, null, v7, v15, vcc_lo
	v_lshlrev_b64 v[6:7], 5, v[6:7]
	v_add_co_u32 v6, vcc_lo, s2, v6
	v_add_co_ci_u32_e64 v7, null, s3, v7, vcc_lo
	v_add_co_u32 v26, vcc_lo, 0x800, v26
	v_add_co_ci_u32_e64 v27, null, 0, v27, vcc_lo
	s_clause 0x1
	global_load_dwordx4 v[54:57], v[6:7], off
	global_load_dwordx4 v[58:61], v[6:7], off offset:16
	v_add_co_u32 v28, vcc_lo, v28, 32
	v_add_co_ci_u32_e64 v29, null, 0, v29, vcc_lo
	v_add_co_u32 v4, vcc_lo, v4, 1
	v_add_co_ci_u32_e64 v5, null, 0, v5, vcc_lo
	;; [unrolled: 2-line block ×3, first 2 shown]
	v_cmp_eq_u64_e32 vcc_lo, 0, v[4:5]
	s_or_b32 s7, vcc_lo, s7
	s_waitcnt vmcnt(1)
	v_fmac_f32_e32 v36, v50, v54
	v_fmac_f32_e32 v35, 0, v54
	;; [unrolled: 1-line block ×32, first 2 shown]
	s_waitcnt vmcnt(0)
	v_fmac_f32_e32 v36, v52, v58
	v_fmac_f32_e32 v35, 0, v58
	;; [unrolled: 1-line block ×32, first 2 shown]
	s_andn2_b32 exec_lo, exec_lo, s7
	s_cbranch_execnz .LBB133_17
; %bb.18:
	s_or_b32 exec_lo, exec_lo, s7
.LBB133_19:
	s_or_b32 exec_lo, exec_lo, s1
	s_mov_b32 s1, exec_lo
	v_cmpx_lt_u64_e32 0x5f, v[0:1]
	s_cbranch_execz .LBB133_23
; %bb.20:
	v_lshlrev_b64 v[0:1], 3, v[28:29]
	s_mov_b32 s7, 0
	v_add_co_u32 v0, vcc_lo, s12, v0
	v_add_co_ci_u32_e64 v1, null, s13, v1, vcc_lo
	v_add_co_u32 v30, vcc_lo, 0x200, v0
	v_add_co_ci_u32_e64 v31, null, 0, v1, vcc_lo
.LBB133_21:                             ; =>This Inner Loop Header: Depth=1
	s_clause 0x3
	global_load_dwordx2 v[32:33], v[30:31], off offset:-512
	global_load_dwordx2 v[98:99], v[30:31], off offset:-256
	global_load_dwordx2 v[100:101], v[30:31], off
	global_load_dwordx2 v[102:103], v[30:31], off offset:256
	s_clause 0x3
	global_load_dwordx4 v[42:45], v[26:27], off offset:48
	global_load_dwordx4 v[46:49], v[26:27], off offset:32
	;; [unrolled: 1-line block ×3, first 2 shown]
	global_load_dwordx4 v[54:57], v[26:27], off
	v_add_co_u32 v0, vcc_lo, 0x800, v26
	v_add_co_ci_u32_e64 v1, null, 0, v27, vcc_lo
	v_add_co_u32 v2, vcc_lo, v26, 0x1000
	v_add_co_ci_u32_e64 v3, null, 0, v27, vcc_lo
	;; [unrolled: 2-line block ×4, first 2 shown]
	s_clause 0xb
	global_load_dwordx4 v[58:61], v[0:1], off offset:48
	global_load_dwordx4 v[62:65], v[0:1], off offset:32
	;; [unrolled: 1-line block ×3, first 2 shown]
	global_load_dwordx4 v[70:73], v[2:3], off offset:-2048
	global_load_dwordx4 v[0:3], v[2:3], off
	global_load_dwordx4 v[4:7], v[78:79], off offset:48
	global_load_dwordx4 v[74:77], v[78:79], off offset:32
	;; [unrolled: 1-line block ×5, first 2 shown]
	global_load_dwordx4 v[90:93], v[94:95], off
	global_load_dwordx4 v[94:97], v[94:95], off offset:16
	s_waitcnt vmcnt(19)
	v_sub_co_u32 v32, vcc_lo, v32, v14
	v_sub_co_ci_u32_e64 v33, null, v33, v15, vcc_lo
	s_waitcnt vmcnt(18)
	v_sub_co_u32 v98, vcc_lo, v98, v14
	v_sub_co_ci_u32_e64 v99, null, v99, v15, vcc_lo
	;; [unrolled: 3-line block ×3, first 2 shown]
	s_waitcnt vmcnt(16)
	v_sub_co_u32 v102, vcc_lo, v102, v14
	v_lshlrev_b64 v[32:33], 5, v[32:33]
	v_sub_co_ci_u32_e64 v103, null, v103, v15, vcc_lo
	v_lshlrev_b64 v[98:99], 5, v[98:99]
	v_lshlrev_b64 v[100:101], 5, v[100:101]
	;; [unrolled: 1-line block ×3, first 2 shown]
	v_add_co_u32 v32, vcc_lo, s2, v32
	v_add_co_ci_u32_e64 v33, null, s3, v33, vcc_lo
	v_add_co_u32 v110, vcc_lo, s2, v98
	v_add_co_ci_u32_e64 v111, null, s3, v99, vcc_lo
	;; [unrolled: 2-line block ×4, first 2 shown]
	s_clause 0x4
	global_load_dwordx4 v[98:101], v[32:33], off
	global_load_dwordx4 v[102:105], v[32:33], off offset:16
	global_load_dwordx4 v[106:109], v[110:111], off
	global_load_dwordx4 v[110:113], v[110:111], off offset:16
	global_load_dwordx4 v[114:117], v[118:119], off
	v_add_co_u32 v28, vcc_lo, 0x80, v28
	v_add_co_ci_u32_e64 v29, null, 0, v29, vcc_lo
	v_add_co_u32 v30, vcc_lo, 0x400, v30
	v_add_co_ci_u32_e64 v31, null, 0, v31, vcc_lo
	;; [unrolled: 2-line block ×3, first 2 shown]
	v_cmp_ge_i64_e32 vcc_lo, v[28:29], v[18:19]
	s_or_b32 s7, vcc_lo, s7
	s_waitcnt vmcnt(4)
	v_fmac_f32_e32 v36, v54, v98
	v_fmac_f32_e32 v35, 0, v98
	;; [unrolled: 1-line block ×32, first 2 shown]
	global_load_dwordx4 v[98:101], v[118:119], off offset:16
	s_waitcnt vmcnt(4)
	v_fmac_f32_e32 v35, 0, v102
	v_fmac_f32_e32 v36, v56, v102
	;; [unrolled: 1-line block ×16, first 2 shown]
	s_clause 0x1
	global_load_dwordx4 v[54:57], v[120:121], off
	global_load_dwordx4 v[118:121], v[120:121], off offset:16
	v_fmac_f32_e32 v41, 0x80000000, v103
	v_fmac_f32_e32 v40, v44, v103
	v_fmac_f32_e32 v21, 0x80000000, v103
	v_fmac_f32_e32 v37, 0, v104
	v_fmac_f32_e32 v38, v53, v104
	v_fmac_f32_e32 v39, 0, v104
	v_fmac_f32_e32 v41, v49, v104
	v_fmac_f32_e32 v40, 0, v104
	v_fmac_f32_e32 v21, v45, v104
	v_fmac_f32_e32 v37, v53, v105
	v_fmac_f32_e32 v39, v49, v105
	v_fmac_f32_e32 v36, 0x80000000, v105
	v_fmac_f32_e32 v40, v45, v105
	v_fmac_f32_e32 v38, 0x80000000, v105
	v_fmac_f32_e32 v41, 0x80000000, v105
	v_fmac_f32_e32 v21, 0x80000000, v105
	s_waitcnt vmcnt(5)
	v_fmac_f32_e32 v36, v70, v106
	v_fmac_f32_e32 v35, 0, v106
	v_fmac_f32_e32 v38, v66, v106
	v_fmac_f32_e32 v37, 0, v106
	v_fmac_f32_e32 v41, v62, v106
	v_fmac_f32_e32 v39, 0, v106
	v_fmac_f32_e32 v21, v58, v106
	v_fmac_f32_e32 v40, 0, v106
	v_fmac_f32_e32 v36, 0x80000000, v107
	v_fmac_f32_e32 v35, v70, v107
	v_fmac_f32_e32 v38, 0x80000000, v107
	v_fmac_f32_e32 v37, v66, v107
	v_fmac_f32_e32 v41, 0x80000000, v107
	v_fmac_f32_e32 v39, v62, v107
	v_fmac_f32_e32 v21, 0x80000000, v107
	v_fmac_f32_e32 v40, v58, v107
	v_fmac_f32_e32 v36, v71, v108
	v_fmac_f32_e32 v35, 0, v108
	v_fmac_f32_e32 v38, v67, v108
	v_fmac_f32_e32 v37, 0, v108
	v_fmac_f32_e32 v41, v63, v108
	v_fmac_f32_e32 v39, 0, v108
	v_fmac_f32_e32 v21, v59, v108
	v_fmac_f32_e32 v40, 0, v108
	v_fmac_f32_e32 v36, 0x80000000, v109
	v_fmac_f32_e32 v35, v71, v109
	v_fmac_f32_e32 v38, 0x80000000, v109
	v_fmac_f32_e32 v37, v67, v109
	v_fmac_f32_e32 v41, 0x80000000, v109
	v_fmac_f32_e32 v39, v63, v109
	v_fmac_f32_e32 v21, 0x80000000, v109
	v_fmac_f32_e32 v40, v59, v109
	s_waitcnt vmcnt(4)
	v_fmac_f32_e32 v35, 0, v110
	v_fmac_f32_e32 v36, v72, v110
	v_fmac_f32_e32 v37, 0, v110
	v_fmac_f32_e32 v38, v68, v110
	v_fmac_f32_e32 v39, 0, v110
	v_fmac_f32_e32 v41, v64, v110
	v_fmac_f32_e32 v40, 0, v110
	v_fmac_f32_e32 v21, v60, v110
	v_fmac_f32_e32 v35, v72, v111
	v_fmac_f32_e32 v36, 0x80000000, v111
	v_fmac_f32_e32 v37, v68, v111
	v_fmac_f32_e32 v38, 0x80000000, v111
	v_fmac_f32_e32 v39, v64, v111
	v_fmac_f32_e32 v41, 0x80000000, v111
	v_fmac_f32_e32 v40, v60, v111
	v_fmac_f32_e32 v21, 0x80000000, v111
	;; [unrolled: 33-line block ×6, first 2 shown]
	v_fmac_f32_e32 v36, v93, v120
	v_fmac_f32_e32 v35, 0, v120
	;; [unrolled: 1-line block ×16, first 2 shown]
	s_andn2_b32 exec_lo, exec_lo, s7
	s_cbranch_execnz .LBB133_21
; %bb.22:
	s_or_b32 exec_lo, exec_lo, s7
.LBB133_23:
	s_or_b32 exec_lo, exec_lo, s1
.LBB133_24:
	s_or_b32 exec_lo, exec_lo, s6
	s_cbranch_execz .LBB133_26
	s_branch .LBB133_37
.LBB133_25:
                                        ; implicit-def: $vgpr35
                                        ; implicit-def: $vgpr36
                                        ; implicit-def: $vgpr37
                                        ; implicit-def: $vgpr38
                                        ; implicit-def: $vgpr39
                                        ; implicit-def: $vgpr41
                                        ; implicit-def: $vgpr40
                                        ; implicit-def: $vgpr21
.LBB133_26:
	v_mov_b32_e32 v35, 0
	v_mov_b32_e32 v36, 0
	;; [unrolled: 1-line block ×8, first 2 shown]
	s_and_saveexec_b32 s1, s0
	s_cbranch_execz .LBB133_36
; %bb.27:
	v_or_b32_e32 v0, 32, v34
	v_not_b32_e32 v3, v24
	v_not_b32_e32 v2, v25
	v_mov_b32_e32 v21, 0
	v_sub_co_u32 v0, vcc_lo, v0, v14
	v_sub_co_ci_u32_e64 v1, null, 0, v15, vcc_lo
	v_mov_b32_e32 v40, v21
	v_add_co_u32 v0, vcc_lo, v0, v24
	v_add_co_ci_u32_e64 v1, null, v1, v25, vcc_lo
	v_sub_co_u32 v4, vcc_lo, v14, v34
	v_subrev_co_ci_u32_e64 v5, null, 0, v15, vcc_lo
	v_cmp_gt_i64_e64 s0, v[0:1], v[18:19]
	v_add_co_u32 v3, vcc_lo, v4, v3
	v_add_co_ci_u32_e64 v2, null, v5, v2, vcc_lo
	v_mov_b32_e32 v41, v21
	v_cndmask_b32_e64 v0, v18, v0, s0
	v_cndmask_b32_e64 v1, v19, v1, s0
	v_mov_b32_e32 v39, v21
	v_mov_b32_e32 v38, v21
	;; [unrolled: 1-line block ×3, first 2 shown]
	v_add_co_u32 v0, vcc_lo, v3, v0
	v_add_co_ci_u32_e64 v1, null, v2, v1, vcc_lo
	v_mov_b32_e32 v36, v21
	v_and_b32_e32 v20, 0x60, v0
	v_mov_b32_e32 v35, v21
	s_mov_b32 s0, exec_lo
	v_cmpx_ne_u64_e32 0x60, v[20:21]
	s_cbranch_execz .LBB133_31
; %bb.28:
	v_lshrrev_b32_e32 v2, 5, v0
	v_mov_b32_e32 v35, 0
	v_mov_b32_e32 v36, 0
	;; [unrolled: 1-line block ×4, first 2 shown]
	v_add_nc_u32_e32 v4, 1, v2
	v_lshlrev_b64 v[2:3], 3, v[16:17]
	v_mov_b32_e32 v39, 0
	v_mov_b32_e32 v41, 0
	;; [unrolled: 1-line block ×3, first 2 shown]
	v_and_b32_e32 v4, 3, v4
	v_mov_b32_e32 v21, 0
	v_add_co_u32 v2, vcc_lo, s12, v2
	v_add_co_ci_u32_e64 v3, null, s13, v3, vcc_lo
	v_sub_co_u32 v4, s6, 0, v4
	v_sub_co_ci_u32_e64 v5, null, 0, 0, s6
	s_mov_b32 s6, 0
.LBB133_29:                             ; =>This Inner Loop Header: Depth=1
	global_load_dwordx2 v[6:7], v[2:3], off
	s_clause 0x1
	global_load_dwordx4 v[24:27], v[22:23], off offset:16
	global_load_dwordx4 v[28:31], v[22:23], off
	s_waitcnt vmcnt(2)
	v_sub_co_u32 v6, vcc_lo, v6, v14
	v_sub_co_ci_u32_e64 v7, null, v7, v15, vcc_lo
	v_lshlrev_b64 v[6:7], 5, v[6:7]
	v_add_co_u32 v6, vcc_lo, s2, v6
	v_add_co_ci_u32_e64 v7, null, s3, v7, vcc_lo
	s_clause 0x1
	global_load_dwordx4 v[42:45], v[6:7], off
	global_load_dwordx4 v[46:49], v[6:7], off offset:16
	s_clause 0x1
	global_load_dwordx4 v[50:53], v[22:23], off offset:32
	global_load_dwordx4 v[54:57], v[22:23], off offset:48
	v_add_co_u32 v22, vcc_lo, 0x800, v22
	v_add_co_ci_u32_e64 v23, null, 0, v23, vcc_lo
	v_add_co_u32 v16, vcc_lo, v16, 32
	v_add_co_ci_u32_e64 v17, null, 0, v17, vcc_lo
	;; [unrolled: 2-line block ×4, first 2 shown]
	v_cmp_eq_u64_e32 vcc_lo, 0, v[4:5]
	s_or_b32 s6, vcc_lo, s6
	s_waitcnt vmcnt(3)
	v_fmac_f32_e32 v36, v28, v42
	v_fmac_f32_e32 v35, 0, v42
	;; [unrolled: 1-line block ×32, first 2 shown]
	s_waitcnt vmcnt(1)
	v_fmac_f32_e32 v36, v50, v46
	v_fmac_f32_e32 v35, 0, v46
	;; [unrolled: 1-line block ×16, first 2 shown]
	s_waitcnt vmcnt(0)
	v_fmac_f32_e32 v36, v54, v48
	v_fmac_f32_e32 v35, 0, v48
	v_fmac_f32_e32 v38, v55, v48
	v_fmac_f32_e32 v37, 0, v48
	v_fmac_f32_e32 v41, v56, v48
	v_fmac_f32_e32 v39, 0, v48
	v_fmac_f32_e32 v21, v57, v48
	v_fmac_f32_e32 v40, 0, v48
	v_fmac_f32_e32 v36, 0x80000000, v49
	v_fmac_f32_e32 v35, v54, v49
	v_fmac_f32_e32 v38, 0x80000000, v49
	v_fmac_f32_e32 v37, v55, v49
	v_fmac_f32_e32 v41, 0x80000000, v49
	v_fmac_f32_e32 v39, v56, v49
	v_fmac_f32_e32 v21, 0x80000000, v49
	v_fmac_f32_e32 v40, v57, v49
	s_andn2_b32 exec_lo, exec_lo, s6
	s_cbranch_execnz .LBB133_29
; %bb.30:
	s_or_b32 exec_lo, exec_lo, s6
.LBB133_31:
	s_or_b32 exec_lo, exec_lo, s0
	s_mov_b32 s0, exec_lo
	v_cmpx_lt_u64_e32 0x5f, v[0:1]
	s_cbranch_execz .LBB133_35
; %bb.32:
	v_lshlrev_b64 v[0:1], 3, v[16:17]
	s_mov_b32 s6, 0
	v_add_co_u32 v0, vcc_lo, s12, v0
	v_add_co_ci_u32_e64 v1, null, s13, v1, vcc_lo
	v_add_co_u32 v0, vcc_lo, 0x200, v0
	v_add_co_ci_u32_e64 v1, null, 0, v1, vcc_lo
.LBB133_33:                             ; =>This Inner Loop Header: Depth=1
	s_clause 0x3
	global_load_dwordx2 v[2:3], v[0:1], off offset:-512
	global_load_dwordx2 v[32:33], v[0:1], off offset:-256
	global_load_dwordx2 v[86:87], v[0:1], off
	global_load_dwordx2 v[88:89], v[0:1], off offset:256
	s_clause 0x3
	global_load_dwordx4 v[4:7], v[22:23], off offset:48
	global_load_dwordx4 v[24:27], v[22:23], off offset:32
	;; [unrolled: 1-line block ×3, first 2 shown]
	global_load_dwordx4 v[42:45], v[22:23], off
	v_add_co_u32 v54, vcc_lo, 0x800, v22
	v_add_co_ci_u32_e64 v55, null, 0, v23, vcc_lo
	v_add_co_u32 v62, vcc_lo, v22, 0x1000
	v_add_co_ci_u32_e64 v63, null, 0, v23, vcc_lo
	;; [unrolled: 2-line block ×4, first 2 shown]
	s_clause 0x9
	global_load_dwordx4 v[46:49], v[54:55], off offset:48
	global_load_dwordx4 v[50:53], v[54:55], off offset:32
	;; [unrolled: 1-line block ×3, first 2 shown]
	global_load_dwordx4 v[58:61], v[62:63], off offset:-2048
	global_load_dwordx4 v[62:65], v[62:63], off
	global_load_dwordx4 v[66:69], v[74:75], off offset:48
	global_load_dwordx4 v[70:73], v[74:75], off offset:32
	;; [unrolled: 1-line block ×3, first 2 shown]
	global_load_dwordx4 v[78:81], v[98:99], off
	global_load_dwordx4 v[82:85], v[98:99], off offset:16
	s_waitcnt vmcnt(17)
	v_sub_co_u32 v2, vcc_lo, v2, v14
	v_sub_co_ci_u32_e64 v3, null, v3, v15, vcc_lo
	s_waitcnt vmcnt(16)
	v_sub_co_u32 v32, vcc_lo, v32, v14
	v_sub_co_ci_u32_e64 v33, null, v33, v15, vcc_lo
	;; [unrolled: 3-line block ×3, first 2 shown]
	s_waitcnt vmcnt(14)
	v_sub_co_u32 v88, vcc_lo, v88, v14
	v_lshlrev_b64 v[2:3], 5, v[2:3]
	v_sub_co_ci_u32_e64 v89, null, v89, v15, vcc_lo
	v_lshlrev_b64 v[32:33], 5, v[32:33]
	v_lshlrev_b64 v[86:87], 5, v[86:87]
	;; [unrolled: 1-line block ×3, first 2 shown]
	v_add_co_u32 v2, vcc_lo, s2, v2
	v_add_co_ci_u32_e64 v3, null, s3, v3, vcc_lo
	v_add_co_u32 v32, vcc_lo, s2, v32
	v_add_co_ci_u32_e64 v33, null, s3, v33, vcc_lo
	;; [unrolled: 2-line block ×4, first 2 shown]
	s_clause 0x1
	global_load_dwordx4 v[86:89], v[2:3], off
	global_load_dwordx4 v[90:93], v[2:3], off offset:16
	v_add_co_u32 v16, vcc_lo, 0x80, v16
	v_add_co_ci_u32_e64 v17, null, 0, v17, vcc_lo
	v_add_co_u32 v0, vcc_lo, 0x400, v0
	v_add_co_ci_u32_e64 v1, null, 0, v1, vcc_lo
	;; [unrolled: 2-line block ×3, first 2 shown]
	v_cmp_ge_i64_e32 vcc_lo, v[16:17], v[18:19]
	s_or_b32 s6, vcc_lo, s6
	s_waitcnt vmcnt(1)
	v_fmac_f32_e32 v35, 0, v86
	v_fmac_f32_e32 v37, 0, v86
	;; [unrolled: 1-line block ×28, first 2 shown]
	global_load_dwordx4 v[28:31], v[32:33], off
	v_fmac_f32_e32 v36, 0x80000000, v89
	v_fmac_f32_e32 v38, 0x80000000, v89
	;; [unrolled: 1-line block ×4, first 2 shown]
	global_load_dwordx4 v[86:89], v[32:33], off offset:16
	s_waitcnt vmcnt(2)
	v_fmac_f32_e32 v35, 0, v90
	v_fmac_f32_e32 v37, 0, v90
	;; [unrolled: 1-line block ×4, first 2 shown]
	global_load_dwordx4 v[42:45], v[98:99], off offset:32
	v_fmac_f32_e32 v36, v24, v90
	v_fmac_f32_e32 v38, v25, v90
	;; [unrolled: 1-line block ×8, first 2 shown]
	s_clause 0x1
	global_load_dwordx4 v[24:27], v[94:95], off
	global_load_dwordx4 v[94:97], v[94:95], off offset:16
	v_fmac_f32_e32 v36, 0x80000000, v91
	v_fmac_f32_e32 v38, 0x80000000, v91
	;; [unrolled: 1-line block ×9, first 2 shown]
	global_load_dwordx4 v[2:5], v[100:101], off
	v_fmac_f32_e32 v21, 0x80000000, v91
	v_fmac_f32_e32 v41, v6, v92
	;; [unrolled: 1-line block ×11, first 2 shown]
	global_load_dwordx4 v[90:93], v[100:101], off offset:16
	global_load_dwordx4 v[98:101], v[98:99], off offset:48
	s_waitcnt vmcnt(7)
	v_fmac_f32_e32 v36, v58, v28
	v_fmac_f32_e32 v35, 0, v28
	v_fmac_f32_e32 v38, v59, v28
	v_fmac_f32_e32 v37, 0, v28
	v_fmac_f32_e32 v41, v60, v28
	v_fmac_f32_e32 v39, 0, v28
	v_fmac_f32_e32 v40, 0, v28
	v_fmac_f32_e32 v21, v61, v28
	v_fmac_f32_e32 v35, v58, v29
	v_fmac_f32_e32 v37, v59, v29
	v_fmac_f32_e32 v39, v60, v29
	v_fmac_f32_e32 v36, 0x80000000, v29
	v_fmac_f32_e32 v40, v61, v29
	v_fmac_f32_e32 v38, 0x80000000, v29
	v_fmac_f32_e32 v41, 0x80000000, v29
	v_fmac_f32_e32 v21, 0x80000000, v29
	v_fmac_f32_e32 v36, v54, v30
	v_fmac_f32_e32 v35, 0, v30
	v_fmac_f32_e32 v38, v55, v30
	v_fmac_f32_e32 v37, 0, v30
	v_fmac_f32_e32 v41, v56, v30
	v_fmac_f32_e32 v39, 0, v30
	v_fmac_f32_e32 v40, 0, v30
	v_fmac_f32_e32 v21, v57, v30
	v_fmac_f32_e32 v35, v54, v31
	v_fmac_f32_e32 v37, v55, v31
	v_fmac_f32_e32 v39, v56, v31
	v_fmac_f32_e32 v36, 0x80000000, v31
	v_fmac_f32_e32 v40, v57, v31
	v_fmac_f32_e32 v38, 0x80000000, v31
	v_fmac_f32_e32 v41, 0x80000000, v31
	v_fmac_f32_e32 v21, 0x80000000, v31
	s_waitcnt vmcnt(6)
	v_fmac_f32_e32 v36, v50, v86
	v_fmac_f32_e32 v35, 0, v86
	v_fmac_f32_e32 v38, v51, v86
	v_fmac_f32_e32 v37, 0, v86
	v_fmac_f32_e32 v41, v52, v86
	v_fmac_f32_e32 v39, 0, v86
	v_fmac_f32_e32 v40, 0, v86
	v_fmac_f32_e32 v21, v53, v86
	v_fmac_f32_e32 v35, v50, v87
	v_fmac_f32_e32 v37, v51, v87
	v_fmac_f32_e32 v39, v52, v87
	v_fmac_f32_e32 v36, 0x80000000, v87
	v_fmac_f32_e32 v40, v53, v87
	v_fmac_f32_e32 v38, 0x80000000, v87
	v_fmac_f32_e32 v41, 0x80000000, v87
	v_fmac_f32_e32 v21, 0x80000000, v87
	v_fmac_f32_e32 v36, v46, v88
	v_fmac_f32_e32 v35, 0, v88
	v_fmac_f32_e32 v38, v47, v88
	v_fmac_f32_e32 v37, 0, v88
	v_fmac_f32_e32 v41, v48, v88
	v_fmac_f32_e32 v39, 0, v88
	v_fmac_f32_e32 v40, 0, v88
	v_fmac_f32_e32 v21, v49, v88
	v_fmac_f32_e32 v35, v46, v89
	v_fmac_f32_e32 v37, v47, v89
	v_fmac_f32_e32 v39, v48, v89
	v_fmac_f32_e32 v36, 0x80000000, v89
	v_fmac_f32_e32 v40, v49, v89
	v_fmac_f32_e32 v38, 0x80000000, v89
	v_fmac_f32_e32 v41, 0x80000000, v89
	v_fmac_f32_e32 v21, 0x80000000, v89
	;; [unrolled: 33-line block ×5, first 2 shown]
	s_waitcnt vmcnt(1)
	v_fmac_f32_e32 v36, v42, v90
	v_fmac_f32_e32 v35, 0, v90
	;; [unrolled: 1-line block ×16, first 2 shown]
	s_waitcnt vmcnt(0)
	v_fmac_f32_e32 v36, v98, v92
	v_fmac_f32_e32 v35, 0, v92
	;; [unrolled: 1-line block ×16, first 2 shown]
	s_andn2_b32 exec_lo, exec_lo, s6
	s_cbranch_execnz .LBB133_33
; %bb.34:
	s_or_b32 exec_lo, exec_lo, s6
.LBB133_35:
	s_or_b32 exec_lo, exec_lo, s0
.LBB133_36:
	s_or_b32 exec_lo, exec_lo, s1
.LBB133_37:
	v_mbcnt_lo_u32_b32 v0, -1, 0
	v_xor_b32_e32 v1, 16, v0
	v_xor_b32_e32 v15, 8, v0
	;; [unrolled: 1-line block ×3, first 2 shown]
	v_cmp_gt_i32_e32 vcc_lo, 32, v1
	v_cndmask_b32_e32 v1, v0, v1, vcc_lo
	v_cmp_gt_i32_e32 vcc_lo, 32, v15
	v_lshlrev_b32_e32 v1, 2, v1
	v_cndmask_b32_e32 v15, v0, v15, vcc_lo
	v_cmp_gt_i32_e32 vcc_lo, 32, v23
	ds_bpermute_b32 v2, v1, v36
	ds_bpermute_b32 v3, v1, v35
	;; [unrolled: 1-line block ×8, first 2 shown]
	v_lshlrev_b32_e32 v15, 2, v15
	v_cndmask_b32_e32 v23, v0, v23, vcc_lo
	v_lshlrev_b32_e32 v23, 2, v23
	s_waitcnt lgkmcnt(7)
	v_add_f32_e32 v2, v36, v2
	s_waitcnt lgkmcnt(6)
	v_add_f32_e32 v3, v35, v3
	;; [unrolled: 2-line block ×8, first 2 shown]
	ds_bpermute_b32 v16, v15, v2
	ds_bpermute_b32 v17, v15, v3
	;; [unrolled: 1-line block ×8, first 2 shown]
	s_waitcnt lgkmcnt(7)
	v_add_f32_e32 v2, v2, v16
	s_waitcnt lgkmcnt(6)
	v_add_f32_e32 v3, v3, v17
	;; [unrolled: 2-line block ×8, first 2 shown]
	ds_bpermute_b32 v15, v23, v2
	ds_bpermute_b32 v16, v23, v3
	;; [unrolled: 1-line block ×8, first 2 shown]
	v_xor_b32_e32 v23, 2, v0
	v_cmp_gt_i32_e32 vcc_lo, 32, v23
	v_cndmask_b32_e32 v23, v0, v23, vcc_lo
	s_waitcnt lgkmcnt(7)
	v_add_f32_e32 v2, v2, v15
	s_waitcnt lgkmcnt(6)
	v_add_f32_e32 v3, v3, v16
	;; [unrolled: 2-line block ×3, first 2 shown]
	v_lshlrev_b32_e32 v23, 2, v23
	s_waitcnt lgkmcnt(4)
	v_add_f32_e32 v5, v5, v18
	s_waitcnt lgkmcnt(3)
	v_add_f32_e32 v6, v6, v19
	;; [unrolled: 2-line block ×5, first 2 shown]
	ds_bpermute_b32 v1, v23, v2
	ds_bpermute_b32 v16, v23, v3
	;; [unrolled: 1-line block ×8, first 2 shown]
	v_xor_b32_e32 v23, 1, v0
	v_cmp_gt_i32_e32 vcc_lo, 32, v23
	v_cndmask_b32_e32 v0, v0, v23, vcc_lo
	v_cmp_eq_u32_e32 vcc_lo, 31, v34
	v_lshlrev_b32_e32 v23, 2, v0
	s_waitcnt lgkmcnt(7)
	v_add_f32_e32 v0, v2, v1
	s_waitcnt lgkmcnt(6)
	v_add_f32_e32 v1, v3, v16
	;; [unrolled: 2-line block ×8, first 2 shown]
	ds_bpermute_b32 v14, v23, v0
	ds_bpermute_b32 v15, v23, v1
	;; [unrolled: 1-line block ×8, first 2 shown]
	s_and_b32 exec_lo, exec_lo, vcc_lo
	s_cbranch_execz .LBB133_8
; %bb.38:
	s_load_dwordx2 s[2:3], s[4:5], 0x58
	s_waitcnt lgkmcnt(0)
	v_add_f32_e32 v14, v0, v14
	v_add_f32_e32 v0, v1, v15
	;; [unrolled: 1-line block ×8, first 2 shown]
	v_mul_f32_e64 v4, v0, -v11
	v_mul_f32_e32 v5, v10, v0
	v_mul_f32_e64 v6, v1, -v11
	v_mul_f32_e32 v7, v10, v1
	;; [unrolled: 2-line block ×4, first 2 shown]
	v_cmp_eq_f32_e32 vcc_lo, 0, v8
	v_cmp_eq_f32_e64 s0, 0, v9
	v_lshlrev_b64 v[12:13], 5, v[12:13]
	v_fmac_f32_e32 v4, v10, v14
	v_fmac_f32_e32 v5, v11, v14
	;; [unrolled: 1-line block ×8, first 2 shown]
	s_and_b32 s0, vcc_lo, s0
	s_and_saveexec_b32 s1, s0
	s_xor_b32 s0, exec_lo, s1
	s_cbranch_execz .LBB133_40
; %bb.39:
	v_add_co_u32 v8, vcc_lo, s2, v12
	v_add_co_ci_u32_e64 v9, null, s3, v13, vcc_lo
                                        ; implicit-def: $vgpr12_vgpr13
	global_store_dwordx4 v[8:9], v[4:7], off
	global_store_dwordx4 v[8:9], v[0:3], off offset:16
                                        ; implicit-def: $vgpr8_vgpr9
                                        ; implicit-def: $vgpr4
                                        ; implicit-def: $vgpr0
.LBB133_40:
	s_andn2_saveexec_b32 s0, s0
	s_cbranch_execz .LBB133_8
; %bb.41:
	v_add_co_u32 v18, vcc_lo, s2, v12
	v_add_co_ci_u32_e64 v19, null, s3, v13, vcc_lo
	s_clause 0x1
	global_load_dwordx4 v[10:13], v[18:19], off
	global_load_dwordx4 v[14:17], v[18:19], off offset:16
	s_waitcnt vmcnt(1)
	v_fmac_f32_e32 v4, v8, v10
	v_fmac_f32_e32 v5, v9, v10
	;; [unrolled: 1-line block ×4, first 2 shown]
	s_waitcnt vmcnt(0)
	v_fmac_f32_e32 v0, v8, v14
	v_fmac_f32_e32 v1, v9, v14
	;; [unrolled: 1-line block ×4, first 2 shown]
	v_fma_f32 v4, -v9, v11, v4
	v_fmac_f32_e32 v5, v8, v11
	v_fma_f32 v6, -v9, v13, v6
	v_fmac_f32_e32 v7, v8, v13
	;; [unrolled: 2-line block ×4, first 2 shown]
	global_store_dwordx4 v[18:19], v[4:7], off
	global_store_dwordx4 v[18:19], v[0:3], off offset:16
	s_endpgm
	.section	.rodata,"a",@progbits
	.p2align	6, 0x0
	.amdhsa_kernel _ZN9rocsparseL18bsrxmvn_4x4_kernelILj128ELj32E21rocsparse_complex_numIfEllfS2_S2_EEvT3_20rocsparse_direction_NS_24const_host_device_scalarIT1_EES3_PKS3_PKT2_SC_S9_PKT4_PKT5_S7_PT6_21rocsparse_index_base_b
		.amdhsa_group_segment_fixed_size 0
		.amdhsa_private_segment_fixed_size 0
		.amdhsa_kernarg_size 104
		.amdhsa_user_sgpr_count 6
		.amdhsa_user_sgpr_private_segment_buffer 1
		.amdhsa_user_sgpr_dispatch_ptr 0
		.amdhsa_user_sgpr_queue_ptr 0
		.amdhsa_user_sgpr_kernarg_segment_ptr 1
		.amdhsa_user_sgpr_dispatch_id 0
		.amdhsa_user_sgpr_flat_scratch_init 0
		.amdhsa_user_sgpr_private_segment_size 0
		.amdhsa_wavefront_size32 1
		.amdhsa_uses_dynamic_stack 0
		.amdhsa_system_sgpr_private_segment_wavefront_offset 0
		.amdhsa_system_sgpr_workgroup_id_x 1
		.amdhsa_system_sgpr_workgroup_id_y 0
		.amdhsa_system_sgpr_workgroup_id_z 0
		.amdhsa_system_sgpr_workgroup_info 0
		.amdhsa_system_vgpr_workitem_id 0
		.amdhsa_next_free_vgpr 122
		.amdhsa_next_free_sgpr 16
		.amdhsa_reserve_vcc 1
		.amdhsa_reserve_flat_scratch 0
		.amdhsa_float_round_mode_32 0
		.amdhsa_float_round_mode_16_64 0
		.amdhsa_float_denorm_mode_32 3
		.amdhsa_float_denorm_mode_16_64 3
		.amdhsa_dx10_clamp 1
		.amdhsa_ieee_mode 1
		.amdhsa_fp16_overflow 0
		.amdhsa_workgroup_processor_mode 1
		.amdhsa_memory_ordered 1
		.amdhsa_forward_progress 1
		.amdhsa_shared_vgpr_count 0
		.amdhsa_exception_fp_ieee_invalid_op 0
		.amdhsa_exception_fp_denorm_src 0
		.amdhsa_exception_fp_ieee_div_zero 0
		.amdhsa_exception_fp_ieee_overflow 0
		.amdhsa_exception_fp_ieee_underflow 0
		.amdhsa_exception_fp_ieee_inexact 0
		.amdhsa_exception_int_div_zero 0
	.end_amdhsa_kernel
	.section	.text._ZN9rocsparseL18bsrxmvn_4x4_kernelILj128ELj32E21rocsparse_complex_numIfEllfS2_S2_EEvT3_20rocsparse_direction_NS_24const_host_device_scalarIT1_EES3_PKS3_PKT2_SC_S9_PKT4_PKT5_S7_PT6_21rocsparse_index_base_b,"axG",@progbits,_ZN9rocsparseL18bsrxmvn_4x4_kernelILj128ELj32E21rocsparse_complex_numIfEllfS2_S2_EEvT3_20rocsparse_direction_NS_24const_host_device_scalarIT1_EES3_PKS3_PKT2_SC_S9_PKT4_PKT5_S7_PT6_21rocsparse_index_base_b,comdat
.Lfunc_end133:
	.size	_ZN9rocsparseL18bsrxmvn_4x4_kernelILj128ELj32E21rocsparse_complex_numIfEllfS2_S2_EEvT3_20rocsparse_direction_NS_24const_host_device_scalarIT1_EES3_PKS3_PKT2_SC_S9_PKT4_PKT5_S7_PT6_21rocsparse_index_base_b, .Lfunc_end133-_ZN9rocsparseL18bsrxmvn_4x4_kernelILj128ELj32E21rocsparse_complex_numIfEllfS2_S2_EEvT3_20rocsparse_direction_NS_24const_host_device_scalarIT1_EES3_PKS3_PKT2_SC_S9_PKT4_PKT5_S7_PT6_21rocsparse_index_base_b
                                        ; -- End function
	.set _ZN9rocsparseL18bsrxmvn_4x4_kernelILj128ELj32E21rocsparse_complex_numIfEllfS2_S2_EEvT3_20rocsparse_direction_NS_24const_host_device_scalarIT1_EES3_PKS3_PKT2_SC_S9_PKT4_PKT5_S7_PT6_21rocsparse_index_base_b.num_vgpr, 122
	.set _ZN9rocsparseL18bsrxmvn_4x4_kernelILj128ELj32E21rocsparse_complex_numIfEllfS2_S2_EEvT3_20rocsparse_direction_NS_24const_host_device_scalarIT1_EES3_PKS3_PKT2_SC_S9_PKT4_PKT5_S7_PT6_21rocsparse_index_base_b.num_agpr, 0
	.set _ZN9rocsparseL18bsrxmvn_4x4_kernelILj128ELj32E21rocsparse_complex_numIfEllfS2_S2_EEvT3_20rocsparse_direction_NS_24const_host_device_scalarIT1_EES3_PKS3_PKT2_SC_S9_PKT4_PKT5_S7_PT6_21rocsparse_index_base_b.numbered_sgpr, 16
	.set _ZN9rocsparseL18bsrxmvn_4x4_kernelILj128ELj32E21rocsparse_complex_numIfEllfS2_S2_EEvT3_20rocsparse_direction_NS_24const_host_device_scalarIT1_EES3_PKS3_PKT2_SC_S9_PKT4_PKT5_S7_PT6_21rocsparse_index_base_b.num_named_barrier, 0
	.set _ZN9rocsparseL18bsrxmvn_4x4_kernelILj128ELj32E21rocsparse_complex_numIfEllfS2_S2_EEvT3_20rocsparse_direction_NS_24const_host_device_scalarIT1_EES3_PKS3_PKT2_SC_S9_PKT4_PKT5_S7_PT6_21rocsparse_index_base_b.private_seg_size, 0
	.set _ZN9rocsparseL18bsrxmvn_4x4_kernelILj128ELj32E21rocsparse_complex_numIfEllfS2_S2_EEvT3_20rocsparse_direction_NS_24const_host_device_scalarIT1_EES3_PKS3_PKT2_SC_S9_PKT4_PKT5_S7_PT6_21rocsparse_index_base_b.uses_vcc, 1
	.set _ZN9rocsparseL18bsrxmvn_4x4_kernelILj128ELj32E21rocsparse_complex_numIfEllfS2_S2_EEvT3_20rocsparse_direction_NS_24const_host_device_scalarIT1_EES3_PKS3_PKT2_SC_S9_PKT4_PKT5_S7_PT6_21rocsparse_index_base_b.uses_flat_scratch, 0
	.set _ZN9rocsparseL18bsrxmvn_4x4_kernelILj128ELj32E21rocsparse_complex_numIfEllfS2_S2_EEvT3_20rocsparse_direction_NS_24const_host_device_scalarIT1_EES3_PKS3_PKT2_SC_S9_PKT4_PKT5_S7_PT6_21rocsparse_index_base_b.has_dyn_sized_stack, 0
	.set _ZN9rocsparseL18bsrxmvn_4x4_kernelILj128ELj32E21rocsparse_complex_numIfEllfS2_S2_EEvT3_20rocsparse_direction_NS_24const_host_device_scalarIT1_EES3_PKS3_PKT2_SC_S9_PKT4_PKT5_S7_PT6_21rocsparse_index_base_b.has_recursion, 0
	.set _ZN9rocsparseL18bsrxmvn_4x4_kernelILj128ELj32E21rocsparse_complex_numIfEllfS2_S2_EEvT3_20rocsparse_direction_NS_24const_host_device_scalarIT1_EES3_PKS3_PKT2_SC_S9_PKT4_PKT5_S7_PT6_21rocsparse_index_base_b.has_indirect_call, 0
	.section	.AMDGPU.csdata,"",@progbits
; Kernel info:
; codeLenInByte = 7260
; TotalNumSgprs: 18
; NumVgprs: 122
; ScratchSize: 0
; MemoryBound: 0
; FloatMode: 240
; IeeeMode: 1
; LDSByteSize: 0 bytes/workgroup (compile time only)
; SGPRBlocks: 0
; VGPRBlocks: 15
; NumSGPRsForWavesPerEU: 18
; NumVGPRsForWavesPerEU: 122
; Occupancy: 8
; WaveLimiterHint : 1
; COMPUTE_PGM_RSRC2:SCRATCH_EN: 0
; COMPUTE_PGM_RSRC2:USER_SGPR: 6
; COMPUTE_PGM_RSRC2:TRAP_HANDLER: 0
; COMPUTE_PGM_RSRC2:TGID_X_EN: 1
; COMPUTE_PGM_RSRC2:TGID_Y_EN: 0
; COMPUTE_PGM_RSRC2:TGID_Z_EN: 0
; COMPUTE_PGM_RSRC2:TIDIG_COMP_CNT: 0
	.section	.text._ZN9rocsparseL18bsrxmvn_4x4_kernelILj128ELj64E21rocsparse_complex_numIfEllfS2_S2_EEvT3_20rocsparse_direction_NS_24const_host_device_scalarIT1_EES3_PKS3_PKT2_SC_S9_PKT4_PKT5_S7_PT6_21rocsparse_index_base_b,"axG",@progbits,_ZN9rocsparseL18bsrxmvn_4x4_kernelILj128ELj64E21rocsparse_complex_numIfEllfS2_S2_EEvT3_20rocsparse_direction_NS_24const_host_device_scalarIT1_EES3_PKS3_PKT2_SC_S9_PKT4_PKT5_S7_PT6_21rocsparse_index_base_b,comdat
	.globl	_ZN9rocsparseL18bsrxmvn_4x4_kernelILj128ELj64E21rocsparse_complex_numIfEllfS2_S2_EEvT3_20rocsparse_direction_NS_24const_host_device_scalarIT1_EES3_PKS3_PKT2_SC_S9_PKT4_PKT5_S7_PT6_21rocsparse_index_base_b ; -- Begin function _ZN9rocsparseL18bsrxmvn_4x4_kernelILj128ELj64E21rocsparse_complex_numIfEllfS2_S2_EEvT3_20rocsparse_direction_NS_24const_host_device_scalarIT1_EES3_PKS3_PKT2_SC_S9_PKT4_PKT5_S7_PT6_21rocsparse_index_base_b
	.p2align	8
	.type	_ZN9rocsparseL18bsrxmvn_4x4_kernelILj128ELj64E21rocsparse_complex_numIfEllfS2_S2_EEvT3_20rocsparse_direction_NS_24const_host_device_scalarIT1_EES3_PKS3_PKT2_SC_S9_PKT4_PKT5_S7_PT6_21rocsparse_index_base_b,@function
_ZN9rocsparseL18bsrxmvn_4x4_kernelILj128ELj64E21rocsparse_complex_numIfEllfS2_S2_EEvT3_20rocsparse_direction_NS_24const_host_device_scalarIT1_EES3_PKS3_PKT2_SC_S9_PKT4_PKT5_S7_PT6_21rocsparse_index_base_b: ; @_ZN9rocsparseL18bsrxmvn_4x4_kernelILj128ELj64E21rocsparse_complex_numIfEllfS2_S2_EEvT3_20rocsparse_direction_NS_24const_host_device_scalarIT1_EES3_PKS3_PKT2_SC_S9_PKT4_PKT5_S7_PT6_21rocsparse_index_base_b
; %bb.0:
	s_clause 0x2
	s_load_dwordx2 s[8:9], s[4:5], 0x60
	s_load_dwordx4 s[0:3], s[4:5], 0x10
	s_load_dwordx2 s[10:11], s[4:5], 0x50
	s_add_u32 s7, s4, 16
	s_addc_u32 s12, s5, 0
	s_add_u32 s13, s4, 0x50
	s_addc_u32 s14, s5, 0
	s_waitcnt lgkmcnt(0)
	s_bitcmp1_b32 s9, 0
	s_cselect_b32 s0, s7, s0
	s_cselect_b32 s1, s12, s1
	v_mov_b32_e32 v1, s0
	v_mov_b32_e32 v2, s1
	s_cselect_b32 s0, s13, s10
	s_cselect_b32 s1, s14, s11
	flat_load_dwordx2 v[10:11], v[1:2]
	v_mov_b32_e32 v1, s0
	v_mov_b32_e32 v2, s1
	flat_load_dwordx2 v[8:9], v[1:2]
	s_waitcnt vmcnt(1) lgkmcnt(1)
	v_cmp_eq_f32_e32 vcc_lo, 0, v10
	v_cmp_eq_f32_e64 s0, 0, v11
	s_and_b32 s7, vcc_lo, s0
	s_mov_b32 s0, -1
	s_and_saveexec_b32 s1, s7
	s_cbranch_execz .LBB134_2
; %bb.1:
	s_waitcnt vmcnt(0) lgkmcnt(0)
	v_cmp_neq_f32_e32 vcc_lo, 1.0, v8
	v_cmp_neq_f32_e64 s0, 0, v9
	s_or_b32 s0, vcc_lo, s0
	s_orn2_b32 s0, s0, exec_lo
.LBB134_2:
	s_or_b32 exec_lo, exec_lo, s1
	s_and_saveexec_b32 s1, s0
	s_cbranch_execz .LBB134_8
; %bb.3:
	s_load_dwordx2 s[0:1], s[4:5], 0x20
	v_lshrrev_b32_e32 v1, 6, v0
	v_mov_b32_e32 v2, 0
	v_lshl_or_b32 v1, s6, 1, v1
	s_waitcnt lgkmcnt(0)
	s_cmp_lg_u64 s[0:1], 0
	s_cbranch_scc0 .LBB134_9
; %bb.4:
	v_cmp_gt_i64_e32 vcc_lo, s[2:3], v[1:2]
	s_mov_b32 s3, 0
	s_mov_b32 s2, 0
                                        ; implicit-def: $vgpr12_vgpr13
                                        ; implicit-def: $vgpr4_vgpr5
	s_and_saveexec_b32 s6, vcc_lo
	s_xor_b32 s6, exec_lo, s6
	s_cbranch_execz .LBB134_6
; %bb.5:
	v_lshlrev_b64 v[3:4], 3, v[1:2]
	s_mov_b32 s9, 0
	s_mov_b32 s2, exec_lo
	v_add_co_u32 v3, vcc_lo, s0, v3
	v_add_co_ci_u32_e64 v4, null, s1, v4, vcc_lo
	global_load_dwordx2 v[3:4], v[3:4], off
	s_waitcnt vmcnt(0)
	v_sub_co_u32 v12, vcc_lo, v3, s8
	v_subrev_co_ci_u32_e64 v13, null, 0, v4, vcc_lo
	v_mov_b32_e32 v4, s8
	v_mov_b32_e32 v5, s9
.LBB134_6:
	s_or_b32 exec_lo, exec_lo, s6
	s_and_b32 vcc_lo, exec_lo, s3
	s_cbranch_vccnz .LBB134_10
.LBB134_7:
	s_and_b32 exec_lo, exec_lo, s2
	s_cbranch_execnz .LBB134_13
.LBB134_8:
	s_endpgm
.LBB134_9:
	s_mov_b32 s2, 0
                                        ; implicit-def: $vgpr12_vgpr13
                                        ; implicit-def: $vgpr4_vgpr5
	s_cbranch_execz .LBB134_7
.LBB134_10:
	s_load_dwordx2 s[0:1], s[4:5], 0x0
	s_waitcnt lgkmcnt(0)
	v_cmp_gt_i64_e32 vcc_lo, s[0:1], v[1:2]
	s_and_saveexec_b32 s0, vcc_lo
; %bb.11:
	s_mov_b32 s9, 0
	s_or_b32 s2, s2, exec_lo
; %bb.12:
	s_or_b32 exec_lo, exec_lo, s0
	v_mov_b32_e32 v4, s8
	v_mov_b32_e32 v13, v2
	;; [unrolled: 1-line block ×4, first 2 shown]
	s_and_b32 exec_lo, exec_lo, s2
	s_cbranch_execz .LBB134_8
.LBB134_13:
	s_load_dwordx8 s[8:15], s[4:5], 0x28
	v_lshlrev_b64 v[1:2], 3, v[12:13]
	v_and_b32_e32 v30, 63, v0
	s_clause 0x1
	s_load_dword s1, s[4:5], 0x8
	s_load_dwordx2 s[2:3], s[4:5], 0x48
	v_mov_b32_e32 v31, 0
	s_waitcnt lgkmcnt(0)
	v_add_co_u32 v6, vcc_lo, s8, v1
	v_add_co_ci_u32_e64 v7, null, s9, v2, vcc_lo
	v_add_co_u32 v1, vcc_lo, s10, v1
	v_add_co_ci_u32_e64 v2, null, s11, v2, vcc_lo
	v_add_co_u32 v3, vcc_lo, v6, 8
	global_load_dwordx2 v[20:21], v[6:7], off
	v_add_co_ci_u32_e64 v14, null, 0, v7, vcc_lo
	s_cmp_eq_u64 s[10:11], 0
	s_cselect_b32 vcc_lo, -1, 0
	s_cmp_eq_u32 s1, 1
	v_cndmask_b32_e32 v2, v2, v14, vcc_lo
	v_cndmask_b32_e32 v1, v1, v3, vcc_lo
	global_load_dwordx2 v[1:2], v[1:2], off
	s_waitcnt vmcnt(1)
	v_sub_co_u32 v0, vcc_lo, v20, v4
	v_sub_co_ci_u32_e64 v3, null, v21, v5, vcc_lo
	v_add_co_u32 v14, vcc_lo, v0, v30
	v_add_co_ci_u32_e64 v15, null, 0, v3, vcc_lo
	s_waitcnt vmcnt(0)
	v_sub_co_u32 v16, vcc_lo, v1, v4
	v_lshlrev_b64 v[0:1], 6, v[14:15]
	v_sub_co_ci_u32_e64 v17, null, v2, v5, vcc_lo
	v_add_co_u32 v18, vcc_lo, s14, v0
	v_cmp_lt_i64_e64 s0, v[14:15], v[16:17]
	v_add_co_ci_u32_e64 v19, null, s15, v1, vcc_lo
	s_cbranch_scc1 .LBB134_25
; %bb.14:
	v_mov_b32_e32 v32, 0
	v_mov_b32_e32 v33, 0
	;; [unrolled: 1-line block ×7, first 2 shown]
	s_and_saveexec_b32 s6, s0
	s_cbranch_execz .LBB134_24
; %bb.15:
	v_or_b32_e32 v0, 64, v30
	v_not_b32_e32 v3, v20
	v_sub_co_u32 v6, s1, v4, v30
	v_not_b32_e32 v2, v21
	v_sub_co_u32 v0, vcc_lo, v0, v4
	v_sub_co_ci_u32_e64 v1, null, 0, v5, vcc_lo
	v_subrev_co_ci_u32_e64 v22, null, 0, v5, s1
	v_add_co_u32 v0, vcc_lo, v0, v20
	v_add_co_ci_u32_e64 v1, null, v1, v21, vcc_lo
	v_mov_b32_e32 v7, 0
	v_mov_b32_e32 v25, v15
	;; [unrolled: 1-line block ×3, first 2 shown]
	v_cmp_gt_i64_e32 vcc_lo, v[0:1], v[16:17]
	s_mov_b32 s1, exec_lo
	v_mov_b32_e32 v36, v7
	v_mov_b32_e32 v37, v7
	;; [unrolled: 1-line block ×4, first 2 shown]
	v_cndmask_b32_e32 v1, v17, v1, vcc_lo
	v_cndmask_b32_e32 v0, v16, v0, vcc_lo
	v_add_co_u32 v3, vcc_lo, v6, v3
	v_add_co_ci_u32_e64 v2, null, v22, v2, vcc_lo
	v_mov_b32_e32 v23, v19
	v_add_co_u32 v0, vcc_lo, v3, v0
	v_add_co_ci_u32_e64 v1, null, v2, v1, vcc_lo
	v_mov_b32_e32 v33, v7
	v_and_b32_e32 v6, 0xc0, v0
	v_mov_b32_e32 v32, v7
	v_mov_b32_e32 v31, v7
	;; [unrolled: 1-line block ×3, first 2 shown]
	v_cmpx_ne_u64_e32 0xc0, v[6:7]
	s_cbranch_execz .LBB134_19
; %bb.16:
	v_lshrrev_b32_e32 v2, 6, v0
	v_mov_b32_e32 v25, v15
	v_mov_b32_e32 v23, v19
	v_mov_b32_e32 v31, 0
	v_mov_b32_e32 v24, v14
	v_add_nc_u32_e32 v6, 1, v2
	v_lshlrev_b64 v[2:3], 3, v[14:15]
	v_mov_b32_e32 v22, v18
	v_mov_b32_e32 v32, 0
	;; [unrolled: 1-line block ×3, first 2 shown]
	v_and_b32_e32 v6, 3, v6
	v_mov_b32_e32 v34, 0
	v_add_co_u32 v2, vcc_lo, s12, v2
	v_add_co_ci_u32_e64 v3, null, s13, v3, vcc_lo
	v_sub_co_u32 v26, s7, 0, v6
	v_sub_co_ci_u32_e64 v27, null, 0, 0, s7
	v_mov_b32_e32 v35, 0
	v_mov_b32_e32 v37, 0
	;; [unrolled: 1-line block ×4, first 2 shown]
	s_mov_b32 s7, 0
.LBB134_17:                             ; =>This Inner Loop Header: Depth=1
	global_load_dwordx2 v[28:29], v[2:3], off
	s_clause 0x3
	global_load_dwordx4 v[38:41], v[22:23], off offset:48
	global_load_dwordx4 v[42:45], v[22:23], off offset:32
	global_load_dwordx4 v[46:49], v[22:23], off offset:16
	global_load_dwordx4 v[50:53], v[22:23], off
	s_waitcnt vmcnt(4)
	v_sub_co_u32 v28, vcc_lo, v28, v4
	v_sub_co_ci_u32_e64 v29, null, v29, v5, vcc_lo
	v_lshlrev_b64 v[28:29], 5, v[28:29]
	v_add_co_u32 v28, vcc_lo, s2, v28
	v_add_co_ci_u32_e64 v29, null, s3, v29, vcc_lo
	v_add_co_u32 v22, vcc_lo, 0x1000, v22
	v_add_co_ci_u32_e64 v23, null, 0, v23, vcc_lo
	s_clause 0x1
	global_load_dwordx4 v[54:57], v[28:29], off
	global_load_dwordx4 v[58:61], v[28:29], off offset:16
	v_add_co_u32 v24, vcc_lo, v24, 64
	v_add_co_ci_u32_e64 v25, null, 0, v25, vcc_lo
	v_add_co_u32 v26, vcc_lo, v26, 1
	v_add_co_ci_u32_e64 v27, null, 0, v27, vcc_lo
	;; [unrolled: 2-line block ×3, first 2 shown]
	v_cmp_eq_u64_e32 vcc_lo, 0, v[26:27]
	s_or_b32 s7, vcc_lo, s7
	s_waitcnt vmcnt(1)
	v_fmac_f32_e32 v32, v50, v54
	v_fmac_f32_e32 v31, 0, v54
	v_fmac_f32_e32 v34, v46, v54
	v_fmac_f32_e32 v33, 0, v54
	v_fmac_f32_e32 v37, v42, v54
	v_fmac_f32_e32 v35, 0, v54
	v_fmac_f32_e32 v7, v38, v54
	v_fmac_f32_e32 v36, 0, v54
	v_fmac_f32_e32 v32, 0x80000000, v55
	v_fmac_f32_e32 v31, v50, v55
	v_fmac_f32_e32 v34, 0x80000000, v55
	v_fmac_f32_e32 v33, v46, v55
	v_fmac_f32_e32 v37, 0x80000000, v55
	v_fmac_f32_e32 v35, v42, v55
	v_fmac_f32_e32 v7, 0x80000000, v55
	v_fmac_f32_e32 v36, v38, v55
	v_fmac_f32_e32 v32, v51, v56
	v_fmac_f32_e32 v31, 0, v56
	v_fmac_f32_e32 v34, v47, v56
	v_fmac_f32_e32 v33, 0, v56
	v_fmac_f32_e32 v37, v43, v56
	v_fmac_f32_e32 v35, 0, v56
	v_fmac_f32_e32 v7, v39, v56
	v_fmac_f32_e32 v36, 0, v56
	v_fmac_f32_e32 v32, 0x80000000, v57
	v_fmac_f32_e32 v31, v51, v57
	v_fmac_f32_e32 v34, 0x80000000, v57
	v_fmac_f32_e32 v33, v47, v57
	v_fmac_f32_e32 v37, 0x80000000, v57
	v_fmac_f32_e32 v35, v43, v57
	v_fmac_f32_e32 v7, 0x80000000, v57
	v_fmac_f32_e32 v36, v39, v57
	s_waitcnt vmcnt(0)
	v_fmac_f32_e32 v32, v52, v58
	v_fmac_f32_e32 v31, 0, v58
	;; [unrolled: 1-line block ×32, first 2 shown]
	s_andn2_b32 exec_lo, exec_lo, s7
	s_cbranch_execnz .LBB134_17
; %bb.18:
	s_or_b32 exec_lo, exec_lo, s7
.LBB134_19:
	s_or_b32 exec_lo, exec_lo, s1
	s_mov_b32 s1, exec_lo
	v_cmpx_lt_u64_e32 0xbf, v[0:1]
	s_cbranch_execz .LBB134_23
; %bb.20:
	v_lshlrev_b64 v[0:1], 3, v[24:25]
	s_mov_b32 s7, 0
	v_add_co_u32 v0, vcc_lo, s12, v0
	v_add_co_ci_u32_e64 v1, null, s13, v1, vcc_lo
	v_add_co_u32 v26, vcc_lo, 0x400, v0
	v_add_co_ci_u32_e64 v27, null, 0, v1, vcc_lo
.LBB134_21:                             ; =>This Inner Loop Header: Depth=1
	s_clause 0x3
	global_load_dwordx2 v[28:29], v[26:27], off offset:-1024
	global_load_dwordx2 v[98:99], v[26:27], off offset:-512
	global_load_dwordx2 v[100:101], v[26:27], off
	global_load_dwordx2 v[102:103], v[26:27], off offset:512
	s_clause 0x3
	global_load_dwordx4 v[38:41], v[22:23], off offset:48
	global_load_dwordx4 v[42:45], v[22:23], off offset:32
	;; [unrolled: 1-line block ×3, first 2 shown]
	global_load_dwordx4 v[50:53], v[22:23], off
	v_add_co_u32 v0, vcc_lo, 0x1000, v22
	v_add_co_ci_u32_e64 v1, null, 0, v23, vcc_lo
	v_add_co_u32 v78, vcc_lo, 0x2000, v22
	v_add_co_ci_u32_e64 v79, null, 0, v23, vcc_lo
	;; [unrolled: 2-line block ×3, first 2 shown]
	s_clause 0xb
	global_load_dwordx4 v[54:57], v[0:1], off offset:48
	global_load_dwordx4 v[58:61], v[0:1], off offset:32
	global_load_dwordx4 v[62:65], v[0:1], off
	global_load_dwordx4 v[66:69], v[0:1], off offset:16
	global_load_dwordx4 v[0:3], v[78:79], off offset:48
	global_load_dwordx4 v[70:73], v[78:79], off offset:32
	global_load_dwordx4 v[74:77], v[78:79], off
	global_load_dwordx4 v[78:81], v[78:79], off offset:16
	;; [unrolled: 4-line block ×3, first 2 shown]
	s_waitcnt vmcnt(19)
	v_sub_co_u32 v28, vcc_lo, v28, v4
	v_sub_co_ci_u32_e64 v29, null, v29, v5, vcc_lo
	s_waitcnt vmcnt(18)
	v_sub_co_u32 v98, vcc_lo, v98, v4
	v_sub_co_ci_u32_e64 v99, null, v99, v5, vcc_lo
	;; [unrolled: 3-line block ×3, first 2 shown]
	s_waitcnt vmcnt(16)
	v_sub_co_u32 v102, vcc_lo, v102, v4
	v_lshlrev_b64 v[28:29], 5, v[28:29]
	v_sub_co_ci_u32_e64 v103, null, v103, v5, vcc_lo
	v_lshlrev_b64 v[98:99], 5, v[98:99]
	v_lshlrev_b64 v[100:101], 5, v[100:101]
	v_lshlrev_b64 v[102:103], 5, v[102:103]
	v_add_co_u32 v28, vcc_lo, s2, v28
	v_add_co_ci_u32_e64 v29, null, s3, v29, vcc_lo
	v_add_co_u32 v110, vcc_lo, s2, v98
	v_add_co_ci_u32_e64 v111, null, s3, v99, vcc_lo
	;; [unrolled: 2-line block ×4, first 2 shown]
	s_clause 0x4
	global_load_dwordx4 v[98:101], v[28:29], off
	global_load_dwordx4 v[102:105], v[28:29], off offset:16
	global_load_dwordx4 v[106:109], v[110:111], off
	global_load_dwordx4 v[110:113], v[110:111], off offset:16
	global_load_dwordx4 v[114:117], v[118:119], off
	v_add_co_u32 v24, vcc_lo, 0x100, v24
	v_add_co_ci_u32_e64 v25, null, 0, v25, vcc_lo
	v_add_co_u32 v26, vcc_lo, 0x800, v26
	v_add_co_ci_u32_e64 v27, null, 0, v27, vcc_lo
	;; [unrolled: 2-line block ×3, first 2 shown]
	v_cmp_ge_i64_e32 vcc_lo, v[24:25], v[16:17]
	s_or_b32 s7, vcc_lo, s7
	s_waitcnt vmcnt(4)
	v_fmac_f32_e32 v32, v50, v98
	v_fmac_f32_e32 v31, 0, v98
	;; [unrolled: 1-line block ×32, first 2 shown]
	global_load_dwordx4 v[98:101], v[118:119], off offset:16
	s_waitcnt vmcnt(4)
	v_fmac_f32_e32 v31, 0, v102
	v_fmac_f32_e32 v32, v52, v102
	;; [unrolled: 1-line block ×16, first 2 shown]
	s_clause 0x1
	global_load_dwordx4 v[50:53], v[120:121], off
	global_load_dwordx4 v[118:121], v[120:121], off offset:16
	v_fmac_f32_e32 v37, 0x80000000, v103
	v_fmac_f32_e32 v36, v40, v103
	v_fmac_f32_e32 v7, 0x80000000, v103
	v_fmac_f32_e32 v33, 0, v104
	v_fmac_f32_e32 v34, v49, v104
	v_fmac_f32_e32 v35, 0, v104
	v_fmac_f32_e32 v37, v45, v104
	v_fmac_f32_e32 v36, 0, v104
	v_fmac_f32_e32 v7, v41, v104
	v_fmac_f32_e32 v33, v49, v105
	v_fmac_f32_e32 v35, v45, v105
	v_fmac_f32_e32 v32, 0x80000000, v105
	v_fmac_f32_e32 v36, v41, v105
	v_fmac_f32_e32 v34, 0x80000000, v105
	v_fmac_f32_e32 v37, 0x80000000, v105
	v_fmac_f32_e32 v7, 0x80000000, v105
	s_waitcnt vmcnt(5)
	v_fmac_f32_e32 v32, v62, v106
	v_fmac_f32_e32 v31, 0, v106
	v_fmac_f32_e32 v34, v66, v106
	v_fmac_f32_e32 v33, 0, v106
	v_fmac_f32_e32 v37, v58, v106
	v_fmac_f32_e32 v35, 0, v106
	v_fmac_f32_e32 v7, v54, v106
	v_fmac_f32_e32 v36, 0, v106
	v_fmac_f32_e32 v32, 0x80000000, v107
	v_fmac_f32_e32 v31, v62, v107
	v_fmac_f32_e32 v34, 0x80000000, v107
	v_fmac_f32_e32 v33, v66, v107
	v_fmac_f32_e32 v37, 0x80000000, v107
	v_fmac_f32_e32 v35, v58, v107
	v_fmac_f32_e32 v7, 0x80000000, v107
	v_fmac_f32_e32 v36, v54, v107
	v_fmac_f32_e32 v32, v63, v108
	v_fmac_f32_e32 v31, 0, v108
	v_fmac_f32_e32 v34, v67, v108
	v_fmac_f32_e32 v33, 0, v108
	v_fmac_f32_e32 v37, v59, v108
	v_fmac_f32_e32 v35, 0, v108
	v_fmac_f32_e32 v7, v55, v108
	v_fmac_f32_e32 v36, 0, v108
	v_fmac_f32_e32 v32, 0x80000000, v109
	v_fmac_f32_e32 v31, v63, v109
	v_fmac_f32_e32 v34, 0x80000000, v109
	v_fmac_f32_e32 v33, v67, v109
	v_fmac_f32_e32 v37, 0x80000000, v109
	v_fmac_f32_e32 v35, v59, v109
	v_fmac_f32_e32 v7, 0x80000000, v109
	v_fmac_f32_e32 v36, v55, v109
	s_waitcnt vmcnt(4)
	v_fmac_f32_e32 v31, 0, v110
	v_fmac_f32_e32 v32, v64, v110
	v_fmac_f32_e32 v33, 0, v110
	v_fmac_f32_e32 v34, v68, v110
	v_fmac_f32_e32 v35, 0, v110
	v_fmac_f32_e32 v37, v60, v110
	v_fmac_f32_e32 v36, 0, v110
	v_fmac_f32_e32 v7, v56, v110
	v_fmac_f32_e32 v31, v64, v111
	v_fmac_f32_e32 v32, 0x80000000, v111
	v_fmac_f32_e32 v33, v68, v111
	v_fmac_f32_e32 v34, 0x80000000, v111
	v_fmac_f32_e32 v35, v60, v111
	v_fmac_f32_e32 v37, 0x80000000, v111
	v_fmac_f32_e32 v36, v56, v111
	v_fmac_f32_e32 v7, 0x80000000, v111
	;; [unrolled: 33-line block ×6, first 2 shown]
	v_fmac_f32_e32 v32, v93, v120
	v_fmac_f32_e32 v31, 0, v120
	;; [unrolled: 1-line block ×16, first 2 shown]
	s_andn2_b32 exec_lo, exec_lo, s7
	s_cbranch_execnz .LBB134_21
; %bb.22:
	s_or_b32 exec_lo, exec_lo, s7
.LBB134_23:
	s_or_b32 exec_lo, exec_lo, s1
.LBB134_24:
	s_or_b32 exec_lo, exec_lo, s6
	s_cbranch_execz .LBB134_26
	s_branch .LBB134_37
.LBB134_25:
                                        ; implicit-def: $vgpr31
                                        ; implicit-def: $vgpr32
                                        ; implicit-def: $vgpr33
                                        ; implicit-def: $vgpr34
                                        ; implicit-def: $vgpr35
                                        ; implicit-def: $vgpr37
                                        ; implicit-def: $vgpr36
                                        ; implicit-def: $vgpr7
.LBB134_26:
	v_mov_b32_e32 v31, 0
	v_mov_b32_e32 v32, 0
	;; [unrolled: 1-line block ×8, first 2 shown]
	s_and_saveexec_b32 s1, s0
	s_cbranch_execz .LBB134_36
; %bb.27:
	v_or_b32_e32 v0, 64, v30
	v_not_b32_e32 v3, v20
	v_not_b32_e32 v2, v21
	v_mov_b32_e32 v7, 0
	v_sub_co_u32 v0, vcc_lo, v0, v4
	v_sub_co_ci_u32_e64 v1, null, 0, v5, vcc_lo
	v_mov_b32_e32 v36, v7
	v_add_co_u32 v0, vcc_lo, v0, v20
	v_add_co_ci_u32_e64 v1, null, v1, v21, vcc_lo
	v_sub_co_u32 v6, vcc_lo, v4, v30
	v_subrev_co_ci_u32_e64 v20, null, 0, v5, vcc_lo
	v_cmp_gt_i64_e64 s0, v[0:1], v[16:17]
	v_add_co_u32 v3, vcc_lo, v6, v3
	v_add_co_ci_u32_e64 v2, null, v20, v2, vcc_lo
	v_mov_b32_e32 v37, v7
	v_cndmask_b32_e64 v0, v16, v0, s0
	v_cndmask_b32_e64 v1, v17, v1, s0
	v_mov_b32_e32 v35, v7
	v_mov_b32_e32 v34, v7
	;; [unrolled: 1-line block ×3, first 2 shown]
	v_add_co_u32 v0, vcc_lo, v3, v0
	v_add_co_ci_u32_e64 v1, null, v2, v1, vcc_lo
	v_mov_b32_e32 v32, v7
	v_and_b32_e32 v6, 0xc0, v0
	v_mov_b32_e32 v31, v7
	s_mov_b32 s0, exec_lo
	v_cmpx_ne_u64_e32 0xc0, v[6:7]
	s_cbranch_execz .LBB134_31
; %bb.28:
	v_lshrrev_b32_e32 v2, 6, v0
	v_mov_b32_e32 v31, 0
	v_mov_b32_e32 v32, 0
	;; [unrolled: 1-line block ×4, first 2 shown]
	v_add_nc_u32_e32 v6, 1, v2
	v_lshlrev_b64 v[2:3], 3, v[14:15]
	v_mov_b32_e32 v35, 0
	v_mov_b32_e32 v37, 0
	;; [unrolled: 1-line block ×3, first 2 shown]
	v_and_b32_e32 v6, 3, v6
	v_mov_b32_e32 v7, 0
	v_add_co_u32 v2, vcc_lo, s12, v2
	v_add_co_ci_u32_e64 v3, null, s13, v3, vcc_lo
	v_sub_co_u32 v20, s6, 0, v6
	v_sub_co_ci_u32_e64 v21, null, 0, 0, s6
	s_mov_b32 s6, 0
.LBB134_29:                             ; =>This Inner Loop Header: Depth=1
	global_load_dwordx2 v[38:39], v[2:3], off
	s_clause 0x1
	global_load_dwordx4 v[22:25], v[18:19], off offset:16
	global_load_dwordx4 v[26:29], v[18:19], off
	s_waitcnt vmcnt(2)
	v_sub_co_u32 v38, vcc_lo, v38, v4
	v_sub_co_ci_u32_e64 v39, null, v39, v5, vcc_lo
	v_lshlrev_b64 v[38:39], 5, v[38:39]
	v_add_co_u32 v42, vcc_lo, s2, v38
	v_add_co_ci_u32_e64 v43, null, s3, v39, vcc_lo
	s_clause 0x1
	global_load_dwordx4 v[38:41], v[42:43], off
	global_load_dwordx4 v[42:45], v[42:43], off offset:16
	s_clause 0x1
	global_load_dwordx4 v[46:49], v[18:19], off offset:32
	global_load_dwordx4 v[50:53], v[18:19], off offset:48
	v_add_co_u32 v18, vcc_lo, 0x1000, v18
	v_add_co_ci_u32_e64 v19, null, 0, v19, vcc_lo
	v_add_co_u32 v14, vcc_lo, v14, 64
	v_add_co_ci_u32_e64 v15, null, 0, v15, vcc_lo
	;; [unrolled: 2-line block ×4, first 2 shown]
	v_cmp_eq_u64_e32 vcc_lo, 0, v[20:21]
	s_or_b32 s6, vcc_lo, s6
	s_waitcnt vmcnt(3)
	v_fmac_f32_e32 v32, v26, v38
	v_fmac_f32_e32 v31, 0, v38
	v_fmac_f32_e32 v34, v27, v38
	v_fmac_f32_e32 v33, 0, v38
	v_fmac_f32_e32 v37, v28, v38
	v_fmac_f32_e32 v35, 0, v38
	v_fmac_f32_e32 v7, v29, v38
	v_fmac_f32_e32 v36, 0, v38
	v_fmac_f32_e32 v32, 0x80000000, v39
	v_fmac_f32_e32 v31, v26, v39
	v_fmac_f32_e32 v34, 0x80000000, v39
	v_fmac_f32_e32 v33, v27, v39
	v_fmac_f32_e32 v37, 0x80000000, v39
	v_fmac_f32_e32 v35, v28, v39
	v_fmac_f32_e32 v7, 0x80000000, v39
	v_fmac_f32_e32 v36, v29, v39
	v_fmac_f32_e32 v32, v22, v40
	v_fmac_f32_e32 v31, 0, v40
	v_fmac_f32_e32 v34, v23, v40
	v_fmac_f32_e32 v33, 0, v40
	v_fmac_f32_e32 v37, v24, v40
	v_fmac_f32_e32 v35, 0, v40
	v_fmac_f32_e32 v7, v25, v40
	v_fmac_f32_e32 v36, 0, v40
	v_fmac_f32_e32 v32, 0x80000000, v41
	v_fmac_f32_e32 v31, v22, v41
	v_fmac_f32_e32 v34, 0x80000000, v41
	v_fmac_f32_e32 v33, v23, v41
	v_fmac_f32_e32 v37, 0x80000000, v41
	v_fmac_f32_e32 v35, v24, v41
	v_fmac_f32_e32 v7, 0x80000000, v41
	v_fmac_f32_e32 v36, v25, v41
	s_waitcnt vmcnt(1)
	v_fmac_f32_e32 v32, v46, v42
	v_fmac_f32_e32 v31, 0, v42
	;; [unrolled: 1-line block ×16, first 2 shown]
	s_waitcnt vmcnt(0)
	v_fmac_f32_e32 v32, v50, v44
	v_fmac_f32_e32 v31, 0, v44
	;; [unrolled: 1-line block ×16, first 2 shown]
	s_andn2_b32 exec_lo, exec_lo, s6
	s_cbranch_execnz .LBB134_29
; %bb.30:
	s_or_b32 exec_lo, exec_lo, s6
.LBB134_31:
	s_or_b32 exec_lo, exec_lo, s0
	s_mov_b32 s0, exec_lo
	v_cmpx_lt_u64_e32 0xbf, v[0:1]
	s_cbranch_execz .LBB134_35
; %bb.32:
	v_lshlrev_b64 v[0:1], 3, v[14:15]
	s_mov_b32 s6, 0
	v_add_co_u32 v0, vcc_lo, s12, v0
	v_add_co_ci_u32_e64 v1, null, s13, v1, vcc_lo
	v_add_co_u32 v0, vcc_lo, 0x400, v0
	v_add_co_ci_u32_e64 v1, null, 0, v1, vcc_lo
.LBB134_33:                             ; =>This Inner Loop Header: Depth=1
	s_clause 0x3
	global_load_dwordx2 v[2:3], v[0:1], off offset:-1024
	global_load_dwordx2 v[28:29], v[0:1], off offset:-512
	global_load_dwordx2 v[86:87], v[0:1], off
	global_load_dwordx2 v[88:89], v[0:1], off offset:512
	s_clause 0x3
	global_load_dwordx4 v[20:23], v[18:19], off offset:48
	global_load_dwordx4 v[24:27], v[18:19], off offset:32
	;; [unrolled: 1-line block ×3, first 2 shown]
	global_load_dwordx4 v[42:45], v[18:19], off
	v_add_co_u32 v58, vcc_lo, 0x1000, v18
	v_add_co_ci_u32_e64 v59, null, 0, v19, vcc_lo
	v_add_co_u32 v74, vcc_lo, 0x2000, v18
	v_add_co_ci_u32_e64 v75, null, 0, v19, vcc_lo
	;; [unrolled: 2-line block ×3, first 2 shown]
	s_clause 0x9
	global_load_dwordx4 v[46:49], v[58:59], off offset:48
	global_load_dwordx4 v[50:53], v[58:59], off offset:32
	global_load_dwordx4 v[54:57], v[58:59], off
	global_load_dwordx4 v[58:61], v[58:59], off offset:16
	global_load_dwordx4 v[62:65], v[74:75], off offset:48
	;; [unrolled: 1-line block ×3, first 2 shown]
	global_load_dwordx4 v[70:73], v[74:75], off
	global_load_dwordx4 v[74:77], v[74:75], off offset:16
	global_load_dwordx4 v[78:81], v[98:99], off
	global_load_dwordx4 v[82:85], v[98:99], off offset:16
	s_waitcnt vmcnt(17)
	v_sub_co_u32 v2, vcc_lo, v2, v4
	v_sub_co_ci_u32_e64 v3, null, v3, v5, vcc_lo
	s_waitcnt vmcnt(16)
	v_sub_co_u32 v28, vcc_lo, v28, v4
	v_sub_co_ci_u32_e64 v29, null, v29, v5, vcc_lo
	;; [unrolled: 3-line block ×3, first 2 shown]
	s_waitcnt vmcnt(14)
	v_sub_co_u32 v88, vcc_lo, v88, v4
	v_lshlrev_b64 v[2:3], 5, v[2:3]
	v_sub_co_ci_u32_e64 v89, null, v89, v5, vcc_lo
	v_lshlrev_b64 v[28:29], 5, v[28:29]
	v_lshlrev_b64 v[86:87], 5, v[86:87]
	;; [unrolled: 1-line block ×3, first 2 shown]
	v_add_co_u32 v2, vcc_lo, s2, v2
	v_add_co_ci_u32_e64 v3, null, s3, v3, vcc_lo
	v_add_co_u32 v28, vcc_lo, s2, v28
	v_add_co_ci_u32_e64 v29, null, s3, v29, vcc_lo
	;; [unrolled: 2-line block ×4, first 2 shown]
	s_clause 0x1
	global_load_dwordx4 v[86:89], v[2:3], off
	global_load_dwordx4 v[90:93], v[2:3], off offset:16
	v_add_co_u32 v14, vcc_lo, 0x100, v14
	v_add_co_ci_u32_e64 v15, null, 0, v15, vcc_lo
	v_add_co_u32 v0, vcc_lo, 0x800, v0
	v_add_co_ci_u32_e64 v1, null, 0, v1, vcc_lo
	;; [unrolled: 2-line block ×3, first 2 shown]
	v_cmp_ge_i64_e32 vcc_lo, v[14:15], v[16:17]
	s_or_b32 s6, vcc_lo, s6
	s_waitcnt vmcnt(1)
	v_fmac_f32_e32 v31, 0, v86
	v_fmac_f32_e32 v33, 0, v86
	;; [unrolled: 1-line block ×28, first 2 shown]
	global_load_dwordx4 v[38:41], v[28:29], off
	v_fmac_f32_e32 v32, 0x80000000, v89
	v_fmac_f32_e32 v34, 0x80000000, v89
	;; [unrolled: 1-line block ×4, first 2 shown]
	global_load_dwordx4 v[86:89], v[28:29], off offset:16
	s_waitcnt vmcnt(2)
	v_fmac_f32_e32 v31, 0, v90
	v_fmac_f32_e32 v33, 0, v90
	v_fmac_f32_e32 v35, 0, v90
	v_fmac_f32_e32 v36, 0, v90
	global_load_dwordx4 v[42:45], v[98:99], off offset:32
	v_fmac_f32_e32 v32, v24, v90
	v_fmac_f32_e32 v34, v25, v90
	;; [unrolled: 1-line block ×8, first 2 shown]
	s_clause 0x1
	global_load_dwordx4 v[24:27], v[94:95], off
	global_load_dwordx4 v[94:97], v[94:95], off offset:16
	v_fmac_f32_e32 v32, 0x80000000, v91
	v_fmac_f32_e32 v34, 0x80000000, v91
	v_fmac_f32_e32 v37, 0x80000000, v91
	v_fmac_f32_e32 v7, 0x80000000, v91
	v_fmac_f32_e32 v31, 0, v92
	v_fmac_f32_e32 v33, 0, v92
	v_fmac_f32_e32 v35, 0, v92
	v_fmac_f32_e32 v36, 0, v92
	v_fmac_f32_e32 v32, v20, v92
	v_fmac_f32_e32 v34, v21, v92
	v_fmac_f32_e32 v37, v22, v92
	v_fmac_f32_e32 v7, v23, v92
	v_fmac_f32_e32 v31, v20, v93
	v_fmac_f32_e32 v33, v21, v93
	v_fmac_f32_e32 v35, v22, v93
	v_fmac_f32_e32 v36, v23, v93
	global_load_dwordx4 v[20:23], v[100:101], off
	v_fmac_f32_e32 v32, 0x80000000, v93
	v_fmac_f32_e32 v34, 0x80000000, v93
	;; [unrolled: 1-line block ×4, first 2 shown]
	global_load_dwordx4 v[90:93], v[100:101], off offset:16
	global_load_dwordx4 v[98:101], v[98:99], off offset:48
	s_waitcnt vmcnt(7)
	v_fmac_f32_e32 v32, v54, v38
	v_fmac_f32_e32 v31, 0, v38
	v_fmac_f32_e32 v34, v55, v38
	v_fmac_f32_e32 v33, 0, v38
	v_fmac_f32_e32 v37, v56, v38
	v_fmac_f32_e32 v35, 0, v38
	v_fmac_f32_e32 v36, 0, v38
	v_fmac_f32_e32 v7, v57, v38
	v_fmac_f32_e32 v31, v54, v39
	v_fmac_f32_e32 v33, v55, v39
	v_fmac_f32_e32 v35, v56, v39
	v_fmac_f32_e32 v32, 0x80000000, v39
	v_fmac_f32_e32 v36, v57, v39
	v_fmac_f32_e32 v34, 0x80000000, v39
	v_fmac_f32_e32 v37, 0x80000000, v39
	v_fmac_f32_e32 v7, 0x80000000, v39
	v_fmac_f32_e32 v32, v58, v40
	v_fmac_f32_e32 v31, 0, v40
	v_fmac_f32_e32 v34, v59, v40
	v_fmac_f32_e32 v33, 0, v40
	v_fmac_f32_e32 v37, v60, v40
	v_fmac_f32_e32 v35, 0, v40
	v_fmac_f32_e32 v36, 0, v40
	v_fmac_f32_e32 v7, v61, v40
	v_fmac_f32_e32 v31, v58, v41
	v_fmac_f32_e32 v33, v59, v41
	v_fmac_f32_e32 v35, v60, v41
	v_fmac_f32_e32 v32, 0x80000000, v41
	v_fmac_f32_e32 v36, v61, v41
	v_fmac_f32_e32 v34, 0x80000000, v41
	v_fmac_f32_e32 v37, 0x80000000, v41
	v_fmac_f32_e32 v7, 0x80000000, v41
	s_waitcnt vmcnt(6)
	v_fmac_f32_e32 v32, v50, v86
	v_fmac_f32_e32 v31, 0, v86
	v_fmac_f32_e32 v34, v51, v86
	v_fmac_f32_e32 v33, 0, v86
	v_fmac_f32_e32 v37, v52, v86
	v_fmac_f32_e32 v35, 0, v86
	v_fmac_f32_e32 v36, 0, v86
	v_fmac_f32_e32 v7, v53, v86
	v_fmac_f32_e32 v31, v50, v87
	v_fmac_f32_e32 v33, v51, v87
	v_fmac_f32_e32 v35, v52, v87
	v_fmac_f32_e32 v32, 0x80000000, v87
	v_fmac_f32_e32 v36, v53, v87
	v_fmac_f32_e32 v34, 0x80000000, v87
	v_fmac_f32_e32 v37, 0x80000000, v87
	v_fmac_f32_e32 v7, 0x80000000, v87
	v_fmac_f32_e32 v32, v46, v88
	v_fmac_f32_e32 v31, 0, v88
	v_fmac_f32_e32 v34, v47, v88
	v_fmac_f32_e32 v33, 0, v88
	v_fmac_f32_e32 v37, v48, v88
	v_fmac_f32_e32 v35, 0, v88
	v_fmac_f32_e32 v36, 0, v88
	v_fmac_f32_e32 v7, v49, v88
	v_fmac_f32_e32 v31, v46, v89
	v_fmac_f32_e32 v33, v47, v89
	v_fmac_f32_e32 v35, v48, v89
	v_fmac_f32_e32 v32, 0x80000000, v89
	v_fmac_f32_e32 v36, v49, v89
	v_fmac_f32_e32 v34, 0x80000000, v89
	v_fmac_f32_e32 v37, 0x80000000, v89
	v_fmac_f32_e32 v7, 0x80000000, v89
	s_waitcnt vmcnt(4)
	v_fmac_f32_e32 v32, v70, v24
	v_fmac_f32_e32 v31, 0, v24
	v_fmac_f32_e32 v34, v71, v24
	v_fmac_f32_e32 v33, 0, v24
	v_fmac_f32_e32 v37, v72, v24
	v_fmac_f32_e32 v35, 0, v24
	v_fmac_f32_e32 v36, 0, v24
	v_fmac_f32_e32 v7, v73, v24
	v_fmac_f32_e32 v31, v70, v25
	v_fmac_f32_e32 v33, v71, v25
	v_fmac_f32_e32 v35, v72, v25
	v_fmac_f32_e32 v32, 0x80000000, v25
	v_fmac_f32_e32 v36, v73, v25
	v_fmac_f32_e32 v34, 0x80000000, v25
	v_fmac_f32_e32 v37, 0x80000000, v25
	v_fmac_f32_e32 v7, 0x80000000, v25
	v_fmac_f32_e32 v32, v74, v26
	v_fmac_f32_e32 v31, 0, v26
	v_fmac_f32_e32 v34, v75, v26
	v_fmac_f32_e32 v33, 0, v26
	v_fmac_f32_e32 v37, v76, v26
	v_fmac_f32_e32 v35, 0, v26
	v_fmac_f32_e32 v36, 0, v26
	v_fmac_f32_e32 v7, v77, v26
	v_fmac_f32_e32 v31, v74, v27
	v_fmac_f32_e32 v33, v75, v27
	v_fmac_f32_e32 v35, v76, v27
	v_fmac_f32_e32 v32, 0x80000000, v27
	v_fmac_f32_e32 v36, v77, v27
	v_fmac_f32_e32 v34, 0x80000000, v27
	v_fmac_f32_e32 v37, 0x80000000, v27
	v_fmac_f32_e32 v7, 0x80000000, v27
	s_waitcnt vmcnt(3)
	v_fmac_f32_e32 v32, v66, v94
	v_fmac_f32_e32 v31, 0, v94
	v_fmac_f32_e32 v34, v67, v94
	v_fmac_f32_e32 v33, 0, v94
	v_fmac_f32_e32 v37, v68, v94
	v_fmac_f32_e32 v35, 0, v94
	v_fmac_f32_e32 v7, v69, v94
	v_fmac_f32_e32 v36, 0, v94
	v_fmac_f32_e32 v32, 0x80000000, v95
	v_fmac_f32_e32 v31, v66, v95
	v_fmac_f32_e32 v34, 0x80000000, v95
	v_fmac_f32_e32 v33, v67, v95
	v_fmac_f32_e32 v37, 0x80000000, v95
	v_fmac_f32_e32 v35, v68, v95
	v_fmac_f32_e32 v7, 0x80000000, v95
	v_fmac_f32_e32 v36, v69, v95
	v_fmac_f32_e32 v32, v62, v96
	v_fmac_f32_e32 v31, 0, v96
	v_fmac_f32_e32 v34, v63, v96
	v_fmac_f32_e32 v33, 0, v96
	v_fmac_f32_e32 v37, v64, v96
	v_fmac_f32_e32 v35, 0, v96
	v_fmac_f32_e32 v7, v65, v96
	v_fmac_f32_e32 v36, 0, v96
	v_fmac_f32_e32 v32, 0x80000000, v97
	v_fmac_f32_e32 v31, v62, v97
	v_fmac_f32_e32 v34, 0x80000000, v97
	v_fmac_f32_e32 v33, v63, v97
	v_fmac_f32_e32 v37, 0x80000000, v97
	v_fmac_f32_e32 v35, v64, v97
	v_fmac_f32_e32 v7, 0x80000000, v97
	v_fmac_f32_e32 v36, v65, v97
	s_waitcnt vmcnt(2)
	v_fmac_f32_e32 v32, v78, v20
	v_fmac_f32_e32 v31, 0, v20
	v_fmac_f32_e32 v34, v79, v20
	v_fmac_f32_e32 v33, 0, v20
	v_fmac_f32_e32 v37, v80, v20
	v_fmac_f32_e32 v35, 0, v20
	v_fmac_f32_e32 v7, v81, v20
	v_fmac_f32_e32 v36, 0, v20
	v_fmac_f32_e32 v32, 0x80000000, v21
	v_fmac_f32_e32 v31, v78, v21
	v_fmac_f32_e32 v34, 0x80000000, v21
	v_fmac_f32_e32 v33, v79, v21
	v_fmac_f32_e32 v37, 0x80000000, v21
	v_fmac_f32_e32 v35, v80, v21
	v_fmac_f32_e32 v7, 0x80000000, v21
	v_fmac_f32_e32 v36, v81, v21
	v_fmac_f32_e32 v32, v82, v22
	v_fmac_f32_e32 v31, 0, v22
	v_fmac_f32_e32 v34, v83, v22
	v_fmac_f32_e32 v33, 0, v22
	v_fmac_f32_e32 v37, v84, v22
	v_fmac_f32_e32 v35, 0, v22
	v_fmac_f32_e32 v7, v85, v22
	v_fmac_f32_e32 v36, 0, v22
	v_fmac_f32_e32 v32, 0x80000000, v23
	v_fmac_f32_e32 v31, v82, v23
	v_fmac_f32_e32 v34, 0x80000000, v23
	v_fmac_f32_e32 v33, v83, v23
	v_fmac_f32_e32 v37, 0x80000000, v23
	v_fmac_f32_e32 v35, v84, v23
	v_fmac_f32_e32 v7, 0x80000000, v23
	v_fmac_f32_e32 v36, v85, v23
	s_waitcnt vmcnt(1)
	v_fmac_f32_e32 v32, v42, v90
	v_fmac_f32_e32 v31, 0, v90
	;; [unrolled: 1-line block ×16, first 2 shown]
	s_waitcnt vmcnt(0)
	v_fmac_f32_e32 v32, v98, v92
	v_fmac_f32_e32 v31, 0, v92
	;; [unrolled: 1-line block ×16, first 2 shown]
	s_andn2_b32 exec_lo, exec_lo, s6
	s_cbranch_execnz .LBB134_33
; %bb.34:
	s_or_b32 exec_lo, exec_lo, s6
.LBB134_35:
	s_or_b32 exec_lo, exec_lo, s0
.LBB134_36:
	s_or_b32 exec_lo, exec_lo, s1
.LBB134_37:
	v_mbcnt_lo_u32_b32 v0, -1, 0
	v_or_b32_e32 v1, 32, v0
	v_xor_b32_e32 v16, 16, v0
	v_xor_b32_e32 v23, 8, v0
	v_cmp_gt_i32_e32 vcc_lo, 32, v1
	v_cndmask_b32_e32 v1, v0, v1, vcc_lo
	v_cmp_gt_i32_e32 vcc_lo, 32, v16
	v_lshlrev_b32_e32 v1, 2, v1
	v_cndmask_b32_e32 v16, v0, v16, vcc_lo
	v_cmp_gt_i32_e32 vcc_lo, 32, v23
	ds_bpermute_b32 v2, v1, v32
	ds_bpermute_b32 v3, v1, v31
	;; [unrolled: 1-line block ×8, first 2 shown]
	v_lshlrev_b32_e32 v16, 2, v16
	v_cndmask_b32_e32 v23, v0, v23, vcc_lo
	v_lshlrev_b32_e32 v23, 2, v23
	s_waitcnt lgkmcnt(7)
	v_add_f32_e32 v2, v32, v2
	s_waitcnt lgkmcnt(6)
	v_add_f32_e32 v3, v31, v3
	;; [unrolled: 2-line block ×8, first 2 shown]
	ds_bpermute_b32 v15, v16, v2
	ds_bpermute_b32 v17, v16, v3
	;; [unrolled: 1-line block ×8, first 2 shown]
	s_waitcnt lgkmcnt(7)
	v_add_f32_e32 v2, v2, v15
	s_waitcnt lgkmcnt(6)
	v_add_f32_e32 v3, v3, v17
	;; [unrolled: 2-line block ×8, first 2 shown]
	ds_bpermute_b32 v15, v23, v2
	ds_bpermute_b32 v16, v23, v3
	;; [unrolled: 1-line block ×8, first 2 shown]
	v_xor_b32_e32 v23, 4, v0
	v_cmp_gt_i32_e32 vcc_lo, 32, v23
	v_cndmask_b32_e32 v23, v0, v23, vcc_lo
	s_waitcnt lgkmcnt(7)
	v_add_f32_e32 v2, v2, v15
	s_waitcnt lgkmcnt(6)
	v_add_f32_e32 v3, v3, v16
	;; [unrolled: 2-line block ×3, first 2 shown]
	v_lshlrev_b32_e32 v23, 2, v23
	s_waitcnt lgkmcnt(4)
	v_add_f32_e32 v5, v5, v18
	s_waitcnt lgkmcnt(3)
	v_add_f32_e32 v6, v6, v19
	;; [unrolled: 2-line block ×5, first 2 shown]
	ds_bpermute_b32 v15, v23, v2
	ds_bpermute_b32 v16, v23, v3
	;; [unrolled: 1-line block ×8, first 2 shown]
	v_xor_b32_e32 v23, 2, v0
	v_cmp_gt_i32_e32 vcc_lo, 32, v23
	v_cndmask_b32_e32 v23, v0, v23, vcc_lo
	s_waitcnt lgkmcnt(7)
	v_add_f32_e32 v2, v2, v15
	s_waitcnt lgkmcnt(6)
	v_add_f32_e32 v3, v3, v16
	;; [unrolled: 2-line block ×3, first 2 shown]
	v_lshlrev_b32_e32 v23, 2, v23
	s_waitcnt lgkmcnt(4)
	v_add_f32_e32 v5, v5, v18
	s_waitcnt lgkmcnt(3)
	v_add_f32_e32 v6, v6, v19
	;; [unrolled: 2-line block ×5, first 2 shown]
	ds_bpermute_b32 v1, v23, v2
	ds_bpermute_b32 v16, v23, v3
	;; [unrolled: 1-line block ×8, first 2 shown]
	v_xor_b32_e32 v23, 1, v0
	v_cmp_gt_i32_e32 vcc_lo, 32, v23
	v_cndmask_b32_e32 v0, v0, v23, vcc_lo
	v_cmp_eq_u32_e32 vcc_lo, 63, v30
	v_lshlrev_b32_e32 v23, 2, v0
	s_waitcnt lgkmcnt(7)
	v_add_f32_e32 v0, v2, v1
	s_waitcnt lgkmcnt(6)
	v_add_f32_e32 v1, v3, v16
	;; [unrolled: 2-line block ×8, first 2 shown]
	ds_bpermute_b32 v14, v23, v0
	ds_bpermute_b32 v15, v23, v1
	;; [unrolled: 1-line block ×8, first 2 shown]
	s_and_b32 exec_lo, exec_lo, vcc_lo
	s_cbranch_execz .LBB134_8
; %bb.38:
	s_load_dwordx2 s[2:3], s[4:5], 0x58
	s_waitcnt lgkmcnt(0)
	v_add_f32_e32 v14, v0, v14
	v_add_f32_e32 v0, v1, v15
	;; [unrolled: 1-line block ×8, first 2 shown]
	v_mul_f32_e64 v4, v0, -v11
	v_mul_f32_e32 v5, v10, v0
	v_mul_f32_e64 v6, v1, -v11
	v_mul_f32_e32 v7, v10, v1
	;; [unrolled: 2-line block ×4, first 2 shown]
	v_cmp_eq_f32_e32 vcc_lo, 0, v8
	v_cmp_eq_f32_e64 s0, 0, v9
	v_lshlrev_b64 v[12:13], 5, v[12:13]
	v_fmac_f32_e32 v4, v10, v14
	v_fmac_f32_e32 v5, v11, v14
	;; [unrolled: 1-line block ×8, first 2 shown]
	s_and_b32 s0, vcc_lo, s0
	s_and_saveexec_b32 s1, s0
	s_xor_b32 s0, exec_lo, s1
	s_cbranch_execz .LBB134_40
; %bb.39:
	v_add_co_u32 v8, vcc_lo, s2, v12
	v_add_co_ci_u32_e64 v9, null, s3, v13, vcc_lo
                                        ; implicit-def: $vgpr12_vgpr13
	global_store_dwordx4 v[8:9], v[4:7], off
	global_store_dwordx4 v[8:9], v[0:3], off offset:16
                                        ; implicit-def: $vgpr8_vgpr9
                                        ; implicit-def: $vgpr4
                                        ; implicit-def: $vgpr0
.LBB134_40:
	s_andn2_saveexec_b32 s0, s0
	s_cbranch_execz .LBB134_8
; %bb.41:
	v_add_co_u32 v18, vcc_lo, s2, v12
	v_add_co_ci_u32_e64 v19, null, s3, v13, vcc_lo
	s_clause 0x1
	global_load_dwordx4 v[10:13], v[18:19], off
	global_load_dwordx4 v[14:17], v[18:19], off offset:16
	s_waitcnt vmcnt(1)
	v_fmac_f32_e32 v4, v8, v10
	v_fmac_f32_e32 v5, v9, v10
	;; [unrolled: 1-line block ×4, first 2 shown]
	s_waitcnt vmcnt(0)
	v_fmac_f32_e32 v0, v8, v14
	v_fmac_f32_e32 v1, v9, v14
	;; [unrolled: 1-line block ×4, first 2 shown]
	v_fma_f32 v4, -v9, v11, v4
	v_fmac_f32_e32 v5, v8, v11
	v_fma_f32 v6, -v9, v13, v6
	v_fmac_f32_e32 v7, v8, v13
	;; [unrolled: 2-line block ×4, first 2 shown]
	global_store_dwordx4 v[18:19], v[4:7], off
	global_store_dwordx4 v[18:19], v[0:3], off offset:16
	s_endpgm
	.section	.rodata,"a",@progbits
	.p2align	6, 0x0
	.amdhsa_kernel _ZN9rocsparseL18bsrxmvn_4x4_kernelILj128ELj64E21rocsparse_complex_numIfEllfS2_S2_EEvT3_20rocsparse_direction_NS_24const_host_device_scalarIT1_EES3_PKS3_PKT2_SC_S9_PKT4_PKT5_S7_PT6_21rocsparse_index_base_b
		.amdhsa_group_segment_fixed_size 0
		.amdhsa_private_segment_fixed_size 0
		.amdhsa_kernarg_size 104
		.amdhsa_user_sgpr_count 6
		.amdhsa_user_sgpr_private_segment_buffer 1
		.amdhsa_user_sgpr_dispatch_ptr 0
		.amdhsa_user_sgpr_queue_ptr 0
		.amdhsa_user_sgpr_kernarg_segment_ptr 1
		.amdhsa_user_sgpr_dispatch_id 0
		.amdhsa_user_sgpr_flat_scratch_init 0
		.amdhsa_user_sgpr_private_segment_size 0
		.amdhsa_wavefront_size32 1
		.amdhsa_uses_dynamic_stack 0
		.amdhsa_system_sgpr_private_segment_wavefront_offset 0
		.amdhsa_system_sgpr_workgroup_id_x 1
		.amdhsa_system_sgpr_workgroup_id_y 0
		.amdhsa_system_sgpr_workgroup_id_z 0
		.amdhsa_system_sgpr_workgroup_info 0
		.amdhsa_system_vgpr_workitem_id 0
		.amdhsa_next_free_vgpr 122
		.amdhsa_next_free_sgpr 16
		.amdhsa_reserve_vcc 1
		.amdhsa_reserve_flat_scratch 0
		.amdhsa_float_round_mode_32 0
		.amdhsa_float_round_mode_16_64 0
		.amdhsa_float_denorm_mode_32 3
		.amdhsa_float_denorm_mode_16_64 3
		.amdhsa_dx10_clamp 1
		.amdhsa_ieee_mode 1
		.amdhsa_fp16_overflow 0
		.amdhsa_workgroup_processor_mode 1
		.amdhsa_memory_ordered 1
		.amdhsa_forward_progress 1
		.amdhsa_shared_vgpr_count 0
		.amdhsa_exception_fp_ieee_invalid_op 0
		.amdhsa_exception_fp_denorm_src 0
		.amdhsa_exception_fp_ieee_div_zero 0
		.amdhsa_exception_fp_ieee_overflow 0
		.amdhsa_exception_fp_ieee_underflow 0
		.amdhsa_exception_fp_ieee_inexact 0
		.amdhsa_exception_int_div_zero 0
	.end_amdhsa_kernel
	.section	.text._ZN9rocsparseL18bsrxmvn_4x4_kernelILj128ELj64E21rocsparse_complex_numIfEllfS2_S2_EEvT3_20rocsparse_direction_NS_24const_host_device_scalarIT1_EES3_PKS3_PKT2_SC_S9_PKT4_PKT5_S7_PT6_21rocsparse_index_base_b,"axG",@progbits,_ZN9rocsparseL18bsrxmvn_4x4_kernelILj128ELj64E21rocsparse_complex_numIfEllfS2_S2_EEvT3_20rocsparse_direction_NS_24const_host_device_scalarIT1_EES3_PKS3_PKT2_SC_S9_PKT4_PKT5_S7_PT6_21rocsparse_index_base_b,comdat
.Lfunc_end134:
	.size	_ZN9rocsparseL18bsrxmvn_4x4_kernelILj128ELj64E21rocsparse_complex_numIfEllfS2_S2_EEvT3_20rocsparse_direction_NS_24const_host_device_scalarIT1_EES3_PKS3_PKT2_SC_S9_PKT4_PKT5_S7_PT6_21rocsparse_index_base_b, .Lfunc_end134-_ZN9rocsparseL18bsrxmvn_4x4_kernelILj128ELj64E21rocsparse_complex_numIfEllfS2_S2_EEvT3_20rocsparse_direction_NS_24const_host_device_scalarIT1_EES3_PKS3_PKT2_SC_S9_PKT4_PKT5_S7_PT6_21rocsparse_index_base_b
                                        ; -- End function
	.set _ZN9rocsparseL18bsrxmvn_4x4_kernelILj128ELj64E21rocsparse_complex_numIfEllfS2_S2_EEvT3_20rocsparse_direction_NS_24const_host_device_scalarIT1_EES3_PKS3_PKT2_SC_S9_PKT4_PKT5_S7_PT6_21rocsparse_index_base_b.num_vgpr, 122
	.set _ZN9rocsparseL18bsrxmvn_4x4_kernelILj128ELj64E21rocsparse_complex_numIfEllfS2_S2_EEvT3_20rocsparse_direction_NS_24const_host_device_scalarIT1_EES3_PKS3_PKT2_SC_S9_PKT4_PKT5_S7_PT6_21rocsparse_index_base_b.num_agpr, 0
	.set _ZN9rocsparseL18bsrxmvn_4x4_kernelILj128ELj64E21rocsparse_complex_numIfEllfS2_S2_EEvT3_20rocsparse_direction_NS_24const_host_device_scalarIT1_EES3_PKS3_PKT2_SC_S9_PKT4_PKT5_S7_PT6_21rocsparse_index_base_b.numbered_sgpr, 16
	.set _ZN9rocsparseL18bsrxmvn_4x4_kernelILj128ELj64E21rocsparse_complex_numIfEllfS2_S2_EEvT3_20rocsparse_direction_NS_24const_host_device_scalarIT1_EES3_PKS3_PKT2_SC_S9_PKT4_PKT5_S7_PT6_21rocsparse_index_base_b.num_named_barrier, 0
	.set _ZN9rocsparseL18bsrxmvn_4x4_kernelILj128ELj64E21rocsparse_complex_numIfEllfS2_S2_EEvT3_20rocsparse_direction_NS_24const_host_device_scalarIT1_EES3_PKS3_PKT2_SC_S9_PKT4_PKT5_S7_PT6_21rocsparse_index_base_b.private_seg_size, 0
	.set _ZN9rocsparseL18bsrxmvn_4x4_kernelILj128ELj64E21rocsparse_complex_numIfEllfS2_S2_EEvT3_20rocsparse_direction_NS_24const_host_device_scalarIT1_EES3_PKS3_PKT2_SC_S9_PKT4_PKT5_S7_PT6_21rocsparse_index_base_b.uses_vcc, 1
	.set _ZN9rocsparseL18bsrxmvn_4x4_kernelILj128ELj64E21rocsparse_complex_numIfEllfS2_S2_EEvT3_20rocsparse_direction_NS_24const_host_device_scalarIT1_EES3_PKS3_PKT2_SC_S9_PKT4_PKT5_S7_PT6_21rocsparse_index_base_b.uses_flat_scratch, 0
	.set _ZN9rocsparseL18bsrxmvn_4x4_kernelILj128ELj64E21rocsparse_complex_numIfEllfS2_S2_EEvT3_20rocsparse_direction_NS_24const_host_device_scalarIT1_EES3_PKS3_PKT2_SC_S9_PKT4_PKT5_S7_PT6_21rocsparse_index_base_b.has_dyn_sized_stack, 0
	.set _ZN9rocsparseL18bsrxmvn_4x4_kernelILj128ELj64E21rocsparse_complex_numIfEllfS2_S2_EEvT3_20rocsparse_direction_NS_24const_host_device_scalarIT1_EES3_PKS3_PKT2_SC_S9_PKT4_PKT5_S7_PT6_21rocsparse_index_base_b.has_recursion, 0
	.set _ZN9rocsparseL18bsrxmvn_4x4_kernelILj128ELj64E21rocsparse_complex_numIfEllfS2_S2_EEvT3_20rocsparse_direction_NS_24const_host_device_scalarIT1_EES3_PKS3_PKT2_SC_S9_PKT4_PKT5_S7_PT6_21rocsparse_index_base_b.has_indirect_call, 0
	.section	.AMDGPU.csdata,"",@progbits
; Kernel info:
; codeLenInByte = 7364
; TotalNumSgprs: 18
; NumVgprs: 122
; ScratchSize: 0
; MemoryBound: 0
; FloatMode: 240
; IeeeMode: 1
; LDSByteSize: 0 bytes/workgroup (compile time only)
; SGPRBlocks: 0
; VGPRBlocks: 15
; NumSGPRsForWavesPerEU: 18
; NumVGPRsForWavesPerEU: 122
; Occupancy: 8
; WaveLimiterHint : 1
; COMPUTE_PGM_RSRC2:SCRATCH_EN: 0
; COMPUTE_PGM_RSRC2:USER_SGPR: 6
; COMPUTE_PGM_RSRC2:TRAP_HANDLER: 0
; COMPUTE_PGM_RSRC2:TGID_X_EN: 1
; COMPUTE_PGM_RSRC2:TGID_Y_EN: 0
; COMPUTE_PGM_RSRC2:TGID_Z_EN: 0
; COMPUTE_PGM_RSRC2:TIDIG_COMP_CNT: 0
	.section	.text._ZN9rocsparseL18bsrxmvn_4x4_kernelILj128ELj4E21rocsparse_complex_numIdEiidS2_S2_EEvT3_20rocsparse_direction_NS_24const_host_device_scalarIT1_EES3_PKS3_PKT2_SC_S9_PKT4_PKT5_S7_PT6_21rocsparse_index_base_b,"axG",@progbits,_ZN9rocsparseL18bsrxmvn_4x4_kernelILj128ELj4E21rocsparse_complex_numIdEiidS2_S2_EEvT3_20rocsparse_direction_NS_24const_host_device_scalarIT1_EES3_PKS3_PKT2_SC_S9_PKT4_PKT5_S7_PT6_21rocsparse_index_base_b,comdat
	.globl	_ZN9rocsparseL18bsrxmvn_4x4_kernelILj128ELj4E21rocsparse_complex_numIdEiidS2_S2_EEvT3_20rocsparse_direction_NS_24const_host_device_scalarIT1_EES3_PKS3_PKT2_SC_S9_PKT4_PKT5_S7_PT6_21rocsparse_index_base_b ; -- Begin function _ZN9rocsparseL18bsrxmvn_4x4_kernelILj128ELj4E21rocsparse_complex_numIdEiidS2_S2_EEvT3_20rocsparse_direction_NS_24const_host_device_scalarIT1_EES3_PKS3_PKT2_SC_S9_PKT4_PKT5_S7_PT6_21rocsparse_index_base_b
	.p2align	8
	.type	_ZN9rocsparseL18bsrxmvn_4x4_kernelILj128ELj4E21rocsparse_complex_numIdEiidS2_S2_EEvT3_20rocsparse_direction_NS_24const_host_device_scalarIT1_EES3_PKS3_PKT2_SC_S9_PKT4_PKT5_S7_PT6_21rocsparse_index_base_b,@function
_ZN9rocsparseL18bsrxmvn_4x4_kernelILj128ELj4E21rocsparse_complex_numIdEiidS2_S2_EEvT3_20rocsparse_direction_NS_24const_host_device_scalarIT1_EES3_PKS3_PKT2_SC_S9_PKT4_PKT5_S7_PT6_21rocsparse_index_base_b: ; @_ZN9rocsparseL18bsrxmvn_4x4_kernelILj128ELj4E21rocsparse_complex_numIdEiidS2_S2_EEvT3_20rocsparse_direction_NS_24const_host_device_scalarIT1_EES3_PKS3_PKT2_SC_S9_PKT4_PKT5_S7_PT6_21rocsparse_index_base_b
; %bb.0:
	s_clause 0x1
	s_load_dwordx2 s[2:3], s[4:5], 0x68
	s_load_dwordx2 s[0:1], s[4:5], 0x8
	s_add_u32 s7, s4, 8
	s_addc_u32 s10, s5, 0
	s_add_u32 s11, s4, 0x50
	s_addc_u32 s12, s5, 0
	s_load_dwordx2 s[8:9], s[4:5], 0x50
	s_waitcnt lgkmcnt(0)
	s_bitcmp1_b32 s3, 0
	s_cselect_b32 s0, s7, s0
	s_cselect_b32 s1, s10, s1
	v_mov_b32_e32 v1, s0
	v_mov_b32_e32 v2, s1
	s_cselect_b32 s0, s11, s8
	s_cselect_b32 s1, s12, s9
	flat_load_dwordx4 v[5:8], v[1:2]
	v_mov_b32_e32 v1, s0
	v_mov_b32_e32 v2, s1
	flat_load_dwordx4 v[1:4], v[1:2]
	s_waitcnt vmcnt(1) lgkmcnt(1)
	v_cmp_eq_f64_e32 vcc_lo, 0, v[5:6]
	v_cmp_eq_f64_e64 s0, 0, v[7:8]
	s_and_b32 s3, vcc_lo, s0
	s_mov_b32 s0, -1
	s_and_saveexec_b32 s1, s3
	s_cbranch_execz .LBB135_2
; %bb.1:
	s_waitcnt vmcnt(0) lgkmcnt(0)
	v_cmp_neq_f64_e32 vcc_lo, 1.0, v[1:2]
	v_cmp_neq_f64_e64 s0, 0, v[3:4]
	s_or_b32 s0, vcc_lo, s0
	s_orn2_b32 s0, s0, exec_lo
.LBB135_2:
	s_or_b32 exec_lo, exec_lo, s1
	s_and_saveexec_b32 s1, s0
	s_cbranch_execz .LBB135_8
; %bb.3:
	s_clause 0x1
	s_load_dwordx2 s[8:9], s[4:5], 0x20
	s_load_dwordx2 s[0:1], s[4:5], 0x0
	v_lshrrev_b32_e32 v9, 2, v0
	v_lshl_or_b32 v97, s6, 5, v9
	s_waitcnt lgkmcnt(0)
	s_cmp_lg_u64 s[8:9], 0
	s_cbranch_scc0 .LBB135_9
; %bb.4:
	s_load_dword s3, s[4:5], 0x18
	s_mov_b32 s6, 0
                                        ; implicit-def: $vgpr9
	s_waitcnt lgkmcnt(0)
	v_cmp_gt_i32_e32 vcc_lo, s3, v97
	s_mov_b32 s3, 0
	s_and_saveexec_b32 s7, vcc_lo
	s_xor_b32 s7, exec_lo, s7
	s_cbranch_execz .LBB135_6
; %bb.5:
	v_ashrrev_i32_e32 v98, 31, v97
	s_mov_b32 s3, exec_lo
	v_lshlrev_b64 v[9:10], 2, v[97:98]
	v_add_co_u32 v9, vcc_lo, s8, v9
	v_add_co_ci_u32_e64 v10, null, s9, v10, vcc_lo
	global_load_dword v9, v[9:10], off
	s_waitcnt vmcnt(0)
	v_subrev_nc_u32_e32 v9, s2, v9
.LBB135_6:
	s_or_b32 exec_lo, exec_lo, s7
	s_and_b32 vcc_lo, exec_lo, s6
	s_cbranch_vccz .LBB135_10
.LBB135_7:
	v_cmp_gt_i32_e32 vcc_lo, s0, v97
	s_andn2_b32 s0, s3, exec_lo
	s_and_b32 s3, vcc_lo, exec_lo
	s_or_b32 s3, s0, s3
	s_and_b32 exec_lo, exec_lo, s3
	s_cbranch_execnz .LBB135_11
.LBB135_8:
	s_endpgm
.LBB135_9:
	s_mov_b32 s3, 0
                                        ; implicit-def: $vgpr9
	s_cbranch_execnz .LBB135_7
.LBB135_10:
	v_mov_b32_e32 v97, v9
	s_and_b32 exec_lo, exec_lo, s3
	s_cbranch_execz .LBB135_8
.LBB135_11:
	s_load_dwordx8 s[8:15], s[4:5], 0x28
	v_ashrrev_i32_e32 v98, 31, v97
	v_and_b32_e32 v0, 3, v0
	s_load_dwordx2 s[6:7], s[4:5], 0x48
	v_lshlrev_b64 v[9:10], 2, v[97:98]
	s_waitcnt lgkmcnt(0)
	v_add_co_u32 v11, vcc_lo, s8, v9
	v_add_co_ci_u32_e64 v12, null, s9, v10, vcc_lo
	v_add_co_u32 v9, vcc_lo, s10, v9
	v_add_co_ci_u32_e64 v10, null, s11, v10, vcc_lo
	global_load_dword v123, v[11:12], off
	v_add_co_u32 v11, vcc_lo, v11, 4
	v_add_co_ci_u32_e64 v12, null, 0, v12, vcc_lo
	s_cmp_eq_u64 s[10:11], 0
	s_cselect_b32 vcc_lo, -1, 0
	s_cmp_eq_u32 s1, 1
	v_cndmask_b32_e32 v10, v10, v12, vcc_lo
	v_cndmask_b32_e32 v9, v9, v11, vcc_lo
	global_load_dword v11, v[9:10], off
	s_waitcnt vmcnt(1)
	v_subrev_nc_u32_e32 v9, s2, v123
	v_add_nc_u32_e32 v98, v9, v0
	v_ashrrev_i32_e32 v99, 31, v98
	s_waitcnt vmcnt(0)
	v_subrev_nc_u32_e32 v122, s2, v11
	v_lshlrev_b64 v[9:10], 7, v[98:99]
	v_cmp_lt_i32_e64 s0, v98, v122
	v_add_co_u32 v100, vcc_lo, s14, v9
	v_add_co_ci_u32_e64 v101, null, s15, v10, vcc_lo
	s_cbranch_scc1 .LBB135_23
; %bb.12:
	v_mov_b32_e32 v102, 0
	v_mov_b32_e32 v106, 0
	;; [unrolled: 1-line block ×16, first 2 shown]
	s_and_saveexec_b32 s3, s0
	s_cbranch_execz .LBB135_22
; %bb.13:
	v_add_nc_u32_e32 v9, v123, v0
	v_not_b32_e32 v10, v123
	v_mov_b32_e32 v104, 0
	v_mov_b32_e32 v110, 0
	;; [unrolled: 1-line block ×3, first 2 shown]
	v_subrev_nc_u32_e32 v9, s2, v9
	v_mov_b32_e32 v112, 0
	v_mov_b32_e32 v116, 0
	;; [unrolled: 1-line block ×4, first 2 shown]
	v_add_nc_u32_e32 v9, 4, v9
	v_mov_b32_e32 v102, 0
	v_mov_b32_e32 v121, v101
	v_mov_b32_e32 v105, 0
	v_mov_b32_e32 v111, 0
	v_max_i32_e32 v9, v9, v122
	v_mov_b32_e32 v115, 0
	v_mov_b32_e32 v113, 0
	;; [unrolled: 1-line block ×4, first 2 shown]
	v_add3_u32 v9, s2, v9, v10
	v_mov_b32_e32 v107, 0
	v_mov_b32_e32 v103, 0
	;; [unrolled: 1-line block ×4, first 2 shown]
	v_sub_nc_u32_e32 v9, v9, v0
	s_mov_b32 s1, exec_lo
	v_and_b32_e32 v10, 12, v9
	v_cmpx_ne_u32_e32 12, v10
	s_cbranch_execz .LBB135_17
; %bb.14:
	v_lshrrev_b32_e32 v10, 2, v9
	v_mov_b32_e32 v102, 0
	v_mov_b32_e32 v106, 0
	;; [unrolled: 1-line block ×4, first 2 shown]
	v_add_nc_u32_e32 v10, 1, v10
	v_mov_b32_e32 v112, 0
	v_mov_b32_e32 v114, 0
	;; [unrolled: 1-line block ×4, first 2 shown]
	v_and_b32_e32 v10, 3, v10
	v_mov_b32_e32 v121, v101
	v_mov_b32_e32 v103, 0
	;; [unrolled: 1-line block ×10, first 2 shown]
	v_sub_nc_u32_e32 v10, 0, v10
	v_mov_b32_e32 v120, v100
	s_mov_b32 s8, 0
.LBB135_15:                             ; =>This Inner Loop Header: Depth=1
	v_ashrrev_i32_e32 v119, 31, v118
	v_add_co_u32 v10, s9, v10, 1
	s_or_b32 s8, s9, s8
	v_lshlrev_b64 v[11:12], 2, v[118:119]
	v_add_nc_u32_e32 v118, 4, v118
	v_add_co_u32 v11, vcc_lo, s12, v11
	v_add_co_ci_u32_e64 v12, null, s13, v12, vcc_lo
	global_load_dword v43, v[11:12], off
	s_clause 0x7
	global_load_dwordx4 v[11:14], v[120:121], off offset:48
	global_load_dwordx4 v[15:18], v[120:121], off offset:32
	;; [unrolled: 1-line block ×3, first 2 shown]
	global_load_dwordx4 v[23:26], v[120:121], off
	global_load_dwordx4 v[27:30], v[120:121], off offset:112
	global_load_dwordx4 v[31:34], v[120:121], off offset:96
	;; [unrolled: 1-line block ×4, first 2 shown]
	s_waitcnt vmcnt(8)
	v_subrev_nc_u32_e32 v43, s2, v43
	v_lshlrev_b32_e32 v43, 2, v43
	v_ashrrev_i32_e32 v44, 31, v43
	v_lshlrev_b64 v[43:44], 4, v[43:44]
	v_add_co_u32 v55, vcc_lo, s6, v43
	v_add_co_ci_u32_e64 v56, null, s7, v44, vcc_lo
	v_add_co_u32 v120, vcc_lo, 0x200, v120
	v_add_co_ci_u32_e64 v121, null, 0, v121, vcc_lo
	s_clause 0x3
	global_load_dwordx4 v[43:46], v[55:56], off
	global_load_dwordx4 v[47:50], v[55:56], off offset:16
	global_load_dwordx4 v[51:54], v[55:56], off offset:32
	;; [unrolled: 1-line block ×3, first 2 shown]
	s_waitcnt vmcnt(3)
	v_fma_f64 v[59:60], v[23:24], v[43:44], v[106:107]
	v_fma_f64 v[61:62], v[43:44], 0, v[102:103]
	v_fma_f64 v[63:64], v[15:16], v[43:44], v[116:117]
	v_fma_f64 v[65:66], v[43:44], 0, v[108:109]
	v_fma_f64 v[67:68], v[39:40], v[43:44], v[114:115]
	v_fma_f64 v[69:70], v[43:44], 0, v[112:113]
	v_fma_f64 v[71:72], v[31:32], v[43:44], v[104:105]
	v_fma_f64 v[43:44], v[43:44], 0, v[110:111]
	v_fma_f64 v[59:60], 0x80000000, v[45:46], v[59:60]
	v_fma_f64 v[23:24], v[23:24], v[45:46], v[61:62]
	v_fma_f64 v[61:62], 0x80000000, v[45:46], v[63:64]
	v_fma_f64 v[15:16], v[15:16], v[45:46], v[65:66]
	v_fma_f64 v[63:64], 0x80000000, v[45:46], v[67:68]
	v_fma_f64 v[39:40], v[39:40], v[45:46], v[69:70]
	v_fma_f64 v[65:66], 0x80000000, v[45:46], v[71:72]
	v_fma_f64 v[31:32], v[31:32], v[45:46], v[43:44]
	s_waitcnt vmcnt(2)
	v_fma_f64 v[43:44], v[25:26], v[47:48], v[59:60]
	v_fma_f64 v[23:24], v[47:48], 0, v[23:24]
	v_fma_f64 v[45:46], v[17:18], v[47:48], v[61:62]
	v_fma_f64 v[15:16], v[47:48], 0, v[15:16]
	v_fma_f64 v[59:60], v[41:42], v[47:48], v[63:64]
	v_fma_f64 v[39:40], v[47:48], 0, v[39:40]
	v_fma_f64 v[61:62], v[33:34], v[47:48], v[65:66]
	v_fma_f64 v[31:32], v[47:48], 0, v[31:32]
	v_fma_f64 v[43:44], 0x80000000, v[49:50], v[43:44]
	v_fma_f64 v[23:24], v[25:26], v[49:50], v[23:24]
	v_fma_f64 v[25:26], 0x80000000, v[49:50], v[45:46]
	v_fma_f64 v[15:16], v[17:18], v[49:50], v[15:16]
	v_fma_f64 v[17:18], 0x80000000, v[49:50], v[59:60]
	v_fma_f64 v[39:40], v[41:42], v[49:50], v[39:40]
	v_fma_f64 v[41:42], 0x80000000, v[49:50], v[61:62]
	v_fma_f64 v[31:32], v[33:34], v[49:50], v[31:32]
	;; [unrolled: 17-line block ×4, first 2 shown]
	s_andn2_b32 exec_lo, exec_lo, s8
	s_cbranch_execnz .LBB135_15
; %bb.16:
	s_or_b32 exec_lo, exec_lo, s8
.LBB135_17:
	s_or_b32 exec_lo, exec_lo, s1
	s_mov_b32 s8, exec_lo
	v_cmpx_lt_u32_e32 11, v9
	s_cbranch_execz .LBB135_21
; %bb.18:
	s_mov_b32 s9, 0
.LBB135_19:                             ; =>This Inner Loop Header: Depth=1
	v_ashrrev_i32_e32 v119, 31, v118
	s_clause 0x18
	global_load_dwordx4 v[17:20], v[120:121], off offset:48
	global_load_dwordx4 v[73:76], v[120:121], off offset:32
	;; [unrolled: 1-line block ×3, first 2 shown]
	global_load_dwordx4 v[81:84], v[120:121], off
	global_load_dwordx4 v[25:28], v[120:121], off offset:112
	global_load_dwordx4 v[93:96], v[120:121], off offset:96
	;; [unrolled: 1-line block ×21, first 2 shown]
	v_lshlrev_b64 v[136:137], 2, v[118:119]
	v_add_nc_u32_e32 v118, 16, v118
	v_add_co_u32 v136, vcc_lo, s12, v136
	v_add_co_ci_u32_e64 v137, null, s13, v137, vcc_lo
	s_clause 0x3
	global_load_dword v99, v[136:137], off
	global_load_dword v119, v[136:137], off offset:16
	global_load_dword v154, v[136:137], off offset:32
	;; [unrolled: 1-line block ×3, first 2 shown]
	s_waitcnt vmcnt(3)
	v_subrev_nc_u32_e32 v99, s2, v99
	s_waitcnt vmcnt(2)
	v_subrev_nc_u32_e32 v119, s2, v119
	v_lshlrev_b32_e32 v136, 2, v99
	v_lshlrev_b32_e32 v138, 2, v119
	s_waitcnt vmcnt(1)
	v_subrev_nc_u32_e32 v99, s2, v154
	v_ashrrev_i32_e32 v137, 31, v136
	v_ashrrev_i32_e32 v139, 31, v138
	v_lshlrev_b64 v[136:137], 4, v[136:137]
	v_lshlrev_b64 v[138:139], 4, v[138:139]
	v_add_co_u32 v148, vcc_lo, s6, v136
	v_add_co_ci_u32_e64 v149, null, s7, v137, vcc_lo
	v_add_co_u32 v150, vcc_lo, s6, v138
	v_add_co_ci_u32_e64 v151, null, s7, v139, vcc_lo
	s_clause 0x2
	global_load_dwordx4 v[136:139], v[148:149], off
	global_load_dwordx4 v[140:143], v[148:149], off offset:16
	global_load_dwordx4 v[144:147], v[148:149], off offset:32
	s_waitcnt vmcnt(2)
	v_fma_f64 v[102:103], v[136:137], 0, v[102:103]
	v_fma_f64 v[112:113], v[136:137], 0, v[112:113]
	;; [unrolled: 1-line block ×11, first 2 shown]
	global_load_dwordx4 v[102:105], v[148:149], off offset:48
	v_fma_f64 v[106:107], 0x80000000, v[138:139], v[106:107]
	v_fma_f64 v[116:117], 0x80000000, v[138:139], v[116:117]
	;; [unrolled: 1-line block ×5, first 2 shown]
	s_waitcnt vmcnt(2)
	v_fma_f64 v[81:82], v[140:141], 0, v[81:82]
	v_fma_f64 v[136:137], v[83:84], v[140:141], v[106:107]
	global_load_dwordx4 v[106:109], v[150:151], off offset:16
	v_fma_f64 v[73:74], v[140:141], 0, v[73:74]
	v_fma_f64 v[116:117], v[75:76], v[140:141], v[116:117]
	;; [unrolled: 1-line block ×4, first 2 shown]
	global_load_dwordx4 v[81:84], v[150:151], off
	v_fma_f64 v[136:137], 0x80000000, v[142:143], v[136:137]
	v_fma_f64 v[148:149], v[75:76], v[142:143], v[73:74]
	;; [unrolled: 1-line block ×4, first 2 shown]
	v_lshlrev_b32_e32 v114, 2, v99
	v_subrev_nc_u32_e32 v99, s2, v156
	global_load_dwordx4 v[110:113], v[120:121], off offset:1568
	v_ashrrev_i32_e32 v115, 31, v114
	v_lshlrev_b64 v[114:115], 4, v[114:115]
	s_waitcnt vmcnt(4)
	v_fma_f64 v[138:139], v[144:145], 0, v[138:139]
	v_add_co_u32 v154, vcc_lo, s6, v114
	v_add_co_ci_u32_e64 v155, null, s7, v115, vcc_lo
	v_fma_f64 v[126:127], v[126:127], v[142:143], v[73:74]
	v_fma_f64 v[73:74], v[140:141], 0, v[93:94]
	;; [unrolled: 1-line block ×4, first 2 shown]
	global_load_dwordx4 v[114:117], v[150:151], off offset:48
	v_fma_f64 v[148:149], v[144:145], 0, v[148:149]
	v_fma_f64 v[136:137], v[21:22], v[144:145], v[136:137]
	;; [unrolled: 1-line block ×6, first 2 shown]
	global_load_dwordx4 v[93:96], v[150:151], off offset:32
	v_fma_f64 v[140:141], v[17:18], v[144:145], v[140:141]
	v_fma_f64 v[150:151], v[45:46], v[144:145], v[152:153]
	;; [unrolled: 1-line block ×4, first 2 shown]
	global_load_dwordx4 v[73:76], v[120:121], off offset:1552
	v_fma_f64 v[45:46], v[45:46], v[146:147], v[126:127]
	v_fma_f64 v[124:125], v[144:145], 0, v[124:125]
	;; [unrolled: 1-line block ×5, first 2 shown]
	v_lshlrev_b32_e32 v150, 2, v99
	v_ashrrev_i32_e32 v151, 31, v150
	v_fma_f64 v[25:26], v[25:26], v[146:147], v[124:125]
	global_load_dwordx4 v[124:127], v[154:155], off
	v_fma_f64 v[142:143], 0x80000000, v[146:147], v[142:143]
	s_waitcnt vmcnt(7)
	v_fma_f64 v[17:18], v[102:103], 0, v[17:18]
	v_fma_f64 v[138:139], v[19:20], v[102:103], v[138:139]
	;; [unrolled: 1-line block ×9, first 2 shown]
	global_load_dwordx4 v[17:20], v[154:155], off offset:16
	v_fma_f64 v[144:145], v[23:24], v[104:105], v[21:22]
	v_fma_f64 v[142:143], v[27:28], v[104:105], v[25:26]
	global_load_dwordx4 v[25:28], v[154:155], off offset:32
	v_fma_f64 v[136:137], 0x80000000, v[104:105], v[136:137]
	v_fma_f64 v[148:149], v[47:48], v[104:105], v[45:46]
	v_fma_f64 v[138:139], 0x80000000, v[104:105], v[138:139]
	v_fma_f64 v[140:141], 0x80000000, v[104:105], v[140:141]
	v_fma_f64 v[152:153], 0x80000000, v[104:105], v[102:103]
	v_lshlrev_b64 v[102:103], 4, v[150:151]
	s_clause 0x1
	global_load_dwordx4 v[21:24], v[120:121], off offset:1536
	global_load_dwordx4 v[45:48], v[120:121], off offset:1632
	v_add_co_u32 v150, vcc_lo, s6, v102
	v_add_co_ci_u32_e64 v151, null, s7, v103, vcc_lo
	global_load_dwordx4 v[102:105], v[154:155], off offset:48
	v_cmp_ge_i32_e32 vcc_lo, v118, v122
	s_waitcnt vmcnt(10)
	v_fma_f64 v[146:147], v[81:82], 0, v[146:147]
	v_fma_f64 v[144:145], v[81:82], 0, v[144:145]
	s_or_b32 s9, vcc_lo, s9
	v_fma_f64 v[136:137], v[49:50], v[81:82], v[136:137]
	v_fma_f64 v[148:149], v[81:82], 0, v[148:149]
	;; [unrolled: 1-line block ×14, first 2 shown]
	global_load_dwordx4 v[81:84], v[120:121], off offset:1600
	v_fma_f64 v[33:34], v[106:107], 0, v[33:34]
	v_fma_f64 v[49:50], v[106:107], 0, v[49:50]
	;; [unrolled: 1-line block ×9, first 2 shown]
	global_load_dwordx4 v[49:52], v[150:151], off
	v_fma_f64 v[106:107], 0x80000000, v[108:109], v[136:137]
	v_fma_f64 v[61:62], v[63:64], v[108:109], v[61:62]
	;; [unrolled: 1-line block ×7, first 2 shown]
	global_load_dwordx4 v[33:36], v[150:151], off offset:16
	s_waitcnt vmcnt(10)
	v_fma_f64 v[59:60], v[13:14], v[93:94], v[106:107]
	v_fma_f64 v[106:107], v[93:94], 0, v[144:145]
	;; [unrolled: 1-line block ×16, first 2 shown]
	s_clause 0x1
	global_load_dwordx4 v[57:60], v[120:121], off offset:1648
	global_load_dwordx4 v[61:64], v[120:121], off offset:1616
	;; [unrolled: 1-line block ×3, first 2 shown]
	v_add_co_u32 v120, s1, 0x800, v120
	v_add_co_ci_u32_e64 v121, null, 0, v121, s1
	v_fma_f64 v[138:139], v[15:16], v[114:115], v[140:141]
	v_fma_f64 v[13:14], v[114:115], 0, v[13:14]
	;; [unrolled: 1-line block ×16, first 2 shown]
	global_load_dwordx4 v[9:12], v[150:151], off offset:48
	s_waitcnt vmcnt(12)
	v_fma_f64 v[39:40], v[85:86], v[124:125], v[114:115]
	v_fma_f64 v[13:14], v[124:125], 0, v[13:14]
	v_fma_f64 v[15:16], v[53:54], v[124:125], v[15:16]
	v_fma_f64 v[106:107], v[124:125], 0, v[106:107]
	v_fma_f64 v[108:109], v[132:133], v[124:125], v[108:109]
	v_fma_f64 v[41:42], v[124:125], 0, v[41:42]
	v_fma_f64 v[43:44], v[89:90], v[124:125], v[43:44]
	v_fma_f64 v[37:38], v[124:125], 0, v[37:38]
	v_fma_f64 v[39:40], 0x80000000, v[126:127], v[39:40]
	v_fma_f64 v[13:14], v[85:86], v[126:127], v[13:14]
	v_fma_f64 v[15:16], 0x80000000, v[126:127], v[15:16]
	v_fma_f64 v[53:54], v[53:54], v[126:127], v[106:107]
	v_fma_f64 v[85:86], 0x80000000, v[126:127], v[108:109]
	v_fma_f64 v[41:42], v[132:133], v[126:127], v[41:42]
	v_fma_f64 v[43:44], 0x80000000, v[126:127], v[43:44]
	v_fma_f64 v[37:38], v[89:90], v[126:127], v[37:38]
	s_waitcnt vmcnt(11)
	v_fma_f64 v[39:40], v[87:88], v[17:18], v[39:40]
	v_fma_f64 v[13:14], v[17:18], 0, v[13:14]
	v_fma_f64 v[15:16], v[55:56], v[17:18], v[15:16]
	v_fma_f64 v[53:54], v[17:18], 0, v[53:54]
	v_fma_f64 v[85:86], v[134:135], v[17:18], v[85:86]
	v_fma_f64 v[41:42], v[17:18], 0, v[41:42]
	v_fma_f64 v[43:44], v[91:92], v[17:18], v[43:44]
	v_fma_f64 v[17:18], v[17:18], 0, v[37:38]
	v_fma_f64 v[37:38], 0x80000000, v[19:20], v[39:40]
	v_fma_f64 v[13:14], v[87:88], v[19:20], v[13:14]
	v_fma_f64 v[15:16], 0x80000000, v[19:20], v[15:16]
	v_fma_f64 v[39:40], v[55:56], v[19:20], v[53:54]
	v_fma_f64 v[53:54], 0x80000000, v[19:20], v[85:86]
	v_fma_f64 v[41:42], v[134:135], v[19:20], v[41:42]
	v_fma_f64 v[43:44], 0x80000000, v[19:20], v[43:44]
	v_fma_f64 v[17:18], v[91:92], v[19:20], v[17:18]
	;; [unrolled: 17-line block ×8, first 2 shown]
	s_andn2_b32 exec_lo, exec_lo, s9
	s_cbranch_execnz .LBB135_19
; %bb.20:
	s_or_b32 exec_lo, exec_lo, s9
.LBB135_21:
	s_or_b32 exec_lo, exec_lo, s8
.LBB135_22:
	s_or_b32 exec_lo, exec_lo, s3
	s_cbranch_execz .LBB135_24
	s_branch .LBB135_35
.LBB135_23:
                                        ; implicit-def: $vgpr102_vgpr103
                                        ; implicit-def: $vgpr106_vgpr107
                                        ; implicit-def: $vgpr108_vgpr109
                                        ; implicit-def: $vgpr116_vgpr117
                                        ; implicit-def: $vgpr112_vgpr113
                                        ; implicit-def: $vgpr114_vgpr115
                                        ; implicit-def: $vgpr110_vgpr111
                                        ; implicit-def: $vgpr104_vgpr105
.LBB135_24:
	v_mov_b32_e32 v102, 0
	v_mov_b32_e32 v106, 0
	;; [unrolled: 1-line block ×16, first 2 shown]
	s_and_saveexec_b32 s1, s0
	s_cbranch_execz .LBB135_34
; %bb.25:
	v_add_nc_u32_e32 v9, v123, v0
	v_not_b32_e32 v10, v123
	v_mov_b32_e32 v104, 0
	v_mov_b32_e32 v110, 0
	;; [unrolled: 1-line block ×3, first 2 shown]
	v_subrev_nc_u32_e32 v9, s2, v9
	v_mov_b32_e32 v112, 0
	v_mov_b32_e32 v116, 0
	;; [unrolled: 1-line block ×4, first 2 shown]
	v_add_nc_u32_e32 v9, 4, v9
	v_mov_b32_e32 v102, 0
	v_mov_b32_e32 v105, 0
	;; [unrolled: 1-line block ×4, first 2 shown]
	v_max_i32_e32 v9, v9, v122
	v_mov_b32_e32 v113, 0
	v_mov_b32_e32 v117, 0
	;; [unrolled: 1-line block ×4, first 2 shown]
	v_add3_u32 v9, s2, v9, v10
	v_mov_b32_e32 v103, 0
	s_mov_b32 s0, exec_lo
	v_sub_nc_u32_e32 v9, v9, v0
	v_and_b32_e32 v10, 12, v9
	v_cmpx_ne_u32_e32 12, v10
	s_cbranch_execz .LBB135_29
; %bb.26:
	v_lshrrev_b32_e32 v10, 2, v9
	v_mov_b32_e32 v102, 0
	v_mov_b32_e32 v106, 0
	v_mov_b32_e32 v108, 0
	v_mov_b32_e32 v116, 0
	v_add_nc_u32_e32 v10, 1, v10
	v_mov_b32_e32 v112, 0
	v_mov_b32_e32 v114, 0
	;; [unrolled: 1-line block ×4, first 2 shown]
	v_and_b32_e32 v10, 3, v10
	v_mov_b32_e32 v103, 0
	v_mov_b32_e32 v107, 0
	;; [unrolled: 1-line block ×8, first 2 shown]
	v_sub_nc_u32_e32 v10, 0, v10
	s_mov_b32 s3, 0
.LBB135_27:                             ; =>This Inner Loop Header: Depth=1
	v_ashrrev_i32_e32 v99, 31, v98
	v_add_co_u32 v10, s8, v10, 1
	s_or_b32 s3, s8, s3
	v_lshlrev_b64 v[11:12], 2, v[98:99]
	v_add_nc_u32_e32 v98, 4, v98
	v_add_co_u32 v11, vcc_lo, s12, v11
	v_add_co_ci_u32_e64 v12, null, s13, v12, vcc_lo
	global_load_dword v19, v[11:12], off
	s_clause 0x1
	global_load_dwordx4 v[11:14], v[100:101], off offset:16
	global_load_dwordx4 v[15:18], v[100:101], off
	s_waitcnt vmcnt(2)
	v_subrev_nc_u32_e32 v19, s2, v19
	v_lshlrev_b32_e32 v19, 2, v19
	v_ashrrev_i32_e32 v20, 31, v19
	v_lshlrev_b64 v[19:20], 4, v[19:20]
	v_add_co_u32 v47, vcc_lo, s6, v19
	v_add_co_ci_u32_e64 v48, null, s7, v20, vcc_lo
	s_clause 0x1
	global_load_dwordx4 v[19:22], v[47:48], off
	global_load_dwordx4 v[23:26], v[47:48], off offset:16
	s_clause 0x3
	global_load_dwordx4 v[27:30], v[100:101], off offset:32
	global_load_dwordx4 v[31:34], v[100:101], off offset:48
	global_load_dwordx4 v[35:38], v[100:101], off offset:80
	global_load_dwordx4 v[39:42], v[100:101], off offset:64
	s_clause 0x1
	global_load_dwordx4 v[43:46], v[47:48], off offset:32
	global_load_dwordx4 v[47:50], v[47:48], off offset:48
	s_clause 0x1
	global_load_dwordx4 v[51:54], v[100:101], off offset:96
	global_load_dwordx4 v[55:58], v[100:101], off offset:112
	v_add_co_u32 v100, vcc_lo, 0x200, v100
	v_add_co_ci_u32_e64 v101, null, 0, v101, vcc_lo
	s_waitcnt vmcnt(9)
	v_fma_f64 v[59:60], v[15:16], v[19:20], v[106:107]
	v_fma_f64 v[61:62], v[19:20], 0, v[102:103]
	;; [unrolled: 1-line block ×16, first 2 shown]
	s_waitcnt vmcnt(7)
	v_fma_f64 v[19:20], v[27:28], v[23:24], v[59:60]
	v_fma_f64 v[15:16], v[23:24], 0, v[15:16]
	;; [unrolled: 1-line block ×4, first 2 shown]
	s_waitcnt vmcnt(6)
	v_fma_f64 v[59:60], v[31:32], v[23:24], v[63:64]
	v_fma_f64 v[11:12], v[23:24], 0, v[11:12]
	v_fma_f64 v[61:62], v[33:34], v[23:24], v[65:66]
	v_fma_f64 v[13:14], v[23:24], 0, v[13:14]
	v_fma_f64 v[19:20], 0x80000000, v[25:26], v[19:20]
	v_fma_f64 v[15:16], v[27:28], v[25:26], v[15:16]
	v_fma_f64 v[21:22], 0x80000000, v[25:26], v[21:22]
	v_fma_f64 v[17:18], v[29:30], v[25:26], v[17:18]
	v_fma_f64 v[23:24], 0x80000000, v[25:26], v[59:60]
	v_fma_f64 v[11:12], v[31:32], v[25:26], v[11:12]
	v_fma_f64 v[27:28], 0x80000000, v[25:26], v[61:62]
	v_fma_f64 v[13:14], v[33:34], v[25:26], v[13:14]
	s_waitcnt vmcnt(3)
	v_fma_f64 v[19:20], v[39:40], v[43:44], v[19:20]
	v_fma_f64 v[15:16], v[43:44], 0, v[15:16]
	;; [unrolled: 1-line block ×16, first 2 shown]
	s_waitcnt vmcnt(1)
	v_fma_f64 v[19:20], v[51:52], v[47:48], v[19:20]
	v_fma_f64 v[15:16], v[47:48], 0, v[15:16]
	;; [unrolled: 1-line block ×4, first 2 shown]
	s_waitcnt vmcnt(0)
	v_fma_f64 v[23:24], v[55:56], v[47:48], v[23:24]
	v_fma_f64 v[11:12], v[47:48], 0, v[11:12]
	;; [unrolled: 1-line block ×12, first 2 shown]
	s_andn2_b32 exec_lo, exec_lo, s3
	s_cbranch_execnz .LBB135_27
; %bb.28:
	s_or_b32 exec_lo, exec_lo, s3
.LBB135_29:
	s_or_b32 exec_lo, exec_lo, s0
	s_mov_b32 s3, exec_lo
	v_cmpx_lt_u32_e32 11, v9
	s_cbranch_execz .LBB135_33
; %bb.30:
	s_mov_b32 s8, 0
.LBB135_31:                             ; =>This Inner Loop Header: Depth=1
	v_ashrrev_i32_e32 v99, 31, v98
	v_lshlrev_b64 v[9:10], 2, v[98:99]
	v_add_nc_u32_e32 v98, 16, v98
	v_add_co_u32 v49, vcc_lo, s12, v9
	v_add_co_ci_u32_e64 v50, null, s13, v10, vcc_lo
	s_clause 0x1
	global_load_dword v51, v[49:50], off
	global_load_dword v52, v[49:50], off offset:16
	s_clause 0x9
	global_load_dwordx4 v[9:12], v[100:101], off offset:48
	global_load_dwordx4 v[13:16], v[100:101], off offset:32
	;; [unrolled: 1-line block ×3, first 2 shown]
	global_load_dwordx4 v[21:24], v[100:101], off
	global_load_dwordx4 v[25:28], v[100:101], off offset:112
	global_load_dwordx4 v[29:32], v[100:101], off offset:96
	;; [unrolled: 1-line block ×6, first 2 shown]
	s_clause 0x1
	global_load_dword v99, v[49:50], off offset:32
	global_load_dword v135, v[49:50], off offset:48
	s_waitcnt vmcnt(13)
	v_subrev_nc_u32_e32 v49, s2, v51
	s_waitcnt vmcnt(12)
	v_subrev_nc_u32_e32 v50, s2, v52
	v_lshlrev_b32_e32 v49, 2, v49
	v_lshlrev_b32_e32 v51, 2, v50
	v_ashrrev_i32_e32 v50, 31, v49
	v_ashrrev_i32_e32 v52, 31, v51
	s_waitcnt vmcnt(1)
	v_subrev_nc_u32_e32 v99, s2, v99
	v_lshlrev_b64 v[49:50], 4, v[49:50]
	v_lshlrev_b64 v[51:52], 4, v[51:52]
	v_add_co_u32 v61, vcc_lo, s6, v49
	v_add_co_ci_u32_e64 v62, null, s7, v50, vcc_lo
	v_add_co_u32 v127, vcc_lo, s6, v51
	v_add_co_ci_u32_e64 v128, null, s7, v52, vcc_lo
	s_clause 0x4
	global_load_dwordx4 v[49:52], v[61:62], off
	global_load_dwordx4 v[53:56], v[61:62], off offset:16
	global_load_dwordx4 v[57:60], v[61:62], off offset:32
	;; [unrolled: 1-line block ×3, first 2 shown]
	global_load_dwordx4 v[65:68], v[127:128], off
	s_clause 0x7
	global_load_dwordx4 v[69:72], v[100:101], off offset:560
	global_load_dwordx4 v[73:76], v[100:101], off offset:544
	;; [unrolled: 1-line block ×9, first 2 shown]
	s_waitcnt vmcnt(13)
	v_fma_f64 v[102:103], v[49:50], 0, v[102:103]
	v_fma_f64 v[108:109], v[49:50], 0, v[108:109]
	;; [unrolled: 1-line block ×16, first 2 shown]
	global_load_dwordx4 v[49:52], v[127:128], off offset:32
	s_clause 0x1
	global_load_dwordx4 v[21:24], v[100:101], off offset:1040
	global_load_dwordx4 v[17:20], v[100:101], off offset:1024
	s_waitcnt vmcnt(15)
	v_fma_f64 v[102:103], v[53:54], 0, v[102:103]
	v_fma_f64 v[108:109], v[53:54], 0, v[108:109]
	;; [unrolled: 1-line block ×9, first 2 shown]
	v_lshlrev_b32_e32 v102, 2, v99
	v_fma_f64 v[108:109], v[15:16], v[55:56], v[108:109]
	v_fma_f64 v[116:117], 0x80000000, v[55:56], v[129:130]
	v_fma_f64 v[112:113], v[9:10], v[55:56], v[112:113]
	v_fma_f64 v[110:111], v[11:12], v[55:56], v[110:111]
	v_ashrrev_i32_e32 v103, 31, v102
	v_fma_f64 v[106:107], 0x80000000, v[55:56], v[106:107]
	v_fma_f64 v[114:115], 0x80000000, v[55:56], v[114:115]
	s_clause 0x1
	global_load_dwordx4 v[13:16], v[100:101], off offset:1136
	global_load_dwordx4 v[9:12], v[100:101], off offset:1120
	v_lshlrev_b64 v[102:103], 4, v[102:103]
	v_subrev_nc_u32_e32 v99, s2, v135
	v_add_co_u32 v133, vcc_lo, s6, v102
	v_add_co_ci_u32_e64 v134, null, s7, v103, vcc_lo
	global_load_dwordx4 v[102:105], v[127:128], off offset:48
	v_fma_f64 v[127:128], 0x80000000, v[55:56], v[53:54]
	s_waitcnt vmcnt(17)
	v_fma_f64 v[129:130], v[57:58], 0, v[131:132]
	global_load_dwordx4 v[53:56], v[133:134], off
	v_fma_f64 v[108:109], v[57:58], 0, v[108:109]
	v_fma_f64 v[116:117], v[37:38], v[57:58], v[116:117]
	;; [unrolled: 1-line block ×14, first 2 shown]
	s_clause 0x1
	global_load_dwordx4 v[37:40], v[100:101], off offset:1104
	global_load_dwordx4 v[33:36], v[100:101], off offset:1088
	v_fma_f64 v[127:128], 0x80000000, v[59:60], v[57:58]
	global_load_dwordx4 v[57:60], v[133:134], off offset:16
	s_waitcnt vmcnt(20)
	v_fma_f64 v[129:130], v[61:62], 0, v[129:130]
	v_fma_f64 v[108:109], v[61:62], 0, v[108:109]
	;; [unrolled: 1-line block ×10, first 2 shown]
	global_load_dwordx4 v[29:32], v[133:134], off offset:32
	v_fma_f64 v[116:117], 0x80000000, v[63:64], v[116:117]
	v_fma_f64 v[112:113], v[25:26], v[63:64], v[112:113]
	;; [unrolled: 1-line block ×5, first 2 shown]
	global_load_dwordx4 v[25:28], v[100:101], off offset:1552
	v_fma_f64 v[127:128], 0x80000000, v[63:64], v[61:62]
	global_load_dwordx4 v[61:64], v[100:101], off offset:1536
	s_waitcnt vmcnt(22)
	v_fma_f64 v[129:130], v[65:66], 0, v[129:130]
	v_fma_f64 v[108:109], v[65:66], 0, v[108:109]
	;; [unrolled: 1-line block ×8, first 2 shown]
	v_lshlrev_b32_e32 v127, 2, v99
	v_fma_f64 v[129:130], v[45:46], v[67:68], v[129:130]
	v_fma_f64 v[108:109], v[47:48], v[67:68], v[108:109]
	global_load_dwordx4 v[45:48], v[133:134], off offset:48
	v_fma_f64 v[116:117], 0x80000000, v[67:68], v[116:117]
	v_ashrrev_i32_e32 v128, 31, v127
	v_fma_f64 v[112:113], v[41:42], v[67:68], v[112:113]
	v_fma_f64 v[110:111], v[43:44], v[67:68], v[110:111]
	;; [unrolled: 1-line block ×4, first 2 shown]
	v_lshlrev_b64 v[127:128], 4, v[127:128]
	v_add_co_u32 v127, vcc_lo, s6, v127
	v_add_co_ci_u32_e64 v128, null, s7, v128, vcc_lo
	v_cmp_ge_i32_e32 vcc_lo, v98, v122
	v_fma_f64 v[65:66], 0x80000000, v[67:68], v[65:66]
	global_load_dwordx4 v[41:44], v[127:128], off
	s_waitcnt vmcnt(15)
	v_fma_f64 v[108:109], v[123:124], 0, v[108:109]
	s_or_b32 s8, vcc_lo, s8
	v_fma_f64 v[67:68], v[73:74], v[123:124], v[116:117]
	v_fma_f64 v[116:117], v[123:124], 0, v[129:130]
	;; [unrolled: 1-line block ×15, first 2 shown]
	s_clause 0x1
	global_load_dwordx4 v[65:68], v[100:101], off offset:1584
	global_load_dwordx4 v[69:72], v[100:101], off offset:1568
	;; [unrolled: 1-line block ×3, first 2 shown]
	s_waitcnt vmcnt(17)
	v_fma_f64 v[123:124], v[89:90], v[49:50], v[123:124]
	v_fma_f64 v[116:117], v[49:50], 0, v[116:117]
	;; [unrolled: 1-line block ×16, first 2 shown]
	s_clause 0x1
	global_load_dwordx4 v[49:52], v[100:101], off offset:1616
	global_load_dwordx4 v[85:88], v[100:101], off offset:1600
	;; [unrolled: 1-line block ×3, first 2 shown]
	s_waitcnt vmcnt(15)
	v_fma_f64 v[110:111], v[81:82], v[102:103], v[110:111]
	v_fma_f64 v[116:117], v[102:103], 0, v[116:117]
	;; [unrolled: 1-line block ×16, first 2 shown]
	s_clause 0x1
	global_load_dwordx4 v[77:80], v[100:101], off offset:1632
	global_load_dwordx4 v[81:84], v[100:101], off offset:1648
	;; [unrolled: 1-line block ×3, first 2 shown]
	v_add_co_u32 v100, s0, 0x800, v100
	v_add_co_ci_u32_e64 v101, null, 0, v101, s0
	s_waitcnt vmcnt(17)
	v_fma_f64 v[104:105], v[17:18], v[53:54], v[125:126]
	v_fma_f64 v[116:117], v[53:54], 0, v[116:117]
	v_fma_f64 v[106:107], v[19:20], v[53:54], v[106:107]
	v_fma_f64 v[125:126], v[53:54], 0, v[129:130]
	v_fma_f64 v[114:115], v[21:22], v[53:54], v[114:115]
	v_fma_f64 v[112:113], v[53:54], 0, v[112:113]
	v_fma_f64 v[123:124], v[23:24], v[53:54], v[123:124]
	v_fma_f64 v[53:54], v[53:54], 0, v[102:103]
	v_fma_f64 v[102:103], 0x80000000, v[55:56], v[104:105]
	v_fma_f64 v[17:18], v[17:18], v[55:56], v[116:117]
	v_fma_f64 v[104:105], 0x80000000, v[55:56], v[106:107]
	v_fma_f64 v[19:20], v[19:20], v[55:56], v[125:126]
	v_fma_f64 v[106:107], 0x80000000, v[55:56], v[114:115]
	v_fma_f64 v[21:22], v[21:22], v[55:56], v[112:113]
	v_fma_f64 v[112:113], 0x80000000, v[55:56], v[123:124]
	v_fma_f64 v[23:24], v[23:24], v[55:56], v[53:54]
	s_waitcnt vmcnt(14)
	v_fma_f64 v[53:54], v[118:119], v[57:58], v[102:103]
	v_fma_f64 v[17:18], v[57:58], 0, v[17:18]
	v_fma_f64 v[55:56], v[120:121], v[57:58], v[104:105]
	v_fma_f64 v[19:20], v[57:58], 0, v[19:20]
	v_fma_f64 v[102:103], v[93:94], v[57:58], v[106:107]
	v_fma_f64 v[21:22], v[57:58], 0, v[21:22]
	v_fma_f64 v[104:105], v[95:96], v[57:58], v[112:113]
	v_fma_f64 v[23:24], v[57:58], 0, v[23:24]
	v_fma_f64 v[53:54], 0x80000000, v[59:60], v[53:54]
	v_fma_f64 v[17:18], v[118:119], v[59:60], v[17:18]
	v_fma_f64 v[55:56], 0x80000000, v[59:60], v[55:56]
	v_fma_f64 v[19:20], v[120:121], v[59:60], v[19:20]
	v_fma_f64 v[57:58], 0x80000000, v[59:60], v[102:103]
	v_fma_f64 v[21:22], v[93:94], v[59:60], v[21:22]
	v_fma_f64 v[93:94], 0x80000000, v[59:60], v[104:105]
	v_fma_f64 v[23:24], v[95:96], v[59:60], v[23:24]
	;; [unrolled: 17-line block ×8, first 2 shown]
	s_andn2_b32 exec_lo, exec_lo, s8
	s_cbranch_execnz .LBB135_31
; %bb.32:
	s_or_b32 exec_lo, exec_lo, s8
.LBB135_33:
	s_or_b32 exec_lo, exec_lo, s3
.LBB135_34:
	s_or_b32 exec_lo, exec_lo, s1
.LBB135_35:
	v_mbcnt_lo_u32_b32 v29, -1, 0
	v_xor_b32_e32 v9, 2, v29
	v_xor_b32_e32 v30, 1, v29
	v_cmp_gt_i32_e32 vcc_lo, 32, v9
	v_cndmask_b32_e32 v9, v29, v9, vcc_lo
	v_cmp_gt_i32_e32 vcc_lo, 32, v30
	v_lshlrev_b32_e32 v23, 2, v9
	v_cndmask_b32_e32 v29, v29, v30, vcc_lo
	v_cmp_eq_u32_e32 vcc_lo, 3, v0
	ds_bpermute_b32 v9, v23, v106
	ds_bpermute_b32 v10, v23, v107
	;; [unrolled: 1-line block ×16, first 2 shown]
	v_lshlrev_b32_e32 v34, 2, v29
	s_waitcnt lgkmcnt(14)
	v_add_f64 v[9:10], v[106:107], v[9:10]
	s_waitcnt lgkmcnt(12)
	v_add_f64 v[27:28], v[102:103], v[11:12]
	s_waitcnt lgkmcnt(10)
	v_add_f64 v[11:12], v[116:117], v[13:14]
	s_waitcnt lgkmcnt(8)
	v_add_f64 v[23:24], v[108:109], v[15:16]
	s_waitcnt lgkmcnt(6)
	v_add_f64 v[13:14], v[114:115], v[17:18]
	s_waitcnt lgkmcnt(4)
	v_add_f64 v[17:18], v[112:113], v[19:20]
	s_waitcnt lgkmcnt(2)
	v_add_f64 v[15:16], v[104:105], v[21:22]
	s_waitcnt lgkmcnt(0)
	v_add_f64 v[19:20], v[110:111], v[25:26]
	ds_bpermute_b32 v21, v34, v9
	ds_bpermute_b32 v22, v34, v10
	;; [unrolled: 1-line block ×16, first 2 shown]
	s_and_b32 exec_lo, exec_lo, vcc_lo
	s_cbranch_execz .LBB135_8
; %bb.36:
	s_waitcnt lgkmcnt(12)
	v_add_f64 v[27:28], v[27:28], v[39:40]
	s_waitcnt lgkmcnt(8)
	v_add_f64 v[23:24], v[23:24], v[37:38]
	s_waitcnt lgkmcnt(4)
	v_add_f64 v[17:18], v[17:18], v[35:36]
	s_waitcnt lgkmcnt(0)
	v_add_f64 v[19:20], v[19:20], v[33:34]
	v_add_f64 v[9:10], v[9:10], v[21:22]
	v_add_f64 v[11:12], v[11:12], v[25:26]
	;; [unrolled: 1-line block ×4, first 2 shown]
	v_cmp_eq_f64_e32 vcc_lo, 0, v[1:2]
	v_cmp_eq_f64_e64 s0, 0, v[3:4]
	s_load_dwordx2 s[2:3], s[4:5], 0x60
	v_mul_f64 v[13:14], v[27:28], -v[7:8]
	v_mul_f64 v[15:16], v[5:6], v[27:28]
	v_mul_f64 v[27:28], v[23:24], -v[7:8]
	v_mul_f64 v[23:24], v[5:6], v[23:24]
	;; [unrolled: 2-line block ×4, first 2 shown]
	s_and_b32 s0, vcc_lo, s0
	v_fma_f64 v[17:18], v[5:6], v[9:10], v[13:14]
	v_fma_f64 v[19:20], v[7:8], v[9:10], v[15:16]
	;; [unrolled: 1-line block ×8, first 2 shown]
	v_lshlrev_b32_e32 v21, 2, v97
	s_and_saveexec_b32 s1, s0
	s_xor_b32 s0, exec_lo, s1
	s_cbranch_execz .LBB135_38
; %bb.37:
	v_ashrrev_i32_e32 v22, 31, v21
	v_lshlrev_b64 v[0:1], 4, v[21:22]
                                        ; implicit-def: $vgpr21
	s_waitcnt lgkmcnt(0)
	v_add_co_u32 v0, vcc_lo, s2, v0
	v_add_co_ci_u32_e64 v1, null, s3, v1, vcc_lo
	global_store_dwordx4 v[0:1], v[17:20], off
	global_store_dwordx4 v[0:1], v[13:16], off offset:16
	global_store_dwordx4 v[0:1], v[9:12], off offset:32
	;; [unrolled: 1-line block ×3, first 2 shown]
                                        ; implicit-def: $vgpr3_vgpr4
                                        ; implicit-def: $vgpr17_vgpr18
                                        ; implicit-def: $vgpr13_vgpr14
                                        ; implicit-def: $vgpr9_vgpr10
                                        ; implicit-def: $vgpr5_vgpr6
.LBB135_38:
	s_andn2_saveexec_b32 s0, s0
	s_cbranch_execz .LBB135_8
; %bb.39:
	v_ashrrev_i32_e32 v22, 31, v21
	v_lshlrev_b64 v[21:22], 4, v[21:22]
	s_waitcnt lgkmcnt(0)
	v_add_co_u32 v37, vcc_lo, s2, v21
	v_add_co_ci_u32_e64 v38, null, s3, v22, vcc_lo
	s_clause 0x3
	global_load_dwordx4 v[21:24], v[37:38], off
	global_load_dwordx4 v[25:28], v[37:38], off offset:16
	global_load_dwordx4 v[29:32], v[37:38], off offset:32
	;; [unrolled: 1-line block ×3, first 2 shown]
	s_waitcnt vmcnt(3)
	v_fma_f64 v[17:18], v[1:2], v[21:22], v[17:18]
	v_fma_f64 v[19:20], v[3:4], v[21:22], v[19:20]
	s_waitcnt vmcnt(2)
	v_fma_f64 v[13:14], v[1:2], v[25:26], v[13:14]
	v_fma_f64 v[15:16], v[3:4], v[25:26], v[15:16]
	;; [unrolled: 3-line block ×4, first 2 shown]
	v_fma_f64 v[5:6], -v[3:4], v[23:24], v[17:18]
	v_fma_f64 v[7:8], v[1:2], v[23:24], v[19:20]
	v_fma_f64 v[9:10], -v[3:4], v[27:28], v[13:14]
	v_fma_f64 v[11:12], v[1:2], v[27:28], v[15:16]
	;; [unrolled: 2-line block ×4, first 2 shown]
	global_store_dwordx4 v[37:38], v[5:8], off
	global_store_dwordx4 v[37:38], v[9:12], off offset:16
	global_store_dwordx4 v[37:38], v[13:16], off offset:32
	;; [unrolled: 1-line block ×3, first 2 shown]
	s_endpgm
	.section	.rodata,"a",@progbits
	.p2align	6, 0x0
	.amdhsa_kernel _ZN9rocsparseL18bsrxmvn_4x4_kernelILj128ELj4E21rocsparse_complex_numIdEiidS2_S2_EEvT3_20rocsparse_direction_NS_24const_host_device_scalarIT1_EES3_PKS3_PKT2_SC_S9_PKT4_PKT5_S7_PT6_21rocsparse_index_base_b
		.amdhsa_group_segment_fixed_size 0
		.amdhsa_private_segment_fixed_size 0
		.amdhsa_kernarg_size 112
		.amdhsa_user_sgpr_count 6
		.amdhsa_user_sgpr_private_segment_buffer 1
		.amdhsa_user_sgpr_dispatch_ptr 0
		.amdhsa_user_sgpr_queue_ptr 0
		.amdhsa_user_sgpr_kernarg_segment_ptr 1
		.amdhsa_user_sgpr_dispatch_id 0
		.amdhsa_user_sgpr_flat_scratch_init 0
		.amdhsa_user_sgpr_private_segment_size 0
		.amdhsa_wavefront_size32 1
		.amdhsa_uses_dynamic_stack 0
		.amdhsa_system_sgpr_private_segment_wavefront_offset 0
		.amdhsa_system_sgpr_workgroup_id_x 1
		.amdhsa_system_sgpr_workgroup_id_y 0
		.amdhsa_system_sgpr_workgroup_id_z 0
		.amdhsa_system_sgpr_workgroup_info 0
		.amdhsa_system_vgpr_workitem_id 0
		.amdhsa_next_free_vgpr 157
		.amdhsa_next_free_sgpr 16
		.amdhsa_reserve_vcc 1
		.amdhsa_reserve_flat_scratch 0
		.amdhsa_float_round_mode_32 0
		.amdhsa_float_round_mode_16_64 0
		.amdhsa_float_denorm_mode_32 3
		.amdhsa_float_denorm_mode_16_64 3
		.amdhsa_dx10_clamp 1
		.amdhsa_ieee_mode 1
		.amdhsa_fp16_overflow 0
		.amdhsa_workgroup_processor_mode 1
		.amdhsa_memory_ordered 1
		.amdhsa_forward_progress 1
		.amdhsa_shared_vgpr_count 0
		.amdhsa_exception_fp_ieee_invalid_op 0
		.amdhsa_exception_fp_denorm_src 0
		.amdhsa_exception_fp_ieee_div_zero 0
		.amdhsa_exception_fp_ieee_overflow 0
		.amdhsa_exception_fp_ieee_underflow 0
		.amdhsa_exception_fp_ieee_inexact 0
		.amdhsa_exception_int_div_zero 0
	.end_amdhsa_kernel
	.section	.text._ZN9rocsparseL18bsrxmvn_4x4_kernelILj128ELj4E21rocsparse_complex_numIdEiidS2_S2_EEvT3_20rocsparse_direction_NS_24const_host_device_scalarIT1_EES3_PKS3_PKT2_SC_S9_PKT4_PKT5_S7_PT6_21rocsparse_index_base_b,"axG",@progbits,_ZN9rocsparseL18bsrxmvn_4x4_kernelILj128ELj4E21rocsparse_complex_numIdEiidS2_S2_EEvT3_20rocsparse_direction_NS_24const_host_device_scalarIT1_EES3_PKS3_PKT2_SC_S9_PKT4_PKT5_S7_PT6_21rocsparse_index_base_b,comdat
.Lfunc_end135:
	.size	_ZN9rocsparseL18bsrxmvn_4x4_kernelILj128ELj4E21rocsparse_complex_numIdEiidS2_S2_EEvT3_20rocsparse_direction_NS_24const_host_device_scalarIT1_EES3_PKS3_PKT2_SC_S9_PKT4_PKT5_S7_PT6_21rocsparse_index_base_b, .Lfunc_end135-_ZN9rocsparseL18bsrxmvn_4x4_kernelILj128ELj4E21rocsparse_complex_numIdEiidS2_S2_EEvT3_20rocsparse_direction_NS_24const_host_device_scalarIT1_EES3_PKS3_PKT2_SC_S9_PKT4_PKT5_S7_PT6_21rocsparse_index_base_b
                                        ; -- End function
	.set _ZN9rocsparseL18bsrxmvn_4x4_kernelILj128ELj4E21rocsparse_complex_numIdEiidS2_S2_EEvT3_20rocsparse_direction_NS_24const_host_device_scalarIT1_EES3_PKS3_PKT2_SC_S9_PKT4_PKT5_S7_PT6_21rocsparse_index_base_b.num_vgpr, 157
	.set _ZN9rocsparseL18bsrxmvn_4x4_kernelILj128ELj4E21rocsparse_complex_numIdEiidS2_S2_EEvT3_20rocsparse_direction_NS_24const_host_device_scalarIT1_EES3_PKS3_PKT2_SC_S9_PKT4_PKT5_S7_PT6_21rocsparse_index_base_b.num_agpr, 0
	.set _ZN9rocsparseL18bsrxmvn_4x4_kernelILj128ELj4E21rocsparse_complex_numIdEiidS2_S2_EEvT3_20rocsparse_direction_NS_24const_host_device_scalarIT1_EES3_PKS3_PKT2_SC_S9_PKT4_PKT5_S7_PT6_21rocsparse_index_base_b.numbered_sgpr, 16
	.set _ZN9rocsparseL18bsrxmvn_4x4_kernelILj128ELj4E21rocsparse_complex_numIdEiidS2_S2_EEvT3_20rocsparse_direction_NS_24const_host_device_scalarIT1_EES3_PKS3_PKT2_SC_S9_PKT4_PKT5_S7_PT6_21rocsparse_index_base_b.num_named_barrier, 0
	.set _ZN9rocsparseL18bsrxmvn_4x4_kernelILj128ELj4E21rocsparse_complex_numIdEiidS2_S2_EEvT3_20rocsparse_direction_NS_24const_host_device_scalarIT1_EES3_PKS3_PKT2_SC_S9_PKT4_PKT5_S7_PT6_21rocsparse_index_base_b.private_seg_size, 0
	.set _ZN9rocsparseL18bsrxmvn_4x4_kernelILj128ELj4E21rocsparse_complex_numIdEiidS2_S2_EEvT3_20rocsparse_direction_NS_24const_host_device_scalarIT1_EES3_PKS3_PKT2_SC_S9_PKT4_PKT5_S7_PT6_21rocsparse_index_base_b.uses_vcc, 1
	.set _ZN9rocsparseL18bsrxmvn_4x4_kernelILj128ELj4E21rocsparse_complex_numIdEiidS2_S2_EEvT3_20rocsparse_direction_NS_24const_host_device_scalarIT1_EES3_PKS3_PKT2_SC_S9_PKT4_PKT5_S7_PT6_21rocsparse_index_base_b.uses_flat_scratch, 0
	.set _ZN9rocsparseL18bsrxmvn_4x4_kernelILj128ELj4E21rocsparse_complex_numIdEiidS2_S2_EEvT3_20rocsparse_direction_NS_24const_host_device_scalarIT1_EES3_PKS3_PKT2_SC_S9_PKT4_PKT5_S7_PT6_21rocsparse_index_base_b.has_dyn_sized_stack, 0
	.set _ZN9rocsparseL18bsrxmvn_4x4_kernelILj128ELj4E21rocsparse_complex_numIdEiidS2_S2_EEvT3_20rocsparse_direction_NS_24const_host_device_scalarIT1_EES3_PKS3_PKT2_SC_S9_PKT4_PKT5_S7_PT6_21rocsparse_index_base_b.has_recursion, 0
	.set _ZN9rocsparseL18bsrxmvn_4x4_kernelILj128ELj4E21rocsparse_complex_numIdEiidS2_S2_EEvT3_20rocsparse_direction_NS_24const_host_device_scalarIT1_EES3_PKS3_PKT2_SC_S9_PKT4_PKT5_S7_PT6_21rocsparse_index_base_b.has_indirect_call, 0
	.section	.AMDGPU.csdata,"",@progbits
; Kernel info:
; codeLenInByte = 9876
; TotalNumSgprs: 18
; NumVgprs: 157
; ScratchSize: 0
; MemoryBound: 0
; FloatMode: 240
; IeeeMode: 1
; LDSByteSize: 0 bytes/workgroup (compile time only)
; SGPRBlocks: 0
; VGPRBlocks: 19
; NumSGPRsForWavesPerEU: 18
; NumVGPRsForWavesPerEU: 157
; Occupancy: 6
; WaveLimiterHint : 1
; COMPUTE_PGM_RSRC2:SCRATCH_EN: 0
; COMPUTE_PGM_RSRC2:USER_SGPR: 6
; COMPUTE_PGM_RSRC2:TRAP_HANDLER: 0
; COMPUTE_PGM_RSRC2:TGID_X_EN: 1
; COMPUTE_PGM_RSRC2:TGID_Y_EN: 0
; COMPUTE_PGM_RSRC2:TGID_Z_EN: 0
; COMPUTE_PGM_RSRC2:TIDIG_COMP_CNT: 0
	.section	.text._ZN9rocsparseL18bsrxmvn_4x4_kernelILj128ELj8E21rocsparse_complex_numIdEiidS2_S2_EEvT3_20rocsparse_direction_NS_24const_host_device_scalarIT1_EES3_PKS3_PKT2_SC_S9_PKT4_PKT5_S7_PT6_21rocsparse_index_base_b,"axG",@progbits,_ZN9rocsparseL18bsrxmvn_4x4_kernelILj128ELj8E21rocsparse_complex_numIdEiidS2_S2_EEvT3_20rocsparse_direction_NS_24const_host_device_scalarIT1_EES3_PKS3_PKT2_SC_S9_PKT4_PKT5_S7_PT6_21rocsparse_index_base_b,comdat
	.globl	_ZN9rocsparseL18bsrxmvn_4x4_kernelILj128ELj8E21rocsparse_complex_numIdEiidS2_S2_EEvT3_20rocsparse_direction_NS_24const_host_device_scalarIT1_EES3_PKS3_PKT2_SC_S9_PKT4_PKT5_S7_PT6_21rocsparse_index_base_b ; -- Begin function _ZN9rocsparseL18bsrxmvn_4x4_kernelILj128ELj8E21rocsparse_complex_numIdEiidS2_S2_EEvT3_20rocsparse_direction_NS_24const_host_device_scalarIT1_EES3_PKS3_PKT2_SC_S9_PKT4_PKT5_S7_PT6_21rocsparse_index_base_b
	.p2align	8
	.type	_ZN9rocsparseL18bsrxmvn_4x4_kernelILj128ELj8E21rocsparse_complex_numIdEiidS2_S2_EEvT3_20rocsparse_direction_NS_24const_host_device_scalarIT1_EES3_PKS3_PKT2_SC_S9_PKT4_PKT5_S7_PT6_21rocsparse_index_base_b,@function
_ZN9rocsparseL18bsrxmvn_4x4_kernelILj128ELj8E21rocsparse_complex_numIdEiidS2_S2_EEvT3_20rocsparse_direction_NS_24const_host_device_scalarIT1_EES3_PKS3_PKT2_SC_S9_PKT4_PKT5_S7_PT6_21rocsparse_index_base_b: ; @_ZN9rocsparseL18bsrxmvn_4x4_kernelILj128ELj8E21rocsparse_complex_numIdEiidS2_S2_EEvT3_20rocsparse_direction_NS_24const_host_device_scalarIT1_EES3_PKS3_PKT2_SC_S9_PKT4_PKT5_S7_PT6_21rocsparse_index_base_b
; %bb.0:
	s_clause 0x1
	s_load_dwordx2 s[2:3], s[4:5], 0x68
	s_load_dwordx2 s[0:1], s[4:5], 0x8
	s_add_u32 s7, s4, 8
	s_addc_u32 s10, s5, 0
	s_add_u32 s11, s4, 0x50
	s_addc_u32 s12, s5, 0
	s_load_dwordx2 s[8:9], s[4:5], 0x50
	s_waitcnt lgkmcnt(0)
	s_bitcmp1_b32 s3, 0
	s_cselect_b32 s0, s7, s0
	s_cselect_b32 s1, s10, s1
	v_mov_b32_e32 v1, s0
	v_mov_b32_e32 v2, s1
	s_cselect_b32 s0, s11, s8
	s_cselect_b32 s1, s12, s9
	flat_load_dwordx4 v[5:8], v[1:2]
	v_mov_b32_e32 v1, s0
	v_mov_b32_e32 v2, s1
	flat_load_dwordx4 v[1:4], v[1:2]
	s_waitcnt vmcnt(1) lgkmcnt(1)
	v_cmp_eq_f64_e32 vcc_lo, 0, v[5:6]
	v_cmp_eq_f64_e64 s0, 0, v[7:8]
	s_and_b32 s3, vcc_lo, s0
	s_mov_b32 s0, -1
	s_and_saveexec_b32 s1, s3
	s_cbranch_execz .LBB136_2
; %bb.1:
	s_waitcnt vmcnt(0) lgkmcnt(0)
	v_cmp_neq_f64_e32 vcc_lo, 1.0, v[1:2]
	v_cmp_neq_f64_e64 s0, 0, v[3:4]
	s_or_b32 s0, vcc_lo, s0
	s_orn2_b32 s0, s0, exec_lo
.LBB136_2:
	s_or_b32 exec_lo, exec_lo, s1
	s_and_saveexec_b32 s1, s0
	s_cbranch_execz .LBB136_8
; %bb.3:
	s_clause 0x1
	s_load_dwordx2 s[8:9], s[4:5], 0x20
	s_load_dwordx2 s[0:1], s[4:5], 0x0
	v_lshrrev_b32_e32 v9, 3, v0
	v_lshl_or_b32 v89, s6, 4, v9
	s_waitcnt lgkmcnt(0)
	s_cmp_lg_u64 s[8:9], 0
	s_cbranch_scc0 .LBB136_9
; %bb.4:
	s_load_dword s3, s[4:5], 0x18
	s_mov_b32 s6, 0
                                        ; implicit-def: $vgpr9
	s_waitcnt lgkmcnt(0)
	v_cmp_gt_i32_e32 vcc_lo, s3, v89
	s_mov_b32 s3, 0
	s_and_saveexec_b32 s7, vcc_lo
	s_xor_b32 s7, exec_lo, s7
	s_cbranch_execz .LBB136_6
; %bb.5:
	v_ashrrev_i32_e32 v90, 31, v89
	s_mov_b32 s3, exec_lo
	v_lshlrev_b64 v[9:10], 2, v[89:90]
	v_add_co_u32 v9, vcc_lo, s8, v9
	v_add_co_ci_u32_e64 v10, null, s9, v10, vcc_lo
	global_load_dword v9, v[9:10], off
	s_waitcnt vmcnt(0)
	v_subrev_nc_u32_e32 v9, s2, v9
.LBB136_6:
	s_or_b32 exec_lo, exec_lo, s7
	s_and_b32 vcc_lo, exec_lo, s6
	s_cbranch_vccz .LBB136_10
.LBB136_7:
	v_cmp_gt_i32_e32 vcc_lo, s0, v89
	s_andn2_b32 s0, s3, exec_lo
	s_and_b32 s3, vcc_lo, exec_lo
	s_or_b32 s3, s0, s3
	s_and_b32 exec_lo, exec_lo, s3
	s_cbranch_execnz .LBB136_11
.LBB136_8:
	s_endpgm
.LBB136_9:
	s_mov_b32 s3, 0
                                        ; implicit-def: $vgpr9
	s_cbranch_execnz .LBB136_7
.LBB136_10:
	v_mov_b32_e32 v89, v9
	s_and_b32 exec_lo, exec_lo, s3
	s_cbranch_execz .LBB136_8
.LBB136_11:
	s_load_dwordx8 s[8:15], s[4:5], 0x28
	v_ashrrev_i32_e32 v90, 31, v89
	v_and_b32_e32 v0, 7, v0
	s_load_dwordx2 s[6:7], s[4:5], 0x48
	v_lshlrev_b64 v[9:10], 2, v[89:90]
	s_waitcnt lgkmcnt(0)
	v_add_co_u32 v11, vcc_lo, s8, v9
	v_add_co_ci_u32_e64 v12, null, s9, v10, vcc_lo
	v_add_co_u32 v9, vcc_lo, s10, v9
	v_add_co_ci_u32_e64 v10, null, s11, v10, vcc_lo
	global_load_dword v117, v[11:12], off
	v_add_co_u32 v11, vcc_lo, v11, 4
	v_add_co_ci_u32_e64 v12, null, 0, v12, vcc_lo
	s_cmp_eq_u64 s[10:11], 0
	s_cselect_b32 vcc_lo, -1, 0
	s_cmp_eq_u32 s1, 1
	v_cndmask_b32_e32 v10, v10, v12, vcc_lo
	v_cndmask_b32_e32 v9, v9, v11, vcc_lo
	global_load_dword v11, v[9:10], off
	s_waitcnt vmcnt(1)
	v_subrev_nc_u32_e32 v9, s2, v117
	v_add_nc_u32_e32 v90, v9, v0
	v_ashrrev_i32_e32 v91, 31, v90
	s_waitcnt vmcnt(0)
	v_subrev_nc_u32_e32 v116, s2, v11
	v_lshlrev_b64 v[9:10], 7, v[90:91]
	v_cmp_lt_i32_e64 s0, v90, v116
	v_add_co_u32 v92, vcc_lo, s14, v9
	v_add_co_ci_u32_e64 v93, null, s15, v10, vcc_lo
	s_cbranch_scc1 .LBB136_23
; %bb.12:
	v_mov_b32_e32 v102, 0
	v_mov_b32_e32 v104, 0
	;; [unrolled: 1-line block ×16, first 2 shown]
	s_and_saveexec_b32 s3, s0
	s_cbranch_execz .LBB136_22
; %bb.13:
	v_add_nc_u32_e32 v9, v117, v0
	v_not_b32_e32 v10, v117
	v_mov_b32_e32 v94, 0
	v_mov_b32_e32 v96, 0
	;; [unrolled: 1-line block ×3, first 2 shown]
	v_subrev_nc_u32_e32 v9, s2, v9
	v_mov_b32_e32 v98, 0
	v_mov_b32_e32 v108, 0
	;; [unrolled: 1-line block ×4, first 2 shown]
	v_add_nc_u32_e32 v9, 8, v9
	v_mov_b32_e32 v102, 0
	v_mov_b32_e32 v113, v93
	;; [unrolled: 1-line block ×4, first 2 shown]
	v_max_i32_e32 v9, v9, v116
	v_mov_b32_e32 v101, 0
	v_mov_b32_e32 v99, 0
	;; [unrolled: 1-line block ×4, first 2 shown]
	v_add3_u32 v9, s2, v9, v10
	v_mov_b32_e32 v105, 0
	v_mov_b32_e32 v103, 0
	;; [unrolled: 1-line block ×4, first 2 shown]
	v_sub_nc_u32_e32 v9, v9, v0
	s_mov_b32 s1, exec_lo
	v_and_b32_e32 v10, 24, v9
	v_cmpx_ne_u32_e32 24, v10
	s_cbranch_execz .LBB136_17
; %bb.14:
	v_lshrrev_b32_e32 v10, 3, v9
	v_mov_b32_e32 v102, 0
	v_mov_b32_e32 v104, 0
	;; [unrolled: 1-line block ×4, first 2 shown]
	v_add_nc_u32_e32 v10, 1, v10
	v_mov_b32_e32 v98, 0
	v_mov_b32_e32 v100, 0
	;; [unrolled: 1-line block ×4, first 2 shown]
	v_and_b32_e32 v10, 3, v10
	v_mov_b32_e32 v113, v93
	v_mov_b32_e32 v103, 0
	;; [unrolled: 1-line block ×10, first 2 shown]
	v_sub_nc_u32_e32 v10, 0, v10
	v_mov_b32_e32 v112, v92
	s_mov_b32 s8, 0
.LBB136_15:                             ; =>This Inner Loop Header: Depth=1
	v_ashrrev_i32_e32 v111, 31, v110
	v_add_co_u32 v10, s9, v10, 1
	s_or_b32 s8, s9, s8
	v_lshlrev_b64 v[11:12], 2, v[110:111]
	v_add_nc_u32_e32 v110, 8, v110
	v_add_co_u32 v11, vcc_lo, s12, v11
	v_add_co_ci_u32_e64 v12, null, s13, v12, vcc_lo
	global_load_dword v43, v[11:12], off
	s_clause 0x7
	global_load_dwordx4 v[11:14], v[112:113], off offset:48
	global_load_dwordx4 v[15:18], v[112:113], off offset:32
	;; [unrolled: 1-line block ×3, first 2 shown]
	global_load_dwordx4 v[23:26], v[112:113], off
	global_load_dwordx4 v[27:30], v[112:113], off offset:112
	global_load_dwordx4 v[31:34], v[112:113], off offset:96
	;; [unrolled: 1-line block ×4, first 2 shown]
	s_waitcnt vmcnt(8)
	v_subrev_nc_u32_e32 v43, s2, v43
	v_lshlrev_b32_e32 v43, 2, v43
	v_ashrrev_i32_e32 v44, 31, v43
	v_lshlrev_b64 v[43:44], 4, v[43:44]
	v_add_co_u32 v55, vcc_lo, s6, v43
	v_add_co_ci_u32_e64 v56, null, s7, v44, vcc_lo
	v_add_co_u32 v112, vcc_lo, 0x400, v112
	v_add_co_ci_u32_e64 v113, null, 0, v113, vcc_lo
	s_clause 0x3
	global_load_dwordx4 v[43:46], v[55:56], off
	global_load_dwordx4 v[47:50], v[55:56], off offset:16
	global_load_dwordx4 v[51:54], v[55:56], off offset:32
	;; [unrolled: 1-line block ×3, first 2 shown]
	s_waitcnt vmcnt(3)
	v_fma_f64 v[59:60], v[23:24], v[43:44], v[104:105]
	v_fma_f64 v[61:62], v[43:44], 0, v[102:103]
	v_fma_f64 v[63:64], v[15:16], v[43:44], v[108:109]
	v_fma_f64 v[65:66], v[43:44], 0, v[106:107]
	v_fma_f64 v[67:68], v[39:40], v[43:44], v[100:101]
	v_fma_f64 v[69:70], v[43:44], 0, v[98:99]
	v_fma_f64 v[71:72], v[31:32], v[43:44], v[94:95]
	v_fma_f64 v[43:44], v[43:44], 0, v[96:97]
	v_fma_f64 v[59:60], 0x80000000, v[45:46], v[59:60]
	v_fma_f64 v[23:24], v[23:24], v[45:46], v[61:62]
	v_fma_f64 v[61:62], 0x80000000, v[45:46], v[63:64]
	v_fma_f64 v[15:16], v[15:16], v[45:46], v[65:66]
	v_fma_f64 v[63:64], 0x80000000, v[45:46], v[67:68]
	v_fma_f64 v[39:40], v[39:40], v[45:46], v[69:70]
	v_fma_f64 v[65:66], 0x80000000, v[45:46], v[71:72]
	v_fma_f64 v[31:32], v[31:32], v[45:46], v[43:44]
	s_waitcnt vmcnt(2)
	v_fma_f64 v[43:44], v[25:26], v[47:48], v[59:60]
	v_fma_f64 v[23:24], v[47:48], 0, v[23:24]
	v_fma_f64 v[45:46], v[17:18], v[47:48], v[61:62]
	v_fma_f64 v[15:16], v[47:48], 0, v[15:16]
	v_fma_f64 v[59:60], v[41:42], v[47:48], v[63:64]
	v_fma_f64 v[39:40], v[47:48], 0, v[39:40]
	v_fma_f64 v[61:62], v[33:34], v[47:48], v[65:66]
	v_fma_f64 v[31:32], v[47:48], 0, v[31:32]
	v_fma_f64 v[43:44], 0x80000000, v[49:50], v[43:44]
	v_fma_f64 v[23:24], v[25:26], v[49:50], v[23:24]
	v_fma_f64 v[25:26], 0x80000000, v[49:50], v[45:46]
	v_fma_f64 v[15:16], v[17:18], v[49:50], v[15:16]
	v_fma_f64 v[17:18], 0x80000000, v[49:50], v[59:60]
	v_fma_f64 v[39:40], v[41:42], v[49:50], v[39:40]
	v_fma_f64 v[41:42], 0x80000000, v[49:50], v[61:62]
	v_fma_f64 v[31:32], v[33:34], v[49:50], v[31:32]
	;; [unrolled: 17-line block ×4, first 2 shown]
	s_andn2_b32 exec_lo, exec_lo, s8
	s_cbranch_execnz .LBB136_15
; %bb.16:
	s_or_b32 exec_lo, exec_lo, s8
.LBB136_17:
	s_or_b32 exec_lo, exec_lo, s1
	s_mov_b32 s8, exec_lo
	v_cmpx_lt_u32_e32 23, v9
	s_cbranch_execz .LBB136_21
; %bb.18:
	s_mov_b32 s9, 0
.LBB136_19:                             ; =>This Inner Loop Header: Depth=1
	v_ashrrev_i32_e32 v111, 31, v110
	v_add_co_u32 v114, vcc_lo, 0x800, v112
	v_add_co_ci_u32_e64 v115, null, 0, v113, vcc_lo
	v_lshlrev_b64 v[142:143], 2, v[110:111]
	s_clause 0x19
	global_load_dwordx4 v[29:32], v[112:113], off offset:48
	global_load_dwordx4 v[45:48], v[112:113], off offset:32
	;; [unrolled: 1-line block ×3, first 2 shown]
	global_load_dwordx4 v[53:56], v[112:113], off
	global_load_dwordx4 v[17:20], v[112:113], off offset:112
	global_load_dwordx4 v[69:72], v[112:113], off offset:96
	;; [unrolled: 1-line block ×14, first 2 shown]
	global_load_dwordx4 v[122:125], v[114:115], off
	global_load_dwordx4 v[85:88], v[114:115], off offset:16
	global_load_dwordx4 v[81:84], v[114:115], off offset:112
	;; [unrolled: 1-line block ×7, first 2 shown]
	v_add_nc_u32_e32 v110, 32, v110
	v_add_co_u32 v112, s1, 0x1000, v112
	v_add_co_u32 v142, vcc_lo, s12, v142
	v_add_co_ci_u32_e64 v143, null, s13, v143, vcc_lo
	v_add_co_ci_u32_e64 v113, null, 0, v113, s1
	s_clause 0x3
	global_load_dword v91, v[142:143], off
	global_load_dword v111, v[142:143], off offset:32
	global_load_dword v152, v[142:143], off offset:64
	;; [unrolled: 1-line block ×3, first 2 shown]
	s_waitcnt vmcnt(3)
	v_subrev_nc_u32_e32 v91, s2, v91
	v_lshlrev_b32_e32 v142, 2, v91
	s_waitcnt vmcnt(2)
	v_subrev_nc_u32_e32 v91, s2, v111
	v_ashrrev_i32_e32 v143, 31, v142
	v_lshlrev_b64 v[142:143], 4, v[142:143]
	v_add_co_u32 v150, vcc_lo, s6, v142
	v_add_co_ci_u32_e64 v151, null, s7, v143, vcc_lo
	s_clause 0x1
	global_load_dwordx4 v[142:145], v[150:151], off
	global_load_dwordx4 v[146:149], v[150:151], off offset:16
	s_waitcnt vmcnt(1)
	v_fma_f64 v[102:103], v[142:143], 0, v[102:103]
	v_fma_f64 v[106:107], v[142:143], 0, v[106:107]
	;; [unrolled: 1-line block ×15, first 2 shown]
	global_load_dwordx4 v[94:97], v[114:115], off offset:1040
	v_fma_f64 v[100:101], 0x80000000, v[144:145], v[100:101]
	s_waitcnt vmcnt(1)
	v_fma_f64 v[53:54], v[146:147], 0, v[53:54]
	v_fma_f64 v[45:46], v[146:147], 0, v[45:46]
	;; [unrolled: 1-line block ×9, first 2 shown]
	v_lshlrev_b32_e32 v53, 2, v91
	v_fma_f64 v[142:143], v[47:48], v[148:149], v[45:46]
	v_fma_f64 v[102:103], 0x80000000, v[148:149], v[102:103]
	;; [unrolled: 1-line block ×4, first 2 shown]
	v_ashrrev_i32_e32 v54, 31, v53
	v_fma_f64 v[146:147], v[71:72], v[148:149], v[69:70]
	v_subrev_nc_u32_e32 v91, s2, v152
	v_lshlrev_b64 v[53:54], 4, v[53:54]
	v_add_co_u32 v108, vcc_lo, s6, v53
	v_add_co_ci_u32_e64 v109, null, s7, v54, vcc_lo
	s_clause 0x1
	global_load_dwordx4 v[45:48], v[150:151], off offset:32
	global_load_dwordx4 v[53:56], v[150:151], off offset:48
	v_fma_f64 v[150:151], 0x80000000, v[148:149], v[100:101]
	v_fma_f64 v[148:149], 0x80000000, v[148:149], v[98:99]
	s_clause 0x2
	global_load_dwordx4 v[73:76], v[108:109], off
	global_load_dwordx4 v[69:72], v[108:109], off offset:16
	global_load_dwordx4 v[98:101], v[108:109], off offset:32
	s_waitcnt vmcnt(4)
	v_fma_f64 v[106:107], v[45:46], 0, v[106:107]
	v_fma_f64 v[102:103], v[33:34], v[45:46], v[102:103]
	;; [unrolled: 1-line block ×12, first 2 shown]
	v_lshlrev_b32_e32 v144, 2, v91
	v_fma_f64 v[104:105], 0x80000000, v[47:48], v[104:105]
	v_fma_f64 v[106:107], 0x80000000, v[47:48], v[150:151]
	;; [unrolled: 1-line block ×4, first 2 shown]
	v_ashrrev_i32_e32 v145, 31, v144
	v_subrev_nc_u32_e32 v91, s2, v153
	global_load_dwordx4 v[45:48], v[114:115], off offset:1024
	s_waitcnt vmcnt(4)
	v_fma_f64 v[33:34], v[53:54], 0, v[33:34]
	v_fma_f64 v[102:103], v[35:36], v[53:54], v[102:103]
	;; [unrolled: 1-line block ×9, first 2 shown]
	global_load_dwordx4 v[33:36], v[108:109], off offset:48
	v_lshlrev_b64 v[108:109], 4, v[144:145]
	v_fma_f64 v[144:145], v[31:32], v[55:56], v[29:30]
	v_fma_f64 v[102:103], 0x80000000, v[55:56], v[102:103]
	;; [unrolled: 1-line block ×5, first 2 shown]
	v_add_co_u32 v108, vcc_lo, s6, v108
	v_add_co_ci_u32_e64 v109, null, s7, v109, vcc_lo
	v_fma_f64 v[106:107], 0x80000000, v[55:56], v[106:107]
	v_fma_f64 v[150:151], 0x80000000, v[55:56], v[53:54]
	global_load_dwordx4 v[49:52], v[114:115], off offset:1120
	s_clause 0x2
	global_load_dwordx4 v[29:32], v[108:109], off
	global_load_dwordx4 v[17:20], v[108:109], off offset:16
	global_load_dwordx4 v[53:56], v[108:109], off offset:32
	s_waitcnt vmcnt(8)
	v_fma_f64 v[146:147], v[73:74], 0, v[146:147]
	v_fma_f64 v[144:145], v[73:74], 0, v[144:145]
	;; [unrolled: 1-line block ×11, first 2 shown]
	v_lshlrev_b32_e32 v144, 2, v91
	v_fma_f64 v[104:105], 0x80000000, v[75:76], v[104:105]
	v_fma_f64 v[61:62], v[61:62], v[75:76], v[148:149]
	v_ashrrev_i32_e32 v145, 31, v144
	v_fma_f64 v[106:107], 0x80000000, v[75:76], v[106:107]
	v_fma_f64 v[142:143], 0x80000000, v[75:76], v[150:151]
	;; [unrolled: 1-line block ×3, first 2 shown]
	global_load_dwordx4 v[73:76], v[114:115], off offset:1088
	s_waitcnt vmcnt(8)
	v_fma_f64 v[25:26], v[69:70], 0, v[25:26]
	v_fma_f64 v[21:22], v[69:70], 0, v[21:22]
	v_fma_f64 v[102:103], v[27:28], v[69:70], v[102:103]
	v_fma_f64 v[104:105], v[23:24], v[69:70], v[104:105]
	v_fma_f64 v[61:62], v[69:70], 0, v[61:62]
	v_fma_f64 v[106:107], v[63:64], v[69:70], v[106:107]
	v_fma_f64 v[142:143], v[59:60], v[69:70], v[142:143]
	v_fma_f64 v[57:58], v[69:70], 0, v[57:58]
	v_fma_f64 v[146:147], v[27:28], v[71:72], v[25:26]
	global_load_dwordx4 v[25:28], v[108:109], off offset:48
	v_lshlrev_b64 v[108:109], 4, v[144:145]
	v_fma_f64 v[144:145], v[23:24], v[71:72], v[21:22]
	v_fma_f64 v[69:70], 0x80000000, v[71:72], v[102:103]
	;; [unrolled: 1-line block ×4, first 2 shown]
	v_add_co_u32 v108, vcc_lo, s6, v108
	v_add_co_ci_u32_e64 v109, null, s7, v109, vcc_lo
	v_fma_f64 v[104:105], 0x80000000, v[71:72], v[106:107]
	v_fma_f64 v[63:64], 0x80000000, v[71:72], v[142:143]
	;; [unrolled: 1-line block ×3, first 2 shown]
	s_clause 0x1
	global_load_dwordx4 v[21:24], v[108:109], off
	global_load_dwordx4 v[57:60], v[108:109], off offset:16
	v_cmp_ge_i32_e32 vcc_lo, v110, v116
	s_waitcnt vmcnt(10)
	v_fma_f64 v[106:107], v[98:99], 0, v[146:147]
	s_or_b32 s9, vcc_lo, s9
	v_fma_f64 v[142:143], v[98:99], 0, v[144:145]
	v_fma_f64 v[69:70], v[13:14], v[98:99], v[69:70]
	;; [unrolled: 1-line block ×15, first 2 shown]
	s_clause 0x1
	global_load_dwordx4 v[61:64], v[114:115], off offset:1136
	global_load_dwordx4 v[69:72], v[114:115], off offset:1104
	;; [unrolled: 1-line block ×3, first 2 shown]
	s_waitcnt vmcnt(11)
	v_fma_f64 v[114:115], v[15:16], v[33:34], v[144:145]
	v_fma_f64 v[13:14], v[33:34], 0, v[13:14]
	;; [unrolled: 1-line block ×16, first 2 shown]
	global_load_dwordx4 v[9:12], v[108:109], off offset:48
	s_waitcnt vmcnt(10)
	v_fma_f64 v[35:36], v[122:123], v[29:30], v[37:38]
	v_fma_f64 v[13:14], v[29:30], 0, v[13:14]
	v_fma_f64 v[15:16], v[118:119], v[29:30], v[15:16]
	v_fma_f64 v[37:38], v[29:30], 0, v[102:103]
	v_fma_f64 v[39:40], v[134:135], v[29:30], v[104:105]
	v_fma_f64 v[41:42], v[29:30], 0, v[41:42]
	v_fma_f64 v[43:44], v[126:127], v[29:30], v[43:44]
	v_fma_f64 v[29:30], v[29:30], 0, v[33:34]
	v_fma_f64 v[33:34], 0x80000000, v[31:32], v[35:36]
	v_fma_f64 v[13:14], v[122:123], v[31:32], v[13:14]
	v_fma_f64 v[15:16], 0x80000000, v[31:32], v[15:16]
	v_fma_f64 v[35:36], v[118:119], v[31:32], v[37:38]
	v_fma_f64 v[37:38], 0x80000000, v[31:32], v[39:40]
	v_fma_f64 v[39:40], v[134:135], v[31:32], v[41:42]
	v_fma_f64 v[41:42], 0x80000000, v[31:32], v[43:44]
	v_fma_f64 v[29:30], v[126:127], v[31:32], v[29:30]
	s_waitcnt vmcnt(9)
	v_fma_f64 v[31:32], v[124:125], v[17:18], v[33:34]
	v_fma_f64 v[13:14], v[17:18], 0, v[13:14]
	v_fma_f64 v[15:16], v[120:121], v[17:18], v[15:16]
	v_fma_f64 v[33:34], v[17:18], 0, v[35:36]
	v_fma_f64 v[35:36], v[136:137], v[17:18], v[37:38]
	v_fma_f64 v[37:38], v[17:18], 0, v[39:40]
	v_fma_f64 v[39:40], v[128:129], v[17:18], v[41:42]
	v_fma_f64 v[17:18], v[17:18], 0, v[29:30]
	v_fma_f64 v[29:30], 0x80000000, v[19:20], v[31:32]
	v_fma_f64 v[13:14], v[124:125], v[19:20], v[13:14]
	v_fma_f64 v[15:16], 0x80000000, v[19:20], v[15:16]
	v_fma_f64 v[31:32], v[120:121], v[19:20], v[33:34]
	v_fma_f64 v[33:34], 0x80000000, v[19:20], v[35:36]
	v_fma_f64 v[35:36], v[136:137], v[19:20], v[37:38]
	v_fma_f64 v[37:38], 0x80000000, v[19:20], v[39:40]
	v_fma_f64 v[17:18], v[128:129], v[19:20], v[17:18]
	;; [unrolled: 17-line block ×8, first 2 shown]
	s_andn2_b32 exec_lo, exec_lo, s9
	s_cbranch_execnz .LBB136_19
; %bb.20:
	s_or_b32 exec_lo, exec_lo, s9
.LBB136_21:
	s_or_b32 exec_lo, exec_lo, s8
.LBB136_22:
	s_or_b32 exec_lo, exec_lo, s3
	s_cbranch_execz .LBB136_24
	s_branch .LBB136_35
.LBB136_23:
                                        ; implicit-def: $vgpr102_vgpr103
                                        ; implicit-def: $vgpr104_vgpr105
                                        ; implicit-def: $vgpr106_vgpr107
                                        ; implicit-def: $vgpr108_vgpr109
                                        ; implicit-def: $vgpr98_vgpr99
                                        ; implicit-def: $vgpr100_vgpr101
                                        ; implicit-def: $vgpr96_vgpr97
                                        ; implicit-def: $vgpr94_vgpr95
.LBB136_24:
	v_mov_b32_e32 v102, 0
	v_mov_b32_e32 v104, 0
	;; [unrolled: 1-line block ×16, first 2 shown]
	s_and_saveexec_b32 s1, s0
	s_cbranch_execz .LBB136_34
; %bb.25:
	v_add_nc_u32_e32 v9, v117, v0
	v_not_b32_e32 v10, v117
	v_mov_b32_e32 v94, 0
	v_mov_b32_e32 v96, 0
	;; [unrolled: 1-line block ×3, first 2 shown]
	v_subrev_nc_u32_e32 v9, s2, v9
	v_mov_b32_e32 v98, 0
	v_mov_b32_e32 v108, 0
	;; [unrolled: 1-line block ×4, first 2 shown]
	v_add_nc_u32_e32 v9, 8, v9
	v_mov_b32_e32 v102, 0
	v_mov_b32_e32 v95, 0
	;; [unrolled: 1-line block ×4, first 2 shown]
	v_max_i32_e32 v9, v9, v116
	v_mov_b32_e32 v99, 0
	v_mov_b32_e32 v109, 0
	;; [unrolled: 1-line block ×4, first 2 shown]
	v_add3_u32 v9, s2, v9, v10
	v_mov_b32_e32 v103, 0
	s_mov_b32 s0, exec_lo
	v_sub_nc_u32_e32 v9, v9, v0
	v_and_b32_e32 v10, 24, v9
	v_cmpx_ne_u32_e32 24, v10
	s_cbranch_execz .LBB136_29
; %bb.26:
	v_lshrrev_b32_e32 v10, 3, v9
	v_mov_b32_e32 v102, 0
	v_mov_b32_e32 v104, 0
	;; [unrolled: 1-line block ×4, first 2 shown]
	v_add_nc_u32_e32 v10, 1, v10
	v_mov_b32_e32 v98, 0
	v_mov_b32_e32 v100, 0
	;; [unrolled: 1-line block ×4, first 2 shown]
	v_and_b32_e32 v10, 3, v10
	v_mov_b32_e32 v103, 0
	v_mov_b32_e32 v105, 0
	;; [unrolled: 1-line block ×8, first 2 shown]
	v_sub_nc_u32_e32 v10, 0, v10
	s_mov_b32 s3, 0
.LBB136_27:                             ; =>This Inner Loop Header: Depth=1
	v_ashrrev_i32_e32 v91, 31, v90
	v_add_co_u32 v10, s8, v10, 1
	s_or_b32 s3, s8, s3
	v_lshlrev_b64 v[11:12], 2, v[90:91]
	v_add_nc_u32_e32 v90, 8, v90
	v_add_co_u32 v11, vcc_lo, s12, v11
	v_add_co_ci_u32_e64 v12, null, s13, v12, vcc_lo
	global_load_dword v19, v[11:12], off
	s_clause 0x1
	global_load_dwordx4 v[11:14], v[92:93], off offset:16
	global_load_dwordx4 v[15:18], v[92:93], off
	s_waitcnt vmcnt(2)
	v_subrev_nc_u32_e32 v19, s2, v19
	v_lshlrev_b32_e32 v19, 2, v19
	v_ashrrev_i32_e32 v20, 31, v19
	v_lshlrev_b64 v[19:20], 4, v[19:20]
	v_add_co_u32 v47, vcc_lo, s6, v19
	v_add_co_ci_u32_e64 v48, null, s7, v20, vcc_lo
	s_clause 0x1
	global_load_dwordx4 v[19:22], v[47:48], off
	global_load_dwordx4 v[23:26], v[47:48], off offset:16
	s_clause 0x3
	global_load_dwordx4 v[27:30], v[92:93], off offset:32
	global_load_dwordx4 v[31:34], v[92:93], off offset:48
	;; [unrolled: 1-line block ×4, first 2 shown]
	s_clause 0x1
	global_load_dwordx4 v[43:46], v[47:48], off offset:32
	global_load_dwordx4 v[47:50], v[47:48], off offset:48
	s_clause 0x1
	global_load_dwordx4 v[51:54], v[92:93], off offset:96
	global_load_dwordx4 v[55:58], v[92:93], off offset:112
	v_add_co_u32 v92, vcc_lo, 0x400, v92
	v_add_co_ci_u32_e64 v93, null, 0, v93, vcc_lo
	s_waitcnt vmcnt(9)
	v_fma_f64 v[59:60], v[15:16], v[19:20], v[104:105]
	v_fma_f64 v[61:62], v[19:20], 0, v[102:103]
	;; [unrolled: 1-line block ×16, first 2 shown]
	s_waitcnt vmcnt(7)
	v_fma_f64 v[19:20], v[27:28], v[23:24], v[59:60]
	v_fma_f64 v[15:16], v[23:24], 0, v[15:16]
	;; [unrolled: 1-line block ×4, first 2 shown]
	s_waitcnt vmcnt(6)
	v_fma_f64 v[59:60], v[31:32], v[23:24], v[63:64]
	v_fma_f64 v[11:12], v[23:24], 0, v[11:12]
	;; [unrolled: 1-line block ×12, first 2 shown]
	s_waitcnt vmcnt(3)
	v_fma_f64 v[19:20], v[39:40], v[43:44], v[19:20]
	v_fma_f64 v[15:16], v[43:44], 0, v[15:16]
	;; [unrolled: 1-line block ×16, first 2 shown]
	s_waitcnt vmcnt(1)
	v_fma_f64 v[19:20], v[51:52], v[47:48], v[19:20]
	v_fma_f64 v[15:16], v[47:48], 0, v[15:16]
	;; [unrolled: 1-line block ×4, first 2 shown]
	s_waitcnt vmcnt(0)
	v_fma_f64 v[23:24], v[55:56], v[47:48], v[23:24]
	v_fma_f64 v[11:12], v[47:48], 0, v[11:12]
	;; [unrolled: 1-line block ×12, first 2 shown]
	s_andn2_b32 exec_lo, exec_lo, s3
	s_cbranch_execnz .LBB136_27
; %bb.28:
	s_or_b32 exec_lo, exec_lo, s3
.LBB136_29:
	s_or_b32 exec_lo, exec_lo, s0
	s_mov_b32 s3, exec_lo
	v_cmpx_lt_u32_e32 23, v9
	s_cbranch_execz .LBB136_33
; %bb.30:
	s_mov_b32 s8, 0
.LBB136_31:                             ; =>This Inner Loop Header: Depth=1
	v_ashrrev_i32_e32 v91, 31, v90
	v_add_co_u32 v114, vcc_lo, 0x800, v92
	v_add_co_ci_u32_e64 v115, null, 0, v93, vcc_lo
	v_lshlrev_b64 v[85:86], 2, v[90:91]
	s_clause 0x12
	global_load_dwordx4 v[25:28], v[92:93], off offset:48
	global_load_dwordx4 v[29:32], v[92:93], off offset:32
	;; [unrolled: 1-line block ×3, first 2 shown]
	global_load_dwordx4 v[61:64], v[92:93], off
	global_load_dwordx4 v[33:36], v[92:93], off offset:112
	global_load_dwordx4 v[37:40], v[92:93], off offset:96
	;; [unrolled: 1-line block ×12, first 2 shown]
	global_load_dwordx4 v[73:76], v[114:115], off
	global_load_dwordx4 v[77:80], v[114:115], off offset:48
	global_load_dwordx4 v[81:84], v[114:115], off offset:32
	v_add_nc_u32_e32 v90, 32, v90
	v_add_co_u32 v92, s0, 0x1000, v92
	v_add_co_u32 v85, vcc_lo, s12, v85
	v_add_co_ci_u32_e64 v86, null, s13, v86, vcc_lo
	v_add_co_ci_u32_e64 v93, null, 0, v93, s0
	s_clause 0x3
	global_load_dword v87, v[85:86], off
	global_load_dword v88, v[85:86], off offset:32
	global_load_dword v91, v[85:86], off offset:64
	;; [unrolled: 1-line block ×3, first 2 shown]
	s_waitcnt vmcnt(3)
	v_subrev_nc_u32_e32 v85, s2, v87
	s_waitcnt vmcnt(2)
	v_subrev_nc_u32_e32 v86, s2, v88
	;; [unrolled: 2-line block ×3, first 2 shown]
	v_lshlrev_b32_e32 v85, 2, v85
	v_lshlrev_b32_e32 v87, 2, v86
	;; [unrolled: 1-line block ×3, first 2 shown]
	s_waitcnt vmcnt(0)
	v_subrev_nc_u32_e32 v91, s2, v135
	v_ashrrev_i32_e32 v86, 31, v85
	v_ashrrev_i32_e32 v88, 31, v87
	;; [unrolled: 1-line block ×3, first 2 shown]
	v_lshlrev_b64 v[85:86], 4, v[85:86]
	v_lshlrev_b64 v[87:88], 4, v[87:88]
	v_add_co_u32 v121, vcc_lo, s6, v85
	v_add_co_ci_u32_e64 v122, null, s7, v86, vcc_lo
	v_add_co_u32 v129, vcc_lo, s6, v87
	v_add_co_ci_u32_e64 v130, null, s7, v88, vcc_lo
	s_clause 0x4
	global_load_dwordx4 v[85:88], v[121:122], off
	global_load_dwordx4 v[110:113], v[121:122], off offset:16
	global_load_dwordx4 v[117:120], v[121:122], off offset:32
	;; [unrolled: 1-line block ×3, first 2 shown]
	global_load_dwordx4 v[125:128], v[129:130], off
	s_waitcnt vmcnt(4)
	v_fma_f64 v[102:103], v[85:86], 0, v[102:103]
	v_fma_f64 v[106:107], v[85:86], 0, v[106:107]
	;; [unrolled: 1-line block ×10, first 2 shown]
	global_load_dwordx4 v[61:64], v[129:130], off offset:16
	v_fma_f64 v[94:95], v[41:42], v[87:88], v[98:99]
	v_fma_f64 v[96:97], v[43:44], v[87:88], v[96:97]
	;; [unrolled: 1-line block ×6, first 2 shown]
	global_load_dwordx4 v[85:88], v[129:130], off offset:32
	global_load_dwordx4 v[41:44], v[114:115], off offset:16
	s_waitcnt vmcnt(6)
	v_fma_f64 v[102:103], v[110:111], 0, v[102:103]
	v_fma_f64 v[106:107], v[110:111], 0, v[106:107]
	;; [unrolled: 1-line block ×10, first 2 shown]
	global_load_dwordx4 v[29:32], v[114:115], off offset:112
	v_fma_f64 v[110:111], v[25:26], v[112:113], v[94:95]
	v_fma_f64 v[131:132], v[27:28], v[112:113], v[96:97]
	global_load_dwordx4 v[94:97], v[129:130], off offset:48
	v_fma_f64 v[98:99], 0x80000000, v[112:113], v[98:99]
	v_fma_f64 v[104:105], 0x80000000, v[112:113], v[104:105]
	;; [unrolled: 1-line block ×4, first 2 shown]
	v_lshlrev_b64 v[112:113], 4, v[133:134]
	global_load_dwordx4 v[25:28], v[114:115], off offset:96
	v_add_co_u32 v112, vcc_lo, s6, v112
	v_add_co_ci_u32_e64 v113, null, s7, v113, vcc_lo
	s_waitcnt vmcnt(8)
	v_fma_f64 v[102:103], v[117:118], 0, v[102:103]
	v_fma_f64 v[106:107], v[117:118], 0, v[106:107]
	;; [unrolled: 1-line block ×10, first 2 shown]
	global_load_dwordx4 v[53:56], v[112:113], off
	v_fma_f64 v[110:111], v[45:46], v[119:120], v[110:111]
	v_fma_f64 v[117:118], v[47:48], v[119:120], v[129:130]
	global_load_dwordx4 v[45:48], v[114:115], off offset:80
	v_fma_f64 v[129:130], 0x80000000, v[119:120], v[98:99]
	v_fma_f64 v[104:105], 0x80000000, v[119:120], v[104:105]
	v_fma_f64 v[131:132], 0x80000000, v[119:120], v[100:101]
	global_load_dwordx4 v[98:101], v[112:113], off offset:16
	v_fma_f64 v[108:109], 0x80000000, v[119:120], v[108:109]
	s_waitcnt vmcnt(10)
	v_fma_f64 v[102:103], v[121:122], 0, v[102:103]
	v_fma_f64 v[106:107], v[121:122], 0, v[106:107]
	;; [unrolled: 1-line block ×10, first 2 shown]
	global_load_dwordx4 v[37:40], v[114:115], off offset:64
	v_fma_f64 v[119:120], 0x80000000, v[123:124], v[119:120]
	v_fma_f64 v[131:132], 0x80000000, v[123:124], v[104:105]
	v_fma_f64 v[121:122], v[33:34], v[123:124], v[102:103]
	global_load_dwordx4 v[102:105], v[112:113], off offset:32
	v_fma_f64 v[110:111], v[35:36], v[123:124], v[110:111]
	v_fma_f64 v[117:118], 0x80000000, v[123:124], v[117:118]
	;; [unrolled: 1-line block ×3, first 2 shown]
	s_waitcnt vmcnt(11)
	v_fma_f64 v[108:109], v[125:126], 0, v[129:130]
	v_fma_f64 v[106:107], v[125:126], 0, v[106:107]
	v_fma_f64 v[129:130], v[59:60], v[125:126], v[131:132]
	v_fma_f64 v[119:120], v[57:58], v[125:126], v[119:120]
	global_load_dwordx4 v[33:36], v[114:115], off offset:1040
	v_fma_f64 v[110:111], v[125:126], 0, v[110:111]
	v_fma_f64 v[117:118], v[49:50], v[125:126], v[117:118]
	v_fma_f64 v[131:132], v[57:58], v[127:128], v[108:109]
	v_fma_f64 v[133:134], v[59:60], v[127:128], v[106:107]
	global_load_dwordx4 v[106:109], v[112:113], off offset:48
	;; [unrolled: 5-line block ×3, first 2 shown]
	v_fma_f64 v[110:111], v[51:52], v[127:128], v[110:111]
	v_fma_f64 v[117:118], 0x80000000, v[127:128], v[117:118]
	;; [unrolled: 1-line block ×3, first 2 shown]
	v_lshlrev_b32_e32 v49, 2, v91
	v_fma_f64 v[121:122], 0x80000000, v[127:128], v[121:122]
	v_ashrrev_i32_e32 v50, 31, v49
	v_lshlrev_b64 v[49:50], 4, v[49:50]
	v_add_co_u32 v123, vcc_lo, s6, v49
	v_add_co_ci_u32_e64 v124, null, s7, v50, vcc_lo
	v_cmp_ge_i32_e32 vcc_lo, v90, v116
	global_load_dwordx4 v[49:52], v[123:124], off
	s_or_b32 s8, vcc_lo, s8
	s_waitcnt vmcnt(14)
	v_fma_f64 v[127:128], v[61:62], 0, v[131:132]
	v_fma_f64 v[129:130], v[61:62], 0, v[133:134]
	v_fma_f64 v[119:120], v[21:22], v[61:62], v[119:120]
	v_fma_f64 v[125:126], v[23:24], v[61:62], v[125:126]
	v_fma_f64 v[117:118], v[17:18], v[61:62], v[117:118]
	v_fma_f64 v[112:113], v[61:62], 0, v[112:113]
	v_fma_f64 v[121:122], v[19:20], v[61:62], v[121:122]
	v_fma_f64 v[61:62], v[61:62], 0, v[110:111]
	v_fma_f64 v[127:128], v[21:22], v[63:64], v[127:128]
	v_fma_f64 v[129:130], v[23:24], v[63:64], v[129:130]
	v_fma_f64 v[110:111], 0x80000000, v[63:64], v[119:120]
	v_fma_f64 v[119:120], 0x80000000, v[63:64], v[125:126]
	v_fma_f64 v[117:118], 0x80000000, v[63:64], v[117:118]
	v_fma_f64 v[112:113], v[17:18], v[63:64], v[112:113]
	v_fma_f64 v[121:122], 0x80000000, v[63:64], v[121:122]
	v_fma_f64 v[125:126], v[19:20], v[63:64], v[61:62]
	global_load_dwordx4 v[21:24], v[123:124], off offset:16
	s_clause 0x1
	global_load_dwordx4 v[17:20], v[114:115], off offset:1056
	global_load_dwordx4 v[61:64], v[114:115], off offset:1072
	s_waitcnt vmcnt(16)
	v_fma_f64 v[127:128], v[85:86], 0, v[127:128]
	v_fma_f64 v[129:130], v[85:86], 0, v[129:130]
	;; [unrolled: 1-line block ×16, first 2 shown]
	s_clause 0x1
	global_load_dwordx4 v[65:68], v[114:115], off offset:1104
	global_load_dwordx4 v[69:72], v[114:115], off offset:1088
	;; [unrolled: 1-line block ×3, first 2 shown]
	s_waitcnt vmcnt(16)
	v_fma_f64 v[125:126], v[94:95], 0, v[125:126]
	v_fma_f64 v[127:128], v[94:95], 0, v[127:128]
	;; [unrolled: 1-line block ×16, first 2 shown]
	s_clause 0x1
	global_load_dwordx4 v[9:12], v[114:115], off offset:1120
	global_load_dwordx4 v[13:16], v[114:115], off offset:1136
	;; [unrolled: 1-line block ×3, first 2 shown]
	s_waitcnt vmcnt(17)
	v_fma_f64 v[114:115], v[53:54], 0, v[125:126]
	v_fma_f64 v[123:124], v[53:54], 0, v[127:128]
	v_fma_f64 v[110:111], v[73:74], v[53:54], v[110:111]
	v_fma_f64 v[119:120], v[75:76], v[53:54], v[119:120]
	v_fma_f64 v[117:118], v[41:42], v[53:54], v[117:118]
	v_fma_f64 v[112:113], v[53:54], 0, v[112:113]
	v_fma_f64 v[121:122], v[43:44], v[53:54], v[121:122]
	v_fma_f64 v[53:54], v[53:54], 0, v[129:130]
	v_fma_f64 v[73:74], v[73:74], v[55:56], v[114:115]
	v_fma_f64 v[75:76], v[75:76], v[55:56], v[123:124]
	v_fma_f64 v[110:111], 0x80000000, v[55:56], v[110:111]
	v_fma_f64 v[114:115], 0x80000000, v[55:56], v[119:120]
	v_fma_f64 v[117:118], 0x80000000, v[55:56], v[117:118]
	v_fma_f64 v[41:42], v[41:42], v[55:56], v[112:113]
	v_fma_f64 v[112:113], 0x80000000, v[55:56], v[121:122]
	v_fma_f64 v[43:44], v[43:44], v[55:56], v[53:54]
	s_waitcnt vmcnt(15)
	v_fma_f64 v[55:56], v[98:99], 0, v[73:74]
	v_fma_f64 v[75:76], v[98:99], 0, v[75:76]
	v_fma_f64 v[53:54], v[81:82], v[98:99], v[110:111]
	v_fma_f64 v[73:74], v[83:84], v[98:99], v[114:115]
	v_fma_f64 v[110:111], v[77:78], v[98:99], v[117:118]
	v_fma_f64 v[41:42], v[98:99], 0, v[41:42]
	v_fma_f64 v[112:113], v[79:80], v[98:99], v[112:113]
	v_fma_f64 v[43:44], v[98:99], 0, v[43:44]
	v_fma_f64 v[55:56], v[81:82], v[100:101], v[55:56]
	v_fma_f64 v[75:76], v[83:84], v[100:101], v[75:76]
	v_fma_f64 v[53:54], 0x80000000, v[100:101], v[53:54]
	v_fma_f64 v[73:74], 0x80000000, v[100:101], v[73:74]
	v_fma_f64 v[81:82], 0x80000000, v[100:101], v[110:111]
	v_fma_f64 v[41:42], v[77:78], v[100:101], v[41:42]
	v_fma_f64 v[77:78], 0x80000000, v[100:101], v[112:113]
	v_fma_f64 v[43:44], v[79:80], v[100:101], v[43:44]
	;; [unrolled: 17-line block ×5, first 2 shown]
	s_waitcnt vmcnt(8)
	v_fma_f64 v[25:26], v[21:22], 0, v[25:26]
	v_fma_f64 v[27:28], v[21:22], 0, v[27:28]
	s_waitcnt vmcnt(7)
	v_fma_f64 v[35:36], v[17:18], v[21:22], v[43:44]
	v_fma_f64 v[37:38], v[19:20], v[21:22], v[37:38]
	;; [unrolled: 3-line block ×3, first 2 shown]
	v_fma_f64 v[33:34], v[63:64], v[21:22], v[33:34]
	v_fma_f64 v[21:22], v[21:22], 0, v[31:32]
	;; [unrolled: 1-line block ×10, first 2 shown]
	s_waitcnt vmcnt(3)
	v_fma_f64 v[17:18], v[85:86], 0, v[17:18]
	v_fma_f64 v[19:20], v[85:86], 0, v[19:20]
	;; [unrolled: 1-line block ×16, first 2 shown]
	s_waitcnt vmcnt(0)
	v_fma_f64 v[17:18], v[94:95], 0, v[17:18]
	v_fma_f64 v[19:20], v[94:95], 0, v[19:20]
	;; [unrolled: 1-line block ×16, first 2 shown]
	s_andn2_b32 exec_lo, exec_lo, s8
	s_cbranch_execnz .LBB136_31
; %bb.32:
	s_or_b32 exec_lo, exec_lo, s8
.LBB136_33:
	s_or_b32 exec_lo, exec_lo, s3
.LBB136_34:
	s_or_b32 exec_lo, exec_lo, s1
.LBB136_35:
	v_mbcnt_lo_u32_b32 v41, -1, 0
	v_xor_b32_e32 v9, 4, v41
	v_xor_b32_e32 v25, 2, v41
	v_cmp_gt_i32_e32 vcc_lo, 32, v9
	v_cndmask_b32_e32 v9, v41, v9, vcc_lo
	v_cmp_gt_i32_e32 vcc_lo, 32, v25
	v_lshlrev_b32_e32 v24, 2, v9
	v_cndmask_b32_e32 v27, v41, v25, vcc_lo
	ds_bpermute_b32 v9, v24, v104
	ds_bpermute_b32 v10, v24, v105
	;; [unrolled: 1-line block ×16, first 2 shown]
	v_lshlrev_b32_e32 v40, 2, v27
	s_waitcnt lgkmcnt(14)
	v_add_f64 v[9:10], v[104:105], v[9:10]
	s_waitcnt lgkmcnt(12)
	v_add_f64 v[11:12], v[102:103], v[11:12]
	;; [unrolled: 2-line block ×8, first 2 shown]
	ds_bpermute_b32 v23, v40, v9
	ds_bpermute_b32 v24, v40, v10
	;; [unrolled: 1-line block ×16, first 2 shown]
	s_waitcnt lgkmcnt(14)
	v_add_f64 v[9:10], v[9:10], v[23:24]
	s_waitcnt lgkmcnt(12)
	v_add_f64 v[27:28], v[11:12], v[27:28]
	;; [unrolled: 2-line block ×3, first 2 shown]
	v_xor_b32_e32 v29, 1, v41
	s_waitcnt lgkmcnt(8)
	v_add_f64 v[23:24], v[15:16], v[31:32]
	s_waitcnt lgkmcnt(6)
	v_add_f64 v[13:14], v[17:18], v[33:34]
	;; [unrolled: 2-line block ×3, first 2 shown]
	v_cmp_gt_i32_e32 vcc_lo, 32, v29
	s_waitcnt lgkmcnt(2)
	v_add_f64 v[15:16], v[21:22], v[37:38]
	s_waitcnt lgkmcnt(0)
	v_add_f64 v[19:20], v[25:26], v[39:40]
	v_cndmask_b32_e32 v29, v41, v29, vcc_lo
	v_cmp_eq_u32_e32 vcc_lo, 7, v0
	v_lshlrev_b32_e32 v34, 2, v29
	ds_bpermute_b32 v21, v34, v9
	ds_bpermute_b32 v22, v34, v10
	;; [unrolled: 1-line block ×16, first 2 shown]
	s_and_b32 exec_lo, exec_lo, vcc_lo
	s_cbranch_execz .LBB136_8
; %bb.36:
	s_waitcnt lgkmcnt(12)
	v_add_f64 v[27:28], v[27:28], v[39:40]
	s_waitcnt lgkmcnt(8)
	v_add_f64 v[23:24], v[23:24], v[37:38]
	;; [unrolled: 2-line block ×4, first 2 shown]
	v_add_f64 v[9:10], v[9:10], v[21:22]
	v_add_f64 v[11:12], v[11:12], v[25:26]
	;; [unrolled: 1-line block ×4, first 2 shown]
	v_cmp_eq_f64_e32 vcc_lo, 0, v[1:2]
	v_cmp_eq_f64_e64 s0, 0, v[3:4]
	s_load_dwordx2 s[2:3], s[4:5], 0x60
	v_mul_f64 v[13:14], v[27:28], -v[7:8]
	v_mul_f64 v[15:16], v[5:6], v[27:28]
	v_mul_f64 v[27:28], v[23:24], -v[7:8]
	v_mul_f64 v[23:24], v[5:6], v[23:24]
	;; [unrolled: 2-line block ×4, first 2 shown]
	s_and_b32 s0, vcc_lo, s0
	v_fma_f64 v[17:18], v[5:6], v[9:10], v[13:14]
	v_fma_f64 v[19:20], v[7:8], v[9:10], v[15:16]
	;; [unrolled: 1-line block ×8, first 2 shown]
	v_lshlrev_b32_e32 v21, 2, v89
	s_and_saveexec_b32 s1, s0
	s_xor_b32 s0, exec_lo, s1
	s_cbranch_execz .LBB136_38
; %bb.37:
	v_ashrrev_i32_e32 v22, 31, v21
	v_lshlrev_b64 v[0:1], 4, v[21:22]
                                        ; implicit-def: $vgpr21
	s_waitcnt lgkmcnt(0)
	v_add_co_u32 v0, vcc_lo, s2, v0
	v_add_co_ci_u32_e64 v1, null, s3, v1, vcc_lo
	global_store_dwordx4 v[0:1], v[17:20], off
	global_store_dwordx4 v[0:1], v[13:16], off offset:16
	global_store_dwordx4 v[0:1], v[9:12], off offset:32
	;; [unrolled: 1-line block ×3, first 2 shown]
                                        ; implicit-def: $vgpr3_vgpr4
                                        ; implicit-def: $vgpr17_vgpr18
                                        ; implicit-def: $vgpr13_vgpr14
                                        ; implicit-def: $vgpr9_vgpr10
                                        ; implicit-def: $vgpr5_vgpr6
.LBB136_38:
	s_andn2_saveexec_b32 s0, s0
	s_cbranch_execz .LBB136_8
; %bb.39:
	v_ashrrev_i32_e32 v22, 31, v21
	v_lshlrev_b64 v[21:22], 4, v[21:22]
	s_waitcnt lgkmcnt(0)
	v_add_co_u32 v37, vcc_lo, s2, v21
	v_add_co_ci_u32_e64 v38, null, s3, v22, vcc_lo
	s_clause 0x3
	global_load_dwordx4 v[21:24], v[37:38], off
	global_load_dwordx4 v[25:28], v[37:38], off offset:16
	global_load_dwordx4 v[29:32], v[37:38], off offset:32
	;; [unrolled: 1-line block ×3, first 2 shown]
	s_waitcnt vmcnt(3)
	v_fma_f64 v[17:18], v[1:2], v[21:22], v[17:18]
	v_fma_f64 v[19:20], v[3:4], v[21:22], v[19:20]
	s_waitcnt vmcnt(2)
	v_fma_f64 v[13:14], v[1:2], v[25:26], v[13:14]
	v_fma_f64 v[15:16], v[3:4], v[25:26], v[15:16]
	;; [unrolled: 3-line block ×4, first 2 shown]
	v_fma_f64 v[5:6], -v[3:4], v[23:24], v[17:18]
	v_fma_f64 v[7:8], v[1:2], v[23:24], v[19:20]
	v_fma_f64 v[9:10], -v[3:4], v[27:28], v[13:14]
	v_fma_f64 v[11:12], v[1:2], v[27:28], v[15:16]
	;; [unrolled: 2-line block ×4, first 2 shown]
	global_store_dwordx4 v[37:38], v[5:8], off
	global_store_dwordx4 v[37:38], v[9:12], off offset:16
	global_store_dwordx4 v[37:38], v[13:16], off offset:32
	;; [unrolled: 1-line block ×3, first 2 shown]
	s_endpgm
	.section	.rodata,"a",@progbits
	.p2align	6, 0x0
	.amdhsa_kernel _ZN9rocsparseL18bsrxmvn_4x4_kernelILj128ELj8E21rocsparse_complex_numIdEiidS2_S2_EEvT3_20rocsparse_direction_NS_24const_host_device_scalarIT1_EES3_PKS3_PKT2_SC_S9_PKT4_PKT5_S7_PT6_21rocsparse_index_base_b
		.amdhsa_group_segment_fixed_size 0
		.amdhsa_private_segment_fixed_size 0
		.amdhsa_kernarg_size 112
		.amdhsa_user_sgpr_count 6
		.amdhsa_user_sgpr_private_segment_buffer 1
		.amdhsa_user_sgpr_dispatch_ptr 0
		.amdhsa_user_sgpr_queue_ptr 0
		.amdhsa_user_sgpr_kernarg_segment_ptr 1
		.amdhsa_user_sgpr_dispatch_id 0
		.amdhsa_user_sgpr_flat_scratch_init 0
		.amdhsa_user_sgpr_private_segment_size 0
		.amdhsa_wavefront_size32 1
		.amdhsa_uses_dynamic_stack 0
		.amdhsa_system_sgpr_private_segment_wavefront_offset 0
		.amdhsa_system_sgpr_workgroup_id_x 1
		.amdhsa_system_sgpr_workgroup_id_y 0
		.amdhsa_system_sgpr_workgroup_id_z 0
		.amdhsa_system_sgpr_workgroup_info 0
		.amdhsa_system_vgpr_workitem_id 0
		.amdhsa_next_free_vgpr 154
		.amdhsa_next_free_sgpr 16
		.amdhsa_reserve_vcc 1
		.amdhsa_reserve_flat_scratch 0
		.amdhsa_float_round_mode_32 0
		.amdhsa_float_round_mode_16_64 0
		.amdhsa_float_denorm_mode_32 3
		.amdhsa_float_denorm_mode_16_64 3
		.amdhsa_dx10_clamp 1
		.amdhsa_ieee_mode 1
		.amdhsa_fp16_overflow 0
		.amdhsa_workgroup_processor_mode 1
		.amdhsa_memory_ordered 1
		.amdhsa_forward_progress 1
		.amdhsa_shared_vgpr_count 0
		.amdhsa_exception_fp_ieee_invalid_op 0
		.amdhsa_exception_fp_denorm_src 0
		.amdhsa_exception_fp_ieee_div_zero 0
		.amdhsa_exception_fp_ieee_overflow 0
		.amdhsa_exception_fp_ieee_underflow 0
		.amdhsa_exception_fp_ieee_inexact 0
		.amdhsa_exception_int_div_zero 0
	.end_amdhsa_kernel
	.section	.text._ZN9rocsparseL18bsrxmvn_4x4_kernelILj128ELj8E21rocsparse_complex_numIdEiidS2_S2_EEvT3_20rocsparse_direction_NS_24const_host_device_scalarIT1_EES3_PKS3_PKT2_SC_S9_PKT4_PKT5_S7_PT6_21rocsparse_index_base_b,"axG",@progbits,_ZN9rocsparseL18bsrxmvn_4x4_kernelILj128ELj8E21rocsparse_complex_numIdEiidS2_S2_EEvT3_20rocsparse_direction_NS_24const_host_device_scalarIT1_EES3_PKS3_PKT2_SC_S9_PKT4_PKT5_S7_PT6_21rocsparse_index_base_b,comdat
.Lfunc_end136:
	.size	_ZN9rocsparseL18bsrxmvn_4x4_kernelILj128ELj8E21rocsparse_complex_numIdEiidS2_S2_EEvT3_20rocsparse_direction_NS_24const_host_device_scalarIT1_EES3_PKS3_PKT2_SC_S9_PKT4_PKT5_S7_PT6_21rocsparse_index_base_b, .Lfunc_end136-_ZN9rocsparseL18bsrxmvn_4x4_kernelILj128ELj8E21rocsparse_complex_numIdEiidS2_S2_EEvT3_20rocsparse_direction_NS_24const_host_device_scalarIT1_EES3_PKS3_PKT2_SC_S9_PKT4_PKT5_S7_PT6_21rocsparse_index_base_b
                                        ; -- End function
	.set _ZN9rocsparseL18bsrxmvn_4x4_kernelILj128ELj8E21rocsparse_complex_numIdEiidS2_S2_EEvT3_20rocsparse_direction_NS_24const_host_device_scalarIT1_EES3_PKS3_PKT2_SC_S9_PKT4_PKT5_S7_PT6_21rocsparse_index_base_b.num_vgpr, 154
	.set _ZN9rocsparseL18bsrxmvn_4x4_kernelILj128ELj8E21rocsparse_complex_numIdEiidS2_S2_EEvT3_20rocsparse_direction_NS_24const_host_device_scalarIT1_EES3_PKS3_PKT2_SC_S9_PKT4_PKT5_S7_PT6_21rocsparse_index_base_b.num_agpr, 0
	.set _ZN9rocsparseL18bsrxmvn_4x4_kernelILj128ELj8E21rocsparse_complex_numIdEiidS2_S2_EEvT3_20rocsparse_direction_NS_24const_host_device_scalarIT1_EES3_PKS3_PKT2_SC_S9_PKT4_PKT5_S7_PT6_21rocsparse_index_base_b.numbered_sgpr, 16
	.set _ZN9rocsparseL18bsrxmvn_4x4_kernelILj128ELj8E21rocsparse_complex_numIdEiidS2_S2_EEvT3_20rocsparse_direction_NS_24const_host_device_scalarIT1_EES3_PKS3_PKT2_SC_S9_PKT4_PKT5_S7_PT6_21rocsparse_index_base_b.num_named_barrier, 0
	.set _ZN9rocsparseL18bsrxmvn_4x4_kernelILj128ELj8E21rocsparse_complex_numIdEiidS2_S2_EEvT3_20rocsparse_direction_NS_24const_host_device_scalarIT1_EES3_PKS3_PKT2_SC_S9_PKT4_PKT5_S7_PT6_21rocsparse_index_base_b.private_seg_size, 0
	.set _ZN9rocsparseL18bsrxmvn_4x4_kernelILj128ELj8E21rocsparse_complex_numIdEiidS2_S2_EEvT3_20rocsparse_direction_NS_24const_host_device_scalarIT1_EES3_PKS3_PKT2_SC_S9_PKT4_PKT5_S7_PT6_21rocsparse_index_base_b.uses_vcc, 1
	.set _ZN9rocsparseL18bsrxmvn_4x4_kernelILj128ELj8E21rocsparse_complex_numIdEiidS2_S2_EEvT3_20rocsparse_direction_NS_24const_host_device_scalarIT1_EES3_PKS3_PKT2_SC_S9_PKT4_PKT5_S7_PT6_21rocsparse_index_base_b.uses_flat_scratch, 0
	.set _ZN9rocsparseL18bsrxmvn_4x4_kernelILj128ELj8E21rocsparse_complex_numIdEiidS2_S2_EEvT3_20rocsparse_direction_NS_24const_host_device_scalarIT1_EES3_PKS3_PKT2_SC_S9_PKT4_PKT5_S7_PT6_21rocsparse_index_base_b.has_dyn_sized_stack, 0
	.set _ZN9rocsparseL18bsrxmvn_4x4_kernelILj128ELj8E21rocsparse_complex_numIdEiidS2_S2_EEvT3_20rocsparse_direction_NS_24const_host_device_scalarIT1_EES3_PKS3_PKT2_SC_S9_PKT4_PKT5_S7_PT6_21rocsparse_index_base_b.has_recursion, 0
	.set _ZN9rocsparseL18bsrxmvn_4x4_kernelILj128ELj8E21rocsparse_complex_numIdEiidS2_S2_EEvT3_20rocsparse_direction_NS_24const_host_device_scalarIT1_EES3_PKS3_PKT2_SC_S9_PKT4_PKT5_S7_PT6_21rocsparse_index_base_b.has_indirect_call, 0
	.section	.AMDGPU.csdata,"",@progbits
; Kernel info:
; codeLenInByte = 10164
; TotalNumSgprs: 18
; NumVgprs: 154
; ScratchSize: 0
; MemoryBound: 0
; FloatMode: 240
; IeeeMode: 1
; LDSByteSize: 0 bytes/workgroup (compile time only)
; SGPRBlocks: 0
; VGPRBlocks: 19
; NumSGPRsForWavesPerEU: 18
; NumVGPRsForWavesPerEU: 154
; Occupancy: 6
; WaveLimiterHint : 1
; COMPUTE_PGM_RSRC2:SCRATCH_EN: 0
; COMPUTE_PGM_RSRC2:USER_SGPR: 6
; COMPUTE_PGM_RSRC2:TRAP_HANDLER: 0
; COMPUTE_PGM_RSRC2:TGID_X_EN: 1
; COMPUTE_PGM_RSRC2:TGID_Y_EN: 0
; COMPUTE_PGM_RSRC2:TGID_Z_EN: 0
; COMPUTE_PGM_RSRC2:TIDIG_COMP_CNT: 0
	.section	.text._ZN9rocsparseL18bsrxmvn_4x4_kernelILj128ELj16E21rocsparse_complex_numIdEiidS2_S2_EEvT3_20rocsparse_direction_NS_24const_host_device_scalarIT1_EES3_PKS3_PKT2_SC_S9_PKT4_PKT5_S7_PT6_21rocsparse_index_base_b,"axG",@progbits,_ZN9rocsparseL18bsrxmvn_4x4_kernelILj128ELj16E21rocsparse_complex_numIdEiidS2_S2_EEvT3_20rocsparse_direction_NS_24const_host_device_scalarIT1_EES3_PKS3_PKT2_SC_S9_PKT4_PKT5_S7_PT6_21rocsparse_index_base_b,comdat
	.globl	_ZN9rocsparseL18bsrxmvn_4x4_kernelILj128ELj16E21rocsparse_complex_numIdEiidS2_S2_EEvT3_20rocsparse_direction_NS_24const_host_device_scalarIT1_EES3_PKS3_PKT2_SC_S9_PKT4_PKT5_S7_PT6_21rocsparse_index_base_b ; -- Begin function _ZN9rocsparseL18bsrxmvn_4x4_kernelILj128ELj16E21rocsparse_complex_numIdEiidS2_S2_EEvT3_20rocsparse_direction_NS_24const_host_device_scalarIT1_EES3_PKS3_PKT2_SC_S9_PKT4_PKT5_S7_PT6_21rocsparse_index_base_b
	.p2align	8
	.type	_ZN9rocsparseL18bsrxmvn_4x4_kernelILj128ELj16E21rocsparse_complex_numIdEiidS2_S2_EEvT3_20rocsparse_direction_NS_24const_host_device_scalarIT1_EES3_PKS3_PKT2_SC_S9_PKT4_PKT5_S7_PT6_21rocsparse_index_base_b,@function
_ZN9rocsparseL18bsrxmvn_4x4_kernelILj128ELj16E21rocsparse_complex_numIdEiidS2_S2_EEvT3_20rocsparse_direction_NS_24const_host_device_scalarIT1_EES3_PKS3_PKT2_SC_S9_PKT4_PKT5_S7_PT6_21rocsparse_index_base_b: ; @_ZN9rocsparseL18bsrxmvn_4x4_kernelILj128ELj16E21rocsparse_complex_numIdEiidS2_S2_EEvT3_20rocsparse_direction_NS_24const_host_device_scalarIT1_EES3_PKS3_PKT2_SC_S9_PKT4_PKT5_S7_PT6_21rocsparse_index_base_b
; %bb.0:
	s_clause 0x1
	s_load_dwordx2 s[2:3], s[4:5], 0x68
	s_load_dwordx2 s[0:1], s[4:5], 0x8
	s_add_u32 s7, s4, 8
	s_addc_u32 s10, s5, 0
	s_add_u32 s11, s4, 0x50
	s_addc_u32 s12, s5, 0
	s_load_dwordx2 s[8:9], s[4:5], 0x50
	s_waitcnt lgkmcnt(0)
	s_bitcmp1_b32 s3, 0
	s_cselect_b32 s0, s7, s0
	s_cselect_b32 s1, s10, s1
	v_mov_b32_e32 v1, s0
	v_mov_b32_e32 v2, s1
	s_cselect_b32 s0, s11, s8
	s_cselect_b32 s1, s12, s9
	flat_load_dwordx4 v[5:8], v[1:2]
	v_mov_b32_e32 v1, s0
	v_mov_b32_e32 v2, s1
	flat_load_dwordx4 v[1:4], v[1:2]
	s_waitcnt vmcnt(1) lgkmcnt(1)
	v_cmp_eq_f64_e32 vcc_lo, 0, v[5:6]
	v_cmp_eq_f64_e64 s0, 0, v[7:8]
	s_and_b32 s3, vcc_lo, s0
	s_mov_b32 s0, -1
	s_and_saveexec_b32 s1, s3
	s_cbranch_execz .LBB137_2
; %bb.1:
	s_waitcnt vmcnt(0) lgkmcnt(0)
	v_cmp_neq_f64_e32 vcc_lo, 1.0, v[1:2]
	v_cmp_neq_f64_e64 s0, 0, v[3:4]
	s_or_b32 s0, vcc_lo, s0
	s_orn2_b32 s0, s0, exec_lo
.LBB137_2:
	s_or_b32 exec_lo, exec_lo, s1
	s_and_saveexec_b32 s1, s0
	s_cbranch_execz .LBB137_8
; %bb.3:
	s_clause 0x1
	s_load_dwordx2 s[8:9], s[4:5], 0x20
	s_load_dwordx2 s[0:1], s[4:5], 0x0
	v_lshrrev_b32_e32 v9, 4, v0
	v_lshl_or_b32 v77, s6, 3, v9
	s_waitcnt lgkmcnt(0)
	s_cmp_lg_u64 s[8:9], 0
	s_cbranch_scc0 .LBB137_9
; %bb.4:
	s_load_dword s3, s[4:5], 0x18
	s_mov_b32 s6, 0
                                        ; implicit-def: $vgpr9
	s_waitcnt lgkmcnt(0)
	v_cmp_gt_i32_e32 vcc_lo, s3, v77
	s_mov_b32 s3, 0
	s_and_saveexec_b32 s7, vcc_lo
	s_xor_b32 s7, exec_lo, s7
	s_cbranch_execz .LBB137_6
; %bb.5:
	v_ashrrev_i32_e32 v78, 31, v77
	s_mov_b32 s3, exec_lo
	v_lshlrev_b64 v[9:10], 2, v[77:78]
	v_add_co_u32 v9, vcc_lo, s8, v9
	v_add_co_ci_u32_e64 v10, null, s9, v10, vcc_lo
	global_load_dword v9, v[9:10], off
	s_waitcnt vmcnt(0)
	v_subrev_nc_u32_e32 v9, s2, v9
.LBB137_6:
	s_or_b32 exec_lo, exec_lo, s7
	s_and_b32 vcc_lo, exec_lo, s6
	s_cbranch_vccz .LBB137_10
.LBB137_7:
	v_cmp_gt_i32_e32 vcc_lo, s0, v77
	s_andn2_b32 s0, s3, exec_lo
	s_and_b32 s3, vcc_lo, exec_lo
	s_or_b32 s3, s0, s3
	s_and_b32 exec_lo, exec_lo, s3
	s_cbranch_execnz .LBB137_11
.LBB137_8:
	s_endpgm
.LBB137_9:
	s_mov_b32 s3, 0
                                        ; implicit-def: $vgpr9
	s_cbranch_execnz .LBB137_7
.LBB137_10:
	v_mov_b32_e32 v77, v9
	s_and_b32 exec_lo, exec_lo, s3
	s_cbranch_execz .LBB137_8
.LBB137_11:
	s_load_dwordx8 s[8:15], s[4:5], 0x28
	v_ashrrev_i32_e32 v78, 31, v77
	v_and_b32_e32 v0, 15, v0
	s_load_dwordx2 s[6:7], s[4:5], 0x48
	v_lshlrev_b64 v[9:10], 2, v[77:78]
	s_waitcnt lgkmcnt(0)
	v_add_co_u32 v11, vcc_lo, s8, v9
	v_add_co_ci_u32_e64 v12, null, s9, v10, vcc_lo
	v_add_co_u32 v9, vcc_lo, s10, v9
	v_add_co_ci_u32_e64 v10, null, s11, v10, vcc_lo
	global_load_dword v103, v[11:12], off
	v_add_co_u32 v11, vcc_lo, v11, 4
	v_add_co_ci_u32_e64 v12, null, 0, v12, vcc_lo
	s_cmp_eq_u64 s[10:11], 0
	s_cselect_b32 vcc_lo, -1, 0
	s_cmp_eq_u32 s1, 1
	v_cndmask_b32_e32 v10, v10, v12, vcc_lo
	v_cndmask_b32_e32 v9, v9, v11, vcc_lo
	global_load_dword v11, v[9:10], off
	s_waitcnt vmcnt(1)
	v_subrev_nc_u32_e32 v9, s2, v103
	v_add_nc_u32_e32 v78, v9, v0
	v_ashrrev_i32_e32 v79, 31, v78
	s_waitcnt vmcnt(0)
	v_subrev_nc_u32_e32 v102, s2, v11
	v_lshlrev_b64 v[9:10], 7, v[78:79]
	v_cmp_lt_i32_e64 s0, v78, v102
	v_add_co_u32 v80, vcc_lo, s14, v9
	v_add_co_ci_u32_e64 v81, null, s15, v10, vcc_lo
	s_cbranch_scc1 .LBB137_23
; %bb.12:
	v_mov_b32_e32 v90, 0
	v_mov_b32_e32 v92, 0
	;; [unrolled: 1-line block ×16, first 2 shown]
	s_and_saveexec_b32 s3, s0
	s_cbranch_execz .LBB137_22
; %bb.13:
	v_add_nc_u32_e32 v9, v103, v0
	v_not_b32_e32 v10, v103
	v_mov_b32_e32 v82, 0
	v_mov_b32_e32 v84, 0
	;; [unrolled: 1-line block ×3, first 2 shown]
	v_subrev_nc_u32_e32 v9, s2, v9
	v_mov_b32_e32 v86, 0
	v_mov_b32_e32 v96, 0
	v_mov_b32_e32 v94, 0
	v_mov_b32_e32 v92, 0
	v_add_nc_u32_e32 v9, 16, v9
	v_mov_b32_e32 v90, 0
	v_mov_b32_e32 v101, v81
	;; [unrolled: 1-line block ×4, first 2 shown]
	v_max_i32_e32 v9, v9, v102
	v_mov_b32_e32 v89, 0
	v_mov_b32_e32 v87, 0
	;; [unrolled: 1-line block ×4, first 2 shown]
	v_add3_u32 v9, s2, v9, v10
	v_mov_b32_e32 v93, 0
	v_mov_b32_e32 v91, 0
	;; [unrolled: 1-line block ×4, first 2 shown]
	v_sub_nc_u32_e32 v9, v9, v0
	s_mov_b32 s1, exec_lo
	v_and_b32_e32 v10, 48, v9
	v_cmpx_ne_u32_e32 48, v10
	s_cbranch_execz .LBB137_17
; %bb.14:
	v_lshrrev_b32_e32 v10, 4, v9
	v_mov_b32_e32 v90, 0
	v_mov_b32_e32 v92, 0
	;; [unrolled: 1-line block ×4, first 2 shown]
	v_add_nc_u32_e32 v10, 1, v10
	v_mov_b32_e32 v86, 0
	v_mov_b32_e32 v88, 0
	;; [unrolled: 1-line block ×4, first 2 shown]
	v_and_b32_e32 v10, 3, v10
	v_mov_b32_e32 v101, v81
	v_mov_b32_e32 v91, 0
	;; [unrolled: 1-line block ×10, first 2 shown]
	v_sub_nc_u32_e32 v10, 0, v10
	v_mov_b32_e32 v100, v80
	s_mov_b32 s8, 0
.LBB137_15:                             ; =>This Inner Loop Header: Depth=1
	v_ashrrev_i32_e32 v99, 31, v98
	v_add_co_u32 v10, s9, v10, 1
	s_or_b32 s8, s9, s8
	v_lshlrev_b64 v[11:12], 2, v[98:99]
	v_add_nc_u32_e32 v98, 16, v98
	v_add_co_u32 v11, vcc_lo, s12, v11
	v_add_co_ci_u32_e64 v12, null, s13, v12, vcc_lo
	global_load_dword v43, v[11:12], off
	s_clause 0x7
	global_load_dwordx4 v[11:14], v[100:101], off offset:48
	global_load_dwordx4 v[15:18], v[100:101], off offset:32
	;; [unrolled: 1-line block ×3, first 2 shown]
	global_load_dwordx4 v[23:26], v[100:101], off
	global_load_dwordx4 v[27:30], v[100:101], off offset:112
	global_load_dwordx4 v[31:34], v[100:101], off offset:96
	;; [unrolled: 1-line block ×4, first 2 shown]
	s_waitcnt vmcnt(8)
	v_subrev_nc_u32_e32 v43, s2, v43
	v_lshlrev_b32_e32 v43, 2, v43
	v_ashrrev_i32_e32 v44, 31, v43
	v_lshlrev_b64 v[43:44], 4, v[43:44]
	v_add_co_u32 v55, vcc_lo, s6, v43
	v_add_co_ci_u32_e64 v56, null, s7, v44, vcc_lo
	v_add_co_u32 v100, vcc_lo, 0x800, v100
	v_add_co_ci_u32_e64 v101, null, 0, v101, vcc_lo
	s_clause 0x3
	global_load_dwordx4 v[43:46], v[55:56], off
	global_load_dwordx4 v[47:50], v[55:56], off offset:16
	global_load_dwordx4 v[51:54], v[55:56], off offset:32
	;; [unrolled: 1-line block ×3, first 2 shown]
	s_waitcnt vmcnt(3)
	v_fma_f64 v[59:60], v[23:24], v[43:44], v[92:93]
	v_fma_f64 v[61:62], v[43:44], 0, v[90:91]
	v_fma_f64 v[63:64], v[15:16], v[43:44], v[96:97]
	v_fma_f64 v[65:66], v[43:44], 0, v[94:95]
	v_fma_f64 v[67:68], v[39:40], v[43:44], v[88:89]
	v_fma_f64 v[69:70], v[43:44], 0, v[86:87]
	v_fma_f64 v[71:72], v[31:32], v[43:44], v[82:83]
	v_fma_f64 v[43:44], v[43:44], 0, v[84:85]
	v_fma_f64 v[59:60], 0x80000000, v[45:46], v[59:60]
	v_fma_f64 v[23:24], v[23:24], v[45:46], v[61:62]
	v_fma_f64 v[61:62], 0x80000000, v[45:46], v[63:64]
	v_fma_f64 v[15:16], v[15:16], v[45:46], v[65:66]
	v_fma_f64 v[63:64], 0x80000000, v[45:46], v[67:68]
	v_fma_f64 v[39:40], v[39:40], v[45:46], v[69:70]
	v_fma_f64 v[65:66], 0x80000000, v[45:46], v[71:72]
	v_fma_f64 v[31:32], v[31:32], v[45:46], v[43:44]
	s_waitcnt vmcnt(2)
	v_fma_f64 v[43:44], v[25:26], v[47:48], v[59:60]
	v_fma_f64 v[23:24], v[47:48], 0, v[23:24]
	v_fma_f64 v[45:46], v[17:18], v[47:48], v[61:62]
	v_fma_f64 v[15:16], v[47:48], 0, v[15:16]
	v_fma_f64 v[59:60], v[41:42], v[47:48], v[63:64]
	v_fma_f64 v[39:40], v[47:48], 0, v[39:40]
	v_fma_f64 v[61:62], v[33:34], v[47:48], v[65:66]
	v_fma_f64 v[31:32], v[47:48], 0, v[31:32]
	v_fma_f64 v[43:44], 0x80000000, v[49:50], v[43:44]
	v_fma_f64 v[23:24], v[25:26], v[49:50], v[23:24]
	v_fma_f64 v[25:26], 0x80000000, v[49:50], v[45:46]
	v_fma_f64 v[15:16], v[17:18], v[49:50], v[15:16]
	v_fma_f64 v[17:18], 0x80000000, v[49:50], v[59:60]
	v_fma_f64 v[39:40], v[41:42], v[49:50], v[39:40]
	v_fma_f64 v[41:42], 0x80000000, v[49:50], v[61:62]
	v_fma_f64 v[31:32], v[33:34], v[49:50], v[31:32]
	;; [unrolled: 17-line block ×4, first 2 shown]
	s_andn2_b32 exec_lo, exec_lo, s8
	s_cbranch_execnz .LBB137_15
; %bb.16:
	s_or_b32 exec_lo, exec_lo, s8
.LBB137_17:
	s_or_b32 exec_lo, exec_lo, s1
	s_mov_b32 s8, exec_lo
	v_cmpx_lt_u32_e32 47, v9
	s_cbranch_execz .LBB137_21
; %bb.18:
	s_mov_b32 s9, 0
.LBB137_19:                             ; =>This Inner Loop Header: Depth=1
	v_ashrrev_i32_e32 v99, 31, v98
	v_add_co_u32 v41, vcc_lo, 0x800, v100
	v_add_co_ci_u32_e64 v42, null, 0, v101, vcc_lo
	v_add_co_u32 v43, vcc_lo, v100, 0x1000
	v_lshlrev_b64 v[140:141], 2, v[98:99]
	v_add_co_ci_u32_e64 v44, null, 0, v101, vcc_lo
	v_add_co_u32 v53, vcc_lo, 0x1000, v100
	v_add_co_ci_u32_e64 v54, null, 0, v101, vcc_lo
	v_add_co_u32 v148, vcc_lo, 0x1800, v100
	;; [unrolled: 2-line block ×3, first 2 shown]
	v_add_co_ci_u32_e64 v141, null, s13, v141, vcc_lo
	s_clause 0x19
	global_load_dwordx4 v[9:12], v[100:101], off offset:48
	global_load_dwordx4 v[21:24], v[100:101], off offset:32
	;; [unrolled: 1-line block ×3, first 2 shown]
	global_load_dwordx4 v[29:32], v[100:101], off
	global_load_dwordx4 v[17:20], v[100:101], off offset:112
	global_load_dwordx4 v[33:36], v[100:101], off offset:96
	;; [unrolled: 1-line block ×11, first 2 shown]
	global_load_dwordx4 v[116:119], v[43:44], off offset:-2048
	global_load_dwordx4 v[41:44], v[43:44], off
	global_load_dwordx4 v[120:123], v[53:54], off offset:32
	global_load_dwordx4 v[49:52], v[53:54], off offset:16
	;; [unrolled: 1-line block ×7, first 2 shown]
	global_load_dwordx4 v[69:72], v[148:149], off
	global_load_dwordx4 v[53:56], v[148:149], off offset:48
	s_clause 0x3
	global_load_dword v79, v[140:141], off
	global_load_dword v99, v[140:141], off offset:64
	global_load_dword v152, v[140:141], off offset:128
	;; [unrolled: 1-line block ×3, first 2 shown]
	v_add_nc_u32_e32 v98, 64, v98
	v_add_co_u32 v100, s1, 0x2000, v100
	v_add_co_ci_u32_e64 v101, null, 0, v101, s1
	s_waitcnt vmcnt(3)
	v_subrev_nc_u32_e32 v79, s2, v79
	v_lshlrev_b32_e32 v140, 2, v79
	s_waitcnt vmcnt(2)
	v_subrev_nc_u32_e32 v79, s2, v99
	v_ashrrev_i32_e32 v141, 31, v140
	v_lshlrev_b64 v[140:141], 4, v[140:141]
	v_add_co_u32 v150, vcc_lo, s6, v140
	v_add_co_ci_u32_e64 v151, null, s7, v141, vcc_lo
	s_clause 0x1
	global_load_dwordx4 v[140:143], v[150:151], off
	global_load_dwordx4 v[144:147], v[150:151], off offset:16
	s_waitcnt vmcnt(1)
	v_fma_f64 v[90:91], v[140:141], 0, v[90:91]
	v_fma_f64 v[94:95], v[140:141], 0, v[94:95]
	;; [unrolled: 1-line block ×15, first 2 shown]
	global_load_dwordx4 v[82:85], v[148:149], off offset:32
	v_fma_f64 v[88:89], 0x80000000, v[142:143], v[88:89]
	s_waitcnt vmcnt(1)
	v_fma_f64 v[29:30], v[144:145], 0, v[29:30]
	v_fma_f64 v[21:22], v[144:145], 0, v[21:22]
	;; [unrolled: 1-line block ×9, first 2 shown]
	v_lshlrev_b32_e32 v29, 2, v79
	v_fma_f64 v[140:141], v[23:24], v[146:147], v[21:22]
	v_fma_f64 v[90:91], 0x80000000, v[146:147], v[90:91]
	v_fma_f64 v[142:143], v[39:40], v[146:147], v[37:38]
	v_fma_f64 v[92:93], 0x80000000, v[146:147], v[92:93]
	v_ashrrev_i32_e32 v30, 31, v29
	v_fma_f64 v[144:145], v[35:36], v[146:147], v[33:34]
	v_subrev_nc_u32_e32 v79, s2, v152
	v_lshlrev_b64 v[29:30], 4, v[29:30]
	v_add_co_u32 v96, vcc_lo, s6, v29
	v_add_co_ci_u32_e64 v97, null, s7, v30, vcc_lo
	s_clause 0x1
	global_load_dwordx4 v[21:24], v[150:151], off offset:32
	global_load_dwordx4 v[29:32], v[150:151], off offset:48
	v_fma_f64 v[150:151], 0x80000000, v[146:147], v[88:89]
	v_fma_f64 v[146:147], 0x80000000, v[146:147], v[86:87]
	s_clause 0x2
	global_load_dwordx4 v[37:40], v[96:97], off
	global_load_dwordx4 v[33:36], v[96:97], off offset:16
	global_load_dwordx4 v[86:89], v[96:97], off offset:32
	s_waitcnt vmcnt(4)
	v_fma_f64 v[94:95], v[21:22], 0, v[94:95]
	v_fma_f64 v[90:91], v[13:14], v[21:22], v[90:91]
	;; [unrolled: 1-line block ×12, first 2 shown]
	v_lshlrev_b32_e32 v142, 2, v79
	v_fma_f64 v[92:93], 0x80000000, v[23:24], v[92:93]
	v_fma_f64 v[94:95], 0x80000000, v[23:24], v[150:151]
	;; [unrolled: 1-line block ×4, first 2 shown]
	v_ashrrev_i32_e32 v143, 31, v142
	v_subrev_nc_u32_e32 v79, s2, v153
	global_load_dwordx4 v[21:24], v[148:149], off offset:112
	s_waitcnt vmcnt(4)
	v_fma_f64 v[13:14], v[29:30], 0, v[13:14]
	v_fma_f64 v[90:91], v[15:16], v[29:30], v[90:91]
	;; [unrolled: 1-line block ×9, first 2 shown]
	global_load_dwordx4 v[13:16], v[96:97], off offset:48
	v_lshlrev_b64 v[96:97], 4, v[142:143]
	v_fma_f64 v[142:143], v[11:12], v[31:32], v[9:10]
	v_fma_f64 v[90:91], 0x80000000, v[31:32], v[90:91]
	;; [unrolled: 1-line block ×5, first 2 shown]
	v_add_co_u32 v96, vcc_lo, s6, v96
	v_add_co_ci_u32_e64 v97, null, s7, v97, vcc_lo
	v_fma_f64 v[94:95], 0x80000000, v[31:32], v[94:95]
	v_fma_f64 v[150:151], 0x80000000, v[31:32], v[29:30]
	global_load_dwordx4 v[25:28], v[148:149], off offset:96
	s_clause 0x2
	global_load_dwordx4 v[9:12], v[96:97], off
	global_load_dwordx4 v[17:20], v[96:97], off offset:16
	global_load_dwordx4 v[29:32], v[96:97], off offset:32
	s_waitcnt vmcnt(8)
	v_fma_f64 v[144:145], v[37:38], 0, v[144:145]
	v_fma_f64 v[142:143], v[37:38], 0, v[142:143]
	;; [unrolled: 1-line block ×14, first 2 shown]
	v_lshlrev_b32_e32 v94, 2, v79
	v_fma_f64 v[144:145], 0x80000000, v[39:40], v[150:151]
	v_fma_f64 v[108:109], v[108:109], v[39:40], v[37:38]
	global_load_dwordx4 v[37:40], v[148:149], off offset:64
	v_ashrrev_i32_e32 v95, 31, v94
	s_waitcnt vmcnt(8)
	v_fma_f64 v[92:93], v[33:34], 0, v[116:117]
	v_lshlrev_b64 v[94:95], 4, v[94:95]
	v_fma_f64 v[116:117], v[118:119], v[33:34], v[90:91]
	v_fma_f64 v[112:113], v[33:34], 0, v[112:113]
	v_add_co_u32 v146, vcc_lo, s6, v94
	v_add_co_ci_u32_e64 v147, null, s7, v95, vcc_lo
	v_fma_f64 v[94:95], v[33:34], 0, v[104:105]
	v_fma_f64 v[104:105], v[106:107], v[33:34], v[140:141]
	;; [unrolled: 1-line block ×5, first 2 shown]
	v_cmp_ge_i32_e32 vcc_lo, v98, v102
	s_or_b32 s9, vcc_lo, s9
	v_fma_f64 v[118:119], v[118:119], v[35:36], v[92:93]
	global_load_dwordx4 v[90:93], v[96:97], off offset:48
	v_fma_f64 v[108:109], 0x80000000, v[35:36], v[116:117]
	v_fma_f64 v[112:113], v[114:115], v[35:36], v[112:113]
	;; [unrolled: 1-line block ×3, first 2 shown]
	global_load_dwordx4 v[94:97], v[146:147], off
	v_fma_f64 v[104:105], 0x80000000, v[35:36], v[104:105]
	v_fma_f64 v[116:117], 0x80000000, v[35:36], v[140:141]
	;; [unrolled: 1-line block ×4, first 2 shown]
	global_load_dwordx4 v[33:36], v[146:147], off offset:16
	s_waitcnt vmcnt(10)
	v_fma_f64 v[118:119], v[86:87], 0, v[118:119]
	v_fma_f64 v[108:109], v[65:66], v[86:87], v[108:109]
	;; [unrolled: 1-line block ×16, first 2 shown]
	s_clause 0x1
	global_load_dwordx4 v[104:107], v[148:149], off offset:80
	global_load_dwordx4 v[86:89], v[148:149], off offset:16
	;; [unrolled: 1-line block ×3, first 2 shown]
	s_waitcnt vmcnt(11)
	v_fma_f64 v[114:115], v[67:68], v[13:14], v[140:141]
	v_fma_f64 v[65:66], v[13:14], 0, v[65:66]
	;; [unrolled: 1-line block ×16, first 2 shown]
	global_load_dwordx4 v[13:16], v[146:147], off offset:48
	s_waitcnt vmcnt(10)
	v_fma_f64 v[57:58], v[41:42], v[9:10], v[57:58]
	v_fma_f64 v[65:66], v[9:10], 0, v[65:66]
	v_fma_f64 v[67:68], v[120:121], v[9:10], v[67:68]
	v_fma_f64 v[73:74], v[9:10], 0, v[73:74]
	v_fma_f64 v[75:76], v[136:137], v[9:10], v[75:76]
	v_fma_f64 v[61:62], v[9:10], 0, v[61:62]
	v_fma_f64 v[63:64], v[124:125], v[9:10], v[63:64]
	v_fma_f64 v[9:10], v[9:10], 0, v[59:60]
	v_fma_f64 v[57:58], 0x80000000, v[11:12], v[57:58]
	v_fma_f64 v[41:42], v[41:42], v[11:12], v[65:66]
	v_fma_f64 v[59:60], 0x80000000, v[11:12], v[67:68]
	v_fma_f64 v[65:66], v[120:121], v[11:12], v[73:74]
	v_fma_f64 v[67:68], 0x80000000, v[11:12], v[75:76]
	v_fma_f64 v[61:62], v[136:137], v[11:12], v[61:62]
	v_fma_f64 v[63:64], 0x80000000, v[11:12], v[63:64]
	v_fma_f64 v[9:10], v[124:125], v[11:12], v[9:10]
	s_waitcnt vmcnt(9)
	v_fma_f64 v[11:12], v[43:44], v[17:18], v[57:58]
	v_fma_f64 v[41:42], v[17:18], 0, v[41:42]
	v_fma_f64 v[57:58], v[122:123], v[17:18], v[59:60]
	v_fma_f64 v[59:60], v[17:18], 0, v[65:66]
	v_fma_f64 v[65:66], v[138:139], v[17:18], v[67:68]
	v_fma_f64 v[61:62], v[17:18], 0, v[61:62]
	v_fma_f64 v[63:64], v[126:127], v[17:18], v[63:64]
	v_fma_f64 v[9:10], v[17:18], 0, v[9:10]
	v_fma_f64 v[11:12], 0x80000000, v[19:20], v[11:12]
	v_fma_f64 v[17:18], v[43:44], v[19:20], v[41:42]
	v_fma_f64 v[41:42], 0x80000000, v[19:20], v[57:58]
	v_fma_f64 v[43:44], v[122:123], v[19:20], v[59:60]
	v_fma_f64 v[57:58], 0x80000000, v[19:20], v[65:66]
	v_fma_f64 v[59:60], v[138:139], v[19:20], v[61:62]
	v_fma_f64 v[61:62], 0x80000000, v[19:20], v[63:64]
	v_fma_f64 v[9:10], v[126:127], v[19:20], v[9:10]
	;; [unrolled: 17-line block ×8, first 2 shown]
	s_andn2_b32 exec_lo, exec_lo, s9
	s_cbranch_execnz .LBB137_19
; %bb.20:
	s_or_b32 exec_lo, exec_lo, s9
.LBB137_21:
	s_or_b32 exec_lo, exec_lo, s8
.LBB137_22:
	s_or_b32 exec_lo, exec_lo, s3
	s_cbranch_execz .LBB137_24
	s_branch .LBB137_35
.LBB137_23:
                                        ; implicit-def: $vgpr90_vgpr91
                                        ; implicit-def: $vgpr92_vgpr93
                                        ; implicit-def: $vgpr94_vgpr95
                                        ; implicit-def: $vgpr96_vgpr97
                                        ; implicit-def: $vgpr86_vgpr87
                                        ; implicit-def: $vgpr88_vgpr89
                                        ; implicit-def: $vgpr84_vgpr85
                                        ; implicit-def: $vgpr82_vgpr83
.LBB137_24:
	v_mov_b32_e32 v90, 0
	v_mov_b32_e32 v92, 0
	;; [unrolled: 1-line block ×16, first 2 shown]
	s_and_saveexec_b32 s1, s0
	s_cbranch_execz .LBB137_34
; %bb.25:
	v_add_nc_u32_e32 v9, v103, v0
	v_not_b32_e32 v10, v103
	v_mov_b32_e32 v82, 0
	v_mov_b32_e32 v84, 0
	;; [unrolled: 1-line block ×3, first 2 shown]
	v_subrev_nc_u32_e32 v9, s2, v9
	v_mov_b32_e32 v86, 0
	v_mov_b32_e32 v96, 0
	;; [unrolled: 1-line block ×4, first 2 shown]
	v_add_nc_u32_e32 v9, 16, v9
	v_mov_b32_e32 v90, 0
	v_mov_b32_e32 v83, 0
	;; [unrolled: 1-line block ×4, first 2 shown]
	v_max_i32_e32 v9, v9, v102
	v_mov_b32_e32 v87, 0
	v_mov_b32_e32 v97, 0
	;; [unrolled: 1-line block ×4, first 2 shown]
	v_add3_u32 v9, s2, v9, v10
	v_mov_b32_e32 v91, 0
	s_mov_b32 s0, exec_lo
	v_sub_nc_u32_e32 v9, v9, v0
	v_and_b32_e32 v10, 48, v9
	v_cmpx_ne_u32_e32 48, v10
	s_cbranch_execz .LBB137_29
; %bb.26:
	v_lshrrev_b32_e32 v10, 4, v9
	v_mov_b32_e32 v90, 0
	v_mov_b32_e32 v92, 0
	;; [unrolled: 1-line block ×4, first 2 shown]
	v_add_nc_u32_e32 v10, 1, v10
	v_mov_b32_e32 v86, 0
	v_mov_b32_e32 v88, 0
	v_mov_b32_e32 v84, 0
	v_mov_b32_e32 v82, 0
	v_and_b32_e32 v10, 3, v10
	v_mov_b32_e32 v91, 0
	v_mov_b32_e32 v93, 0
	;; [unrolled: 1-line block ×8, first 2 shown]
	v_sub_nc_u32_e32 v10, 0, v10
	s_mov_b32 s3, 0
.LBB137_27:                             ; =>This Inner Loop Header: Depth=1
	v_ashrrev_i32_e32 v79, 31, v78
	v_add_co_u32 v10, s8, v10, 1
	s_or_b32 s3, s8, s3
	v_lshlrev_b64 v[11:12], 2, v[78:79]
	v_add_nc_u32_e32 v78, 16, v78
	v_add_co_u32 v11, vcc_lo, s12, v11
	v_add_co_ci_u32_e64 v12, null, s13, v12, vcc_lo
	global_load_dword v19, v[11:12], off
	s_clause 0x1
	global_load_dwordx4 v[11:14], v[80:81], off offset:16
	global_load_dwordx4 v[15:18], v[80:81], off
	s_waitcnt vmcnt(2)
	v_subrev_nc_u32_e32 v19, s2, v19
	v_lshlrev_b32_e32 v19, 2, v19
	v_ashrrev_i32_e32 v20, 31, v19
	v_lshlrev_b64 v[19:20], 4, v[19:20]
	v_add_co_u32 v47, vcc_lo, s6, v19
	v_add_co_ci_u32_e64 v48, null, s7, v20, vcc_lo
	s_clause 0x1
	global_load_dwordx4 v[19:22], v[47:48], off
	global_load_dwordx4 v[23:26], v[47:48], off offset:16
	s_clause 0x3
	global_load_dwordx4 v[27:30], v[80:81], off offset:32
	global_load_dwordx4 v[31:34], v[80:81], off offset:48
	;; [unrolled: 1-line block ×4, first 2 shown]
	s_clause 0x1
	global_load_dwordx4 v[43:46], v[47:48], off offset:32
	global_load_dwordx4 v[47:50], v[47:48], off offset:48
	s_clause 0x1
	global_load_dwordx4 v[51:54], v[80:81], off offset:96
	global_load_dwordx4 v[55:58], v[80:81], off offset:112
	v_add_co_u32 v80, vcc_lo, 0x800, v80
	v_add_co_ci_u32_e64 v81, null, 0, v81, vcc_lo
	s_waitcnt vmcnt(9)
	v_fma_f64 v[59:60], v[15:16], v[19:20], v[92:93]
	v_fma_f64 v[61:62], v[19:20], 0, v[90:91]
	;; [unrolled: 1-line block ×16, first 2 shown]
	s_waitcnt vmcnt(7)
	v_fma_f64 v[19:20], v[27:28], v[23:24], v[59:60]
	v_fma_f64 v[15:16], v[23:24], 0, v[15:16]
	;; [unrolled: 1-line block ×4, first 2 shown]
	s_waitcnt vmcnt(6)
	v_fma_f64 v[59:60], v[31:32], v[23:24], v[63:64]
	v_fma_f64 v[11:12], v[23:24], 0, v[11:12]
	;; [unrolled: 1-line block ×12, first 2 shown]
	s_waitcnt vmcnt(3)
	v_fma_f64 v[19:20], v[39:40], v[43:44], v[19:20]
	v_fma_f64 v[15:16], v[43:44], 0, v[15:16]
	;; [unrolled: 1-line block ×16, first 2 shown]
	s_waitcnt vmcnt(1)
	v_fma_f64 v[19:20], v[51:52], v[47:48], v[19:20]
	v_fma_f64 v[15:16], v[47:48], 0, v[15:16]
	;; [unrolled: 1-line block ×4, first 2 shown]
	s_waitcnt vmcnt(0)
	v_fma_f64 v[23:24], v[55:56], v[47:48], v[23:24]
	v_fma_f64 v[11:12], v[47:48], 0, v[11:12]
	;; [unrolled: 1-line block ×12, first 2 shown]
	s_andn2_b32 exec_lo, exec_lo, s3
	s_cbranch_execnz .LBB137_27
; %bb.28:
	s_or_b32 exec_lo, exec_lo, s3
.LBB137_29:
	s_or_b32 exec_lo, exec_lo, s0
	s_mov_b32 s3, exec_lo
	v_cmpx_lt_u32_e32 47, v9
	s_cbranch_execz .LBB137_33
; %bb.30:
	s_mov_b32 s8, 0
.LBB137_31:                             ; =>This Inner Loop Header: Depth=1
	v_ashrrev_i32_e32 v79, 31, v78
	v_add_co_u32 v65, vcc_lo, 0x800, v80
	v_add_co_ci_u32_e64 v66, null, 0, v81, vcc_lo
	v_add_co_u32 v73, vcc_lo, v80, 0x1000
	v_lshlrev_b64 v[103:104], 2, v[78:79]
	v_add_co_ci_u32_e64 v74, null, 0, v81, vcc_lo
	v_add_co_u32 v123, vcc_lo, 0x1000, v80
	v_add_co_ci_u32_e64 v124, null, 0, v81, vcc_lo
	v_add_co_u32 v125, vcc_lo, 0x1800, v80
	;; [unrolled: 2-line block ×3, first 2 shown]
	v_add_co_ci_u32_e64 v104, null, s13, v104, vcc_lo
	s_clause 0x11
	global_load_dwordx4 v[9:12], v[80:81], off offset:48
	global_load_dwordx4 v[13:16], v[80:81], off offset:32
	;; [unrolled: 1-line block ×3, first 2 shown]
	global_load_dwordx4 v[37:40], v[80:81], off
	global_load_dwordx4 v[17:20], v[80:81], off offset:112
	global_load_dwordx4 v[21:24], v[80:81], off offset:96
	;; [unrolled: 1-line block ×11, first 2 shown]
	global_load_dwordx4 v[69:72], v[73:74], off offset:-2048
	global_load_dwordx4 v[73:76], v[73:74], off
	global_load_dwordx4 v[98:101], v[123:124], off offset:48
	s_clause 0x3
	global_load_dword v79, v[103:104], off
	global_load_dword v105, v[103:104], off offset:64
	global_load_dword v135, v[103:104], off offset:128
	;; [unrolled: 1-line block ×3, first 2 shown]
	v_add_nc_u32_e32 v78, 64, v78
	v_add_co_u32 v80, s0, 0x2000, v80
	v_add_co_ci_u32_e64 v81, null, 0, v81, s0
	s_waitcnt vmcnt(3)
	v_subrev_nc_u32_e32 v79, s2, v79
	s_waitcnt vmcnt(2)
	v_subrev_nc_u32_e32 v104, s2, v105
	v_lshlrev_b32_e32 v103, 2, v79
	v_lshlrev_b32_e32 v105, 2, v104
	s_waitcnt vmcnt(1)
	v_subrev_nc_u32_e32 v79, s2, v135
	v_ashrrev_i32_e32 v104, 31, v103
	v_ashrrev_i32_e32 v106, 31, v105
	v_lshlrev_b64 v[103:104], 4, v[103:104]
	v_lshlrev_b64 v[105:106], 4, v[105:106]
	v_add_co_u32 v115, vcc_lo, s6, v103
	v_add_co_ci_u32_e64 v116, null, s7, v104, vcc_lo
	v_add_co_u32 v127, vcc_lo, s6, v105
	v_add_co_ci_u32_e64 v128, null, s7, v106, vcc_lo
	s_clause 0x4
	global_load_dwordx4 v[103:106], v[115:116], off
	global_load_dwordx4 v[107:110], v[115:116], off offset:16
	global_load_dwordx4 v[111:114], v[115:116], off offset:32
	;; [unrolled: 1-line block ×3, first 2 shown]
	global_load_dwordx4 v[119:122], v[127:128], off
	s_waitcnt vmcnt(4)
	v_fma_f64 v[90:91], v[103:104], 0, v[90:91]
	v_fma_f64 v[94:95], v[103:104], 0, v[94:95]
	;; [unrolled: 1-line block ×10, first 2 shown]
	global_load_dwordx4 v[37:40], v[127:128], off offset:16
	v_fma_f64 v[103:104], v[25:26], v[105:106], v[86:87]
	v_fma_f64 v[129:130], v[27:28], v[105:106], v[84:85]
	;; [unrolled: 1-line block ×6, first 2 shown]
	global_load_dwordx4 v[82:85], v[127:128], off offset:32
	global_load_dwordx4 v[25:28], v[123:124], off offset:32
	s_waitcnt vmcnt(6)
	v_fma_f64 v[88:89], v[107:108], 0, v[90:91]
	v_fma_f64 v[90:91], v[107:108], 0, v[94:95]
	;; [unrolled: 1-line block ×3, first 2 shown]
	v_lshlrev_b32_e32 v86, 2, v79
	v_fma_f64 v[92:93], v[15:16], v[107:108], v[92:93]
	v_fma_f64 v[96:97], v[9:10], v[107:108], v[96:97]
	;; [unrolled: 1-line block ×3, first 2 shown]
	v_subrev_nc_u32_e32 v79, s2, v137
	v_ashrrev_i32_e32 v87, 31, v86
	v_lshlrev_b64 v[86:87], 4, v[86:87]
	v_fma_f64 v[131:132], v[13:14], v[109:110], v[88:89]
	v_add_co_u32 v135, vcc_lo, s6, v86
	v_fma_f64 v[133:134], v[15:16], v[109:110], v[90:91]
	v_add_co_ci_u32_e64 v136, null, s7, v87, vcc_lo
	global_load_dwordx4 v[86:89], v[127:128], off offset:48
	v_fma_f64 v[90:91], v[107:108], 0, v[103:104]
	v_fma_f64 v[103:104], v[107:108], 0, v[129:130]
	;; [unrolled: 1-line block ×6, first 2 shown]
	global_load_dwordx4 v[13:16], v[123:124], off offset:16
	s_waitcnt vmcnt(7)
	v_fma_f64 v[129:130], v[111:112], 0, v[133:134]
	v_fma_f64 v[107:108], v[9:10], v[109:110], v[90:91]
	;; [unrolled: 1-line block ×8, first 2 shown]
	s_clause 0x1
	global_load_dwordx4 v[9:12], v[123:124], off offset:112
	global_load_dwordx4 v[90:93], v[123:124], off offset:96
	v_fma_f64 v[129:130], v[35:36], v[113:114], v[129:130]
	v_fma_f64 v[107:108], v[111:112], 0, v[107:108]
	;; [unrolled: 1-line block ×4, first 2 shown]
	global_load_dwordx4 v[33:36], v[135:136], off
	v_fma_f64 v[111:112], 0x80000000, v[113:114], v[94:95]
	v_fma_f64 v[127:128], 0x80000000, v[113:114], v[127:128]
	;; [unrolled: 1-line block ×4, first 2 shown]
	global_load_dwordx4 v[94:97], v[135:136], off offset:16
	v_fma_f64 v[107:108], v[29:30], v[113:114], v[107:108]
	v_fma_f64 v[103:104], v[31:32], v[113:114], v[103:104]
	s_waitcnt vmcnt(10)
	v_fma_f64 v[109:110], v[115:116], 0, v[109:110]
	v_fma_f64 v[113:114], v[115:116], 0, v[129:130]
	global_load_dwordx4 v[29:32], v[123:124], off offset:80
	v_fma_f64 v[111:112], v[21:22], v[115:116], v[111:112]
	v_fma_f64 v[127:128], v[23:24], v[115:116], v[127:128]
	;; [unrolled: 1-line block ×7, first 2 shown]
	global_load_dwordx4 v[21:24], v[123:124], off offset:64
	v_fma_f64 v[123:124], v[17:18], v[115:116], v[131:132]
	v_fma_f64 v[115:116], v[17:18], v[117:118], v[107:108]
	;; [unrolled: 1-line block ×5, first 2 shown]
	s_waitcnt vmcnt(11)
	v_fma_f64 v[109:110], v[119:120], 0, v[109:110]
	v_fma_f64 v[123:124], 0x80000000, v[117:118], v[123:124]
	;; [unrolled: 1-line block ×3, first 2 shown]
	global_load_dwordx4 v[103:106], v[135:136], off offset:32
	v_fma_f64 v[113:114], v[119:120], 0, v[113:114]
	global_load_dwordx4 v[17:20], v[125:126], off
	v_fma_f64 v[115:116], v[119:120], 0, v[115:116]
	v_fma_f64 v[129:130], v[119:120], 0, v[129:130]
	;; [unrolled: 1-line block ×5, first 2 shown]
	global_load_dwordx4 v[107:110], v[135:136], off offset:48
	v_fma_f64 v[123:124], v[45:46], v[119:120], v[123:124]
	v_fma_f64 v[117:118], v[47:48], v[119:120], v[117:118]
	;; [unrolled: 1-line block ×3, first 2 shown]
	global_load_dwordx4 v[69:72], v[125:126], off offset:16
	v_fma_f64 v[115:116], v[45:46], v[121:122], v[115:116]
	v_lshlrev_b32_e32 v45, 2, v79
	v_fma_f64 v[119:120], v[47:48], v[121:122], v[129:130]
	v_fma_f64 v[127:128], 0x80000000, v[121:122], v[127:128]
	;; [unrolled: 1-line block ×3, first 2 shown]
	v_ashrrev_i32_e32 v46, 31, v45
	v_fma_f64 v[123:124], 0x80000000, v[121:122], v[123:124]
	v_fma_f64 v[117:118], 0x80000000, v[121:122], v[117:118]
	v_lshlrev_b64 v[45:46], 4, v[45:46]
	v_add_co_u32 v129, vcc_lo, s6, v45
	v_add_co_ci_u32_e64 v130, null, s7, v46, vcc_lo
	v_cmp_ge_i32_e32 vcc_lo, v78, v102
	global_load_dwordx4 v[45:48], v[129:130], off
	s_or_b32 s8, vcc_lo, s8
	s_waitcnt vmcnt(15)
	v_fma_f64 v[121:122], v[37:38], 0, v[131:132]
	v_fma_f64 v[113:114], v[37:38], 0, v[113:114]
	v_fma_f64 v[127:128], v[41:42], v[37:38], v[127:128]
	v_fma_f64 v[111:112], v[43:44], v[37:38], v[111:112]
	v_fma_f64 v[123:124], v[61:62], v[37:38], v[123:124]
	v_fma_f64 v[115:116], v[37:38], 0, v[115:116]
	v_fma_f64 v[117:118], v[63:64], v[37:38], v[117:118]
	v_fma_f64 v[37:38], v[37:38], 0, v[119:120]
	v_fma_f64 v[121:122], v[41:42], v[39:40], v[121:122]
	v_fma_f64 v[113:114], v[43:44], v[39:40], v[113:114]
	v_fma_f64 v[119:120], 0x80000000, v[39:40], v[127:128]
	v_fma_f64 v[111:112], 0x80000000, v[39:40], v[111:112]
	v_fma_f64 v[123:124], 0x80000000, v[39:40], v[123:124]
	v_fma_f64 v[115:116], v[61:62], v[39:40], v[115:116]
	v_fma_f64 v[117:118], 0x80000000, v[39:40], v[117:118]
	v_fma_f64 v[127:128], v[63:64], v[39:40], v[37:38]
	global_load_dwordx4 v[41:44], v[129:130], off offset:16
	s_clause 0x1
	global_load_dwordx4 v[37:40], v[125:126], off offset:32
	global_load_dwordx4 v[61:64], v[125:126], off offset:48
	s_waitcnt vmcnt(17)
	v_fma_f64 v[121:122], v[82:83], 0, v[121:122]
	v_fma_f64 v[113:114], v[82:83], 0, v[113:114]
	;; [unrolled: 1-line block ×16, first 2 shown]
	s_clause 0x1
	global_load_dwordx4 v[57:60], v[125:126], off offset:80
	global_load_dwordx4 v[65:68], v[125:126], off offset:64
	;; [unrolled: 1-line block ×3, first 2 shown]
	s_waitcnt vmcnt(18)
	v_fma_f64 v[121:122], v[86:87], 0, v[121:122]
	v_fma_f64 v[113:114], v[86:87], 0, v[113:114]
	;; [unrolled: 1-line block ×16, first 2 shown]
	s_clause 0x1
	global_load_dwordx4 v[49:52], v[125:126], off offset:96
	global_load_dwordx4 v[53:56], v[125:126], off offset:112
	;; [unrolled: 1-line block ×3, first 2 shown]
	s_waitcnt vmcnt(17)
	v_fma_f64 v[125:126], v[33:34], 0, v[131:132]
	v_fma_f64 v[88:89], v[73:74], v[33:34], v[119:120]
	v_fma_f64 v[119:120], v[33:34], 0, v[121:122]
	v_fma_f64 v[121:122], v[75:76], v[33:34], v[127:128]
	v_fma_f64 v[123:124], v[13:14], v[33:34], v[123:124]
	v_fma_f64 v[115:116], v[33:34], 0, v[115:116]
	v_fma_f64 v[117:118], v[15:16], v[33:34], v[117:118]
	v_fma_f64 v[33:34], v[33:34], 0, v[86:87]
	v_fma_f64 v[75:76], v[75:76], v[35:36], v[125:126]
	v_fma_f64 v[86:87], 0x80000000, v[35:36], v[88:89]
	v_fma_f64 v[73:74], v[73:74], v[35:36], v[119:120]
	v_fma_f64 v[88:89], 0x80000000, v[35:36], v[121:122]
	v_fma_f64 v[119:120], 0x80000000, v[35:36], v[123:124]
	v_fma_f64 v[13:14], v[13:14], v[35:36], v[115:116]
	v_fma_f64 v[115:116], 0x80000000, v[35:36], v[117:118]
	v_fma_f64 v[15:16], v[15:16], v[35:36], v[33:34]
	s_waitcnt vmcnt(16)
	v_fma_f64 v[75:76], v[94:95], 0, v[75:76]
	v_fma_f64 v[33:34], v[25:26], v[94:95], v[86:87]
	v_fma_f64 v[35:36], v[94:95], 0, v[73:74]
	v_fma_f64 v[73:74], v[27:28], v[94:95], v[88:89]
	v_fma_f64 v[86:87], v[98:99], v[94:95], v[119:120]
	v_fma_f64 v[13:14], v[94:95], 0, v[13:14]
	v_fma_f64 v[88:89], v[100:101], v[94:95], v[115:116]
	v_fma_f64 v[15:16], v[94:95], 0, v[15:16]
	v_fma_f64 v[27:28], v[27:28], v[96:97], v[75:76]
	v_fma_f64 v[33:34], 0x80000000, v[96:97], v[33:34]
	v_fma_f64 v[25:26], v[25:26], v[96:97], v[35:36]
	v_fma_f64 v[35:36], 0x80000000, v[96:97], v[73:74]
	v_fma_f64 v[73:74], 0x80000000, v[96:97], v[86:87]
	v_fma_f64 v[13:14], v[98:99], v[96:97], v[13:14]
	v_fma_f64 v[75:76], 0x80000000, v[96:97], v[88:89]
	v_fma_f64 v[15:16], v[100:101], v[96:97], v[15:16]
	;; [unrolled: 17-line block ×5, first 2 shown]
	s_waitcnt vmcnt(8)
	v_fma_f64 v[19:20], v[41:42], 0, v[19:20]
	s_waitcnt vmcnt(7)
	v_fma_f64 v[15:16], v[37:38], v[41:42], v[15:16]
	v_fma_f64 v[17:18], v[41:42], 0, v[17:18]
	;; [unrolled: 1-line block ×3, first 2 shown]
	s_waitcnt vmcnt(6)
	v_fma_f64 v[23:24], v[61:62], v[41:42], v[23:24]
	v_fma_f64 v[9:10], v[41:42], 0, v[9:10]
	;; [unrolled: 1-line block ×12, first 2 shown]
	s_waitcnt vmcnt(3)
	v_fma_f64 v[19:20], v[82:83], 0, v[19:20]
	v_fma_f64 v[15:16], v[65:66], v[82:83], v[15:16]
	v_fma_f64 v[17:18], v[82:83], 0, v[17:18]
	v_fma_f64 v[21:22], v[67:68], v[82:83], v[21:22]
	v_fma_f64 v[23:24], v[57:58], v[82:83], v[23:24]
	v_fma_f64 v[9:10], v[82:83], 0, v[9:10]
	v_fma_f64 v[13:14], v[59:60], v[82:83], v[13:14]
	v_fma_f64 v[11:12], v[82:83], 0, v[11:12]
	v_fma_f64 v[19:20], v[67:68], v[84:85], v[19:20]
	v_fma_f64 v[15:16], 0x80000000, v[84:85], v[15:16]
	v_fma_f64 v[17:18], v[65:66], v[84:85], v[17:18]
	v_fma_f64 v[21:22], 0x80000000, v[84:85], v[21:22]
	v_fma_f64 v[23:24], 0x80000000, v[84:85], v[23:24]
	v_fma_f64 v[9:10], v[57:58], v[84:85], v[9:10]
	v_fma_f64 v[13:14], 0x80000000, v[84:85], v[13:14]
	v_fma_f64 v[11:12], v[59:60], v[84:85], v[11:12]
	s_waitcnt vmcnt(0)
	v_fma_f64 v[19:20], v[111:112], 0, v[19:20]
	v_fma_f64 v[15:16], v[49:50], v[111:112], v[15:16]
	;; [unrolled: 1-line block ×16, first 2 shown]
	s_andn2_b32 exec_lo, exec_lo, s8
	s_cbranch_execnz .LBB137_31
; %bb.32:
	s_or_b32 exec_lo, exec_lo, s8
.LBB137_33:
	s_or_b32 exec_lo, exec_lo, s3
.LBB137_34:
	s_or_b32 exec_lo, exec_lo, s1
.LBB137_35:
	v_mbcnt_lo_u32_b32 v41, -1, 0
	v_xor_b32_e32 v9, 8, v41
	v_xor_b32_e32 v25, 4, v41
	v_cmp_gt_i32_e32 vcc_lo, 32, v9
	v_cndmask_b32_e32 v9, v41, v9, vcc_lo
	v_cmp_gt_i32_e32 vcc_lo, 32, v25
	v_lshlrev_b32_e32 v24, 2, v9
	v_cndmask_b32_e32 v25, v41, v25, vcc_lo
	ds_bpermute_b32 v9, v24, v92
	ds_bpermute_b32 v10, v24, v93
	;; [unrolled: 1-line block ×16, first 2 shown]
	v_lshlrev_b32_e32 v40, 2, v25
	s_waitcnt lgkmcnt(14)
	v_add_f64 v[9:10], v[92:93], v[9:10]
	s_waitcnt lgkmcnt(12)
	v_add_f64 v[11:12], v[90:91], v[11:12]
	s_waitcnt lgkmcnt(10)
	v_add_f64 v[13:14], v[96:97], v[13:14]
	s_waitcnt lgkmcnt(8)
	v_add_f64 v[15:16], v[94:95], v[15:16]
	s_waitcnt lgkmcnt(6)
	v_add_f64 v[17:18], v[88:89], v[17:18]
	s_waitcnt lgkmcnt(4)
	v_add_f64 v[19:20], v[86:87], v[19:20]
	s_waitcnt lgkmcnt(2)
	v_add_f64 v[21:22], v[82:83], v[21:22]
	s_waitcnt lgkmcnt(0)
	v_add_f64 v[23:24], v[84:85], v[23:24]
	ds_bpermute_b32 v25, v40, v9
	ds_bpermute_b32 v26, v40, v10
	;; [unrolled: 1-line block ×16, first 2 shown]
	s_waitcnt lgkmcnt(14)
	v_add_f64 v[9:10], v[9:10], v[25:26]
	v_xor_b32_e32 v25, 2, v41
	s_waitcnt lgkmcnt(12)
	v_add_f64 v[11:12], v[11:12], v[27:28]
	s_waitcnt lgkmcnt(10)
	v_add_f64 v[13:14], v[13:14], v[29:30]
	v_cmp_gt_i32_e32 vcc_lo, 32, v25
	s_waitcnt lgkmcnt(8)
	v_add_f64 v[15:16], v[15:16], v[31:32]
	s_waitcnt lgkmcnt(6)
	v_add_f64 v[17:18], v[17:18], v[33:34]
	;; [unrolled: 2-line block ×3, first 2 shown]
	v_cndmask_b32_e32 v27, v41, v25, vcc_lo
	s_waitcnt lgkmcnt(2)
	v_add_f64 v[21:22], v[21:22], v[37:38]
	s_waitcnt lgkmcnt(0)
	v_add_f64 v[25:26], v[23:24], v[39:40]
	v_lshlrev_b32_e32 v40, 2, v27
	ds_bpermute_b32 v23, v40, v9
	ds_bpermute_b32 v24, v40, v10
	;; [unrolled: 1-line block ×16, first 2 shown]
	s_waitcnt lgkmcnt(14)
	v_add_f64 v[9:10], v[9:10], v[23:24]
	s_waitcnt lgkmcnt(12)
	v_add_f64 v[27:28], v[11:12], v[27:28]
	s_waitcnt lgkmcnt(10)
	v_add_f64 v[11:12], v[13:14], v[29:30]
	v_xor_b32_e32 v29, 1, v41
	s_waitcnt lgkmcnt(8)
	v_add_f64 v[23:24], v[15:16], v[31:32]
	s_waitcnt lgkmcnt(6)
	v_add_f64 v[13:14], v[17:18], v[33:34]
	v_cmp_gt_i32_e32 vcc_lo, 32, v29
	s_waitcnt lgkmcnt(4)
	v_add_f64 v[17:18], v[19:20], v[35:36]
	s_waitcnt lgkmcnt(2)
	v_add_f64 v[15:16], v[21:22], v[37:38]
	;; [unrolled: 2-line block ×3, first 2 shown]
	v_cndmask_b32_e32 v29, v41, v29, vcc_lo
	v_cmp_eq_u32_e32 vcc_lo, 15, v0
	v_lshlrev_b32_e32 v34, 2, v29
	ds_bpermute_b32 v21, v34, v9
	ds_bpermute_b32 v22, v34, v10
	;; [unrolled: 1-line block ×16, first 2 shown]
	s_and_b32 exec_lo, exec_lo, vcc_lo
	s_cbranch_execz .LBB137_8
; %bb.36:
	s_waitcnt lgkmcnt(12)
	v_add_f64 v[27:28], v[27:28], v[39:40]
	s_waitcnt lgkmcnt(8)
	v_add_f64 v[23:24], v[23:24], v[37:38]
	;; [unrolled: 2-line block ×4, first 2 shown]
	v_add_f64 v[9:10], v[9:10], v[21:22]
	v_add_f64 v[11:12], v[11:12], v[25:26]
	;; [unrolled: 1-line block ×4, first 2 shown]
	v_cmp_eq_f64_e32 vcc_lo, 0, v[1:2]
	v_cmp_eq_f64_e64 s0, 0, v[3:4]
	s_load_dwordx2 s[2:3], s[4:5], 0x60
	v_mul_f64 v[13:14], v[27:28], -v[7:8]
	v_mul_f64 v[15:16], v[5:6], v[27:28]
	v_mul_f64 v[27:28], v[23:24], -v[7:8]
	v_mul_f64 v[23:24], v[5:6], v[23:24]
	;; [unrolled: 2-line block ×4, first 2 shown]
	s_and_b32 s0, vcc_lo, s0
	v_fma_f64 v[17:18], v[5:6], v[9:10], v[13:14]
	v_fma_f64 v[19:20], v[7:8], v[9:10], v[15:16]
	;; [unrolled: 1-line block ×8, first 2 shown]
	v_lshlrev_b32_e32 v21, 2, v77
	s_and_saveexec_b32 s1, s0
	s_xor_b32 s0, exec_lo, s1
	s_cbranch_execz .LBB137_38
; %bb.37:
	v_ashrrev_i32_e32 v22, 31, v21
	v_lshlrev_b64 v[0:1], 4, v[21:22]
                                        ; implicit-def: $vgpr21
	s_waitcnt lgkmcnt(0)
	v_add_co_u32 v0, vcc_lo, s2, v0
	v_add_co_ci_u32_e64 v1, null, s3, v1, vcc_lo
	global_store_dwordx4 v[0:1], v[17:20], off
	global_store_dwordx4 v[0:1], v[13:16], off offset:16
	global_store_dwordx4 v[0:1], v[9:12], off offset:32
	global_store_dwordx4 v[0:1], v[5:8], off offset:48
                                        ; implicit-def: $vgpr3_vgpr4
                                        ; implicit-def: $vgpr17_vgpr18
                                        ; implicit-def: $vgpr13_vgpr14
                                        ; implicit-def: $vgpr9_vgpr10
                                        ; implicit-def: $vgpr5_vgpr6
.LBB137_38:
	s_andn2_saveexec_b32 s0, s0
	s_cbranch_execz .LBB137_8
; %bb.39:
	v_ashrrev_i32_e32 v22, 31, v21
	v_lshlrev_b64 v[21:22], 4, v[21:22]
	s_waitcnt lgkmcnt(0)
	v_add_co_u32 v37, vcc_lo, s2, v21
	v_add_co_ci_u32_e64 v38, null, s3, v22, vcc_lo
	s_clause 0x3
	global_load_dwordx4 v[21:24], v[37:38], off
	global_load_dwordx4 v[25:28], v[37:38], off offset:16
	global_load_dwordx4 v[29:32], v[37:38], off offset:32
	;; [unrolled: 1-line block ×3, first 2 shown]
	s_waitcnt vmcnt(3)
	v_fma_f64 v[17:18], v[1:2], v[21:22], v[17:18]
	v_fma_f64 v[19:20], v[3:4], v[21:22], v[19:20]
	s_waitcnt vmcnt(2)
	v_fma_f64 v[13:14], v[1:2], v[25:26], v[13:14]
	v_fma_f64 v[15:16], v[3:4], v[25:26], v[15:16]
	;; [unrolled: 3-line block ×4, first 2 shown]
	v_fma_f64 v[5:6], -v[3:4], v[23:24], v[17:18]
	v_fma_f64 v[7:8], v[1:2], v[23:24], v[19:20]
	v_fma_f64 v[9:10], -v[3:4], v[27:28], v[13:14]
	v_fma_f64 v[11:12], v[1:2], v[27:28], v[15:16]
	;; [unrolled: 2-line block ×4, first 2 shown]
	global_store_dwordx4 v[37:38], v[5:8], off
	global_store_dwordx4 v[37:38], v[9:12], off offset:16
	global_store_dwordx4 v[37:38], v[13:16], off offset:32
	;; [unrolled: 1-line block ×3, first 2 shown]
	s_endpgm
	.section	.rodata,"a",@progbits
	.p2align	6, 0x0
	.amdhsa_kernel _ZN9rocsparseL18bsrxmvn_4x4_kernelILj128ELj16E21rocsparse_complex_numIdEiidS2_S2_EEvT3_20rocsparse_direction_NS_24const_host_device_scalarIT1_EES3_PKS3_PKT2_SC_S9_PKT4_PKT5_S7_PT6_21rocsparse_index_base_b
		.amdhsa_group_segment_fixed_size 0
		.amdhsa_private_segment_fixed_size 0
		.amdhsa_kernarg_size 112
		.amdhsa_user_sgpr_count 6
		.amdhsa_user_sgpr_private_segment_buffer 1
		.amdhsa_user_sgpr_dispatch_ptr 0
		.amdhsa_user_sgpr_queue_ptr 0
		.amdhsa_user_sgpr_kernarg_segment_ptr 1
		.amdhsa_user_sgpr_dispatch_id 0
		.amdhsa_user_sgpr_flat_scratch_init 0
		.amdhsa_user_sgpr_private_segment_size 0
		.amdhsa_wavefront_size32 1
		.amdhsa_uses_dynamic_stack 0
		.amdhsa_system_sgpr_private_segment_wavefront_offset 0
		.amdhsa_system_sgpr_workgroup_id_x 1
		.amdhsa_system_sgpr_workgroup_id_y 0
		.amdhsa_system_sgpr_workgroup_id_z 0
		.amdhsa_system_sgpr_workgroup_info 0
		.amdhsa_system_vgpr_workitem_id 0
		.amdhsa_next_free_vgpr 154
		.amdhsa_next_free_sgpr 16
		.amdhsa_reserve_vcc 1
		.amdhsa_reserve_flat_scratch 0
		.amdhsa_float_round_mode_32 0
		.amdhsa_float_round_mode_16_64 0
		.amdhsa_float_denorm_mode_32 3
		.amdhsa_float_denorm_mode_16_64 3
		.amdhsa_dx10_clamp 1
		.amdhsa_ieee_mode 1
		.amdhsa_fp16_overflow 0
		.amdhsa_workgroup_processor_mode 1
		.amdhsa_memory_ordered 1
		.amdhsa_forward_progress 1
		.amdhsa_shared_vgpr_count 0
		.amdhsa_exception_fp_ieee_invalid_op 0
		.amdhsa_exception_fp_denorm_src 0
		.amdhsa_exception_fp_ieee_div_zero 0
		.amdhsa_exception_fp_ieee_overflow 0
		.amdhsa_exception_fp_ieee_underflow 0
		.amdhsa_exception_fp_ieee_inexact 0
		.amdhsa_exception_int_div_zero 0
	.end_amdhsa_kernel
	.section	.text._ZN9rocsparseL18bsrxmvn_4x4_kernelILj128ELj16E21rocsparse_complex_numIdEiidS2_S2_EEvT3_20rocsparse_direction_NS_24const_host_device_scalarIT1_EES3_PKS3_PKT2_SC_S9_PKT4_PKT5_S7_PT6_21rocsparse_index_base_b,"axG",@progbits,_ZN9rocsparseL18bsrxmvn_4x4_kernelILj128ELj16E21rocsparse_complex_numIdEiidS2_S2_EEvT3_20rocsparse_direction_NS_24const_host_device_scalarIT1_EES3_PKS3_PKT2_SC_S9_PKT4_PKT5_S7_PT6_21rocsparse_index_base_b,comdat
.Lfunc_end137:
	.size	_ZN9rocsparseL18bsrxmvn_4x4_kernelILj128ELj16E21rocsparse_complex_numIdEiidS2_S2_EEvT3_20rocsparse_direction_NS_24const_host_device_scalarIT1_EES3_PKS3_PKT2_SC_S9_PKT4_PKT5_S7_PT6_21rocsparse_index_base_b, .Lfunc_end137-_ZN9rocsparseL18bsrxmvn_4x4_kernelILj128ELj16E21rocsparse_complex_numIdEiidS2_S2_EEvT3_20rocsparse_direction_NS_24const_host_device_scalarIT1_EES3_PKS3_PKT2_SC_S9_PKT4_PKT5_S7_PT6_21rocsparse_index_base_b
                                        ; -- End function
	.set _ZN9rocsparseL18bsrxmvn_4x4_kernelILj128ELj16E21rocsparse_complex_numIdEiidS2_S2_EEvT3_20rocsparse_direction_NS_24const_host_device_scalarIT1_EES3_PKS3_PKT2_SC_S9_PKT4_PKT5_S7_PT6_21rocsparse_index_base_b.num_vgpr, 154
	.set _ZN9rocsparseL18bsrxmvn_4x4_kernelILj128ELj16E21rocsparse_complex_numIdEiidS2_S2_EEvT3_20rocsparse_direction_NS_24const_host_device_scalarIT1_EES3_PKS3_PKT2_SC_S9_PKT4_PKT5_S7_PT6_21rocsparse_index_base_b.num_agpr, 0
	.set _ZN9rocsparseL18bsrxmvn_4x4_kernelILj128ELj16E21rocsparse_complex_numIdEiidS2_S2_EEvT3_20rocsparse_direction_NS_24const_host_device_scalarIT1_EES3_PKS3_PKT2_SC_S9_PKT4_PKT5_S7_PT6_21rocsparse_index_base_b.numbered_sgpr, 16
	.set _ZN9rocsparseL18bsrxmvn_4x4_kernelILj128ELj16E21rocsparse_complex_numIdEiidS2_S2_EEvT3_20rocsparse_direction_NS_24const_host_device_scalarIT1_EES3_PKS3_PKT2_SC_S9_PKT4_PKT5_S7_PT6_21rocsparse_index_base_b.num_named_barrier, 0
	.set _ZN9rocsparseL18bsrxmvn_4x4_kernelILj128ELj16E21rocsparse_complex_numIdEiidS2_S2_EEvT3_20rocsparse_direction_NS_24const_host_device_scalarIT1_EES3_PKS3_PKT2_SC_S9_PKT4_PKT5_S7_PT6_21rocsparse_index_base_b.private_seg_size, 0
	.set _ZN9rocsparseL18bsrxmvn_4x4_kernelILj128ELj16E21rocsparse_complex_numIdEiidS2_S2_EEvT3_20rocsparse_direction_NS_24const_host_device_scalarIT1_EES3_PKS3_PKT2_SC_S9_PKT4_PKT5_S7_PT6_21rocsparse_index_base_b.uses_vcc, 1
	.set _ZN9rocsparseL18bsrxmvn_4x4_kernelILj128ELj16E21rocsparse_complex_numIdEiidS2_S2_EEvT3_20rocsparse_direction_NS_24const_host_device_scalarIT1_EES3_PKS3_PKT2_SC_S9_PKT4_PKT5_S7_PT6_21rocsparse_index_base_b.uses_flat_scratch, 0
	.set _ZN9rocsparseL18bsrxmvn_4x4_kernelILj128ELj16E21rocsparse_complex_numIdEiidS2_S2_EEvT3_20rocsparse_direction_NS_24const_host_device_scalarIT1_EES3_PKS3_PKT2_SC_S9_PKT4_PKT5_S7_PT6_21rocsparse_index_base_b.has_dyn_sized_stack, 0
	.set _ZN9rocsparseL18bsrxmvn_4x4_kernelILj128ELj16E21rocsparse_complex_numIdEiidS2_S2_EEvT3_20rocsparse_direction_NS_24const_host_device_scalarIT1_EES3_PKS3_PKT2_SC_S9_PKT4_PKT5_S7_PT6_21rocsparse_index_base_b.has_recursion, 0
	.set _ZN9rocsparseL18bsrxmvn_4x4_kernelILj128ELj16E21rocsparse_complex_numIdEiidS2_S2_EEvT3_20rocsparse_direction_NS_24const_host_device_scalarIT1_EES3_PKS3_PKT2_SC_S9_PKT4_PKT5_S7_PT6_21rocsparse_index_base_b.has_indirect_call, 0
	.section	.AMDGPU.csdata,"",@progbits
; Kernel info:
; codeLenInByte = 10520
; TotalNumSgprs: 18
; NumVgprs: 154
; ScratchSize: 0
; MemoryBound: 0
; FloatMode: 240
; IeeeMode: 1
; LDSByteSize: 0 bytes/workgroup (compile time only)
; SGPRBlocks: 0
; VGPRBlocks: 19
; NumSGPRsForWavesPerEU: 18
; NumVGPRsForWavesPerEU: 154
; Occupancy: 6
; WaveLimiterHint : 1
; COMPUTE_PGM_RSRC2:SCRATCH_EN: 0
; COMPUTE_PGM_RSRC2:USER_SGPR: 6
; COMPUTE_PGM_RSRC2:TRAP_HANDLER: 0
; COMPUTE_PGM_RSRC2:TGID_X_EN: 1
; COMPUTE_PGM_RSRC2:TGID_Y_EN: 0
; COMPUTE_PGM_RSRC2:TGID_Z_EN: 0
; COMPUTE_PGM_RSRC2:TIDIG_COMP_CNT: 0
	.section	.text._ZN9rocsparseL18bsrxmvn_4x4_kernelILj128ELj32E21rocsparse_complex_numIdEiidS2_S2_EEvT3_20rocsparse_direction_NS_24const_host_device_scalarIT1_EES3_PKS3_PKT2_SC_S9_PKT4_PKT5_S7_PT6_21rocsparse_index_base_b,"axG",@progbits,_ZN9rocsparseL18bsrxmvn_4x4_kernelILj128ELj32E21rocsparse_complex_numIdEiidS2_S2_EEvT3_20rocsparse_direction_NS_24const_host_device_scalarIT1_EES3_PKS3_PKT2_SC_S9_PKT4_PKT5_S7_PT6_21rocsparse_index_base_b,comdat
	.globl	_ZN9rocsparseL18bsrxmvn_4x4_kernelILj128ELj32E21rocsparse_complex_numIdEiidS2_S2_EEvT3_20rocsparse_direction_NS_24const_host_device_scalarIT1_EES3_PKS3_PKT2_SC_S9_PKT4_PKT5_S7_PT6_21rocsparse_index_base_b ; -- Begin function _ZN9rocsparseL18bsrxmvn_4x4_kernelILj128ELj32E21rocsparse_complex_numIdEiidS2_S2_EEvT3_20rocsparse_direction_NS_24const_host_device_scalarIT1_EES3_PKS3_PKT2_SC_S9_PKT4_PKT5_S7_PT6_21rocsparse_index_base_b
	.p2align	8
	.type	_ZN9rocsparseL18bsrxmvn_4x4_kernelILj128ELj32E21rocsparse_complex_numIdEiidS2_S2_EEvT3_20rocsparse_direction_NS_24const_host_device_scalarIT1_EES3_PKS3_PKT2_SC_S9_PKT4_PKT5_S7_PT6_21rocsparse_index_base_b,@function
_ZN9rocsparseL18bsrxmvn_4x4_kernelILj128ELj32E21rocsparse_complex_numIdEiidS2_S2_EEvT3_20rocsparse_direction_NS_24const_host_device_scalarIT1_EES3_PKS3_PKT2_SC_S9_PKT4_PKT5_S7_PT6_21rocsparse_index_base_b: ; @_ZN9rocsparseL18bsrxmvn_4x4_kernelILj128ELj32E21rocsparse_complex_numIdEiidS2_S2_EEvT3_20rocsparse_direction_NS_24const_host_device_scalarIT1_EES3_PKS3_PKT2_SC_S9_PKT4_PKT5_S7_PT6_21rocsparse_index_base_b
; %bb.0:
	s_clause 0x1
	s_load_dwordx2 s[2:3], s[4:5], 0x68
	s_load_dwordx2 s[0:1], s[4:5], 0x8
	s_add_u32 s7, s4, 8
	s_addc_u32 s10, s5, 0
	s_add_u32 s11, s4, 0x50
	s_addc_u32 s12, s5, 0
	s_load_dwordx2 s[8:9], s[4:5], 0x50
	s_waitcnt lgkmcnt(0)
	s_bitcmp1_b32 s3, 0
	s_cselect_b32 s0, s7, s0
	s_cselect_b32 s1, s10, s1
	v_mov_b32_e32 v1, s0
	v_mov_b32_e32 v2, s1
	s_cselect_b32 s0, s11, s8
	s_cselect_b32 s1, s12, s9
	flat_load_dwordx4 v[5:8], v[1:2]
	v_mov_b32_e32 v1, s0
	v_mov_b32_e32 v2, s1
	flat_load_dwordx4 v[1:4], v[1:2]
	s_waitcnt vmcnt(1) lgkmcnt(1)
	v_cmp_eq_f64_e32 vcc_lo, 0, v[5:6]
	v_cmp_eq_f64_e64 s0, 0, v[7:8]
	s_and_b32 s3, vcc_lo, s0
	s_mov_b32 s0, -1
	s_and_saveexec_b32 s1, s3
	s_cbranch_execz .LBB138_2
; %bb.1:
	s_waitcnt vmcnt(0) lgkmcnt(0)
	v_cmp_neq_f64_e32 vcc_lo, 1.0, v[1:2]
	v_cmp_neq_f64_e64 s0, 0, v[3:4]
	s_or_b32 s0, vcc_lo, s0
	s_orn2_b32 s0, s0, exec_lo
.LBB138_2:
	s_or_b32 exec_lo, exec_lo, s1
	s_and_saveexec_b32 s1, s0
	s_cbranch_execz .LBB138_8
; %bb.3:
	s_clause 0x1
	s_load_dwordx2 s[8:9], s[4:5], 0x20
	s_load_dwordx2 s[0:1], s[4:5], 0x0
	v_lshrrev_b32_e32 v9, 5, v0
	v_lshl_or_b32 v77, s6, 2, v9
	s_waitcnt lgkmcnt(0)
	s_cmp_lg_u64 s[8:9], 0
	s_cbranch_scc0 .LBB138_9
; %bb.4:
	s_load_dword s3, s[4:5], 0x18
	s_mov_b32 s6, 0
                                        ; implicit-def: $vgpr9
	s_waitcnt lgkmcnt(0)
	v_cmp_gt_i32_e32 vcc_lo, s3, v77
	s_mov_b32 s3, 0
	s_and_saveexec_b32 s7, vcc_lo
	s_xor_b32 s7, exec_lo, s7
	s_cbranch_execz .LBB138_6
; %bb.5:
	v_ashrrev_i32_e32 v78, 31, v77
	s_mov_b32 s3, exec_lo
	v_lshlrev_b64 v[9:10], 2, v[77:78]
	v_add_co_u32 v9, vcc_lo, s8, v9
	v_add_co_ci_u32_e64 v10, null, s9, v10, vcc_lo
	global_load_dword v9, v[9:10], off
	s_waitcnt vmcnt(0)
	v_subrev_nc_u32_e32 v9, s2, v9
.LBB138_6:
	s_or_b32 exec_lo, exec_lo, s7
	s_and_b32 vcc_lo, exec_lo, s6
	s_cbranch_vccz .LBB138_10
.LBB138_7:
	v_cmp_gt_i32_e32 vcc_lo, s0, v77
	s_andn2_b32 s0, s3, exec_lo
	s_and_b32 s3, vcc_lo, exec_lo
	s_or_b32 s3, s0, s3
	s_and_b32 exec_lo, exec_lo, s3
	s_cbranch_execnz .LBB138_11
.LBB138_8:
	s_endpgm
.LBB138_9:
	s_mov_b32 s3, 0
                                        ; implicit-def: $vgpr9
	s_cbranch_execnz .LBB138_7
.LBB138_10:
	v_mov_b32_e32 v77, v9
	s_and_b32 exec_lo, exec_lo, s3
	s_cbranch_execz .LBB138_8
.LBB138_11:
	s_load_dwordx8 s[8:15], s[4:5], 0x28
	v_ashrrev_i32_e32 v78, 31, v77
	v_and_b32_e32 v0, 31, v0
	s_load_dwordx2 s[6:7], s[4:5], 0x48
	v_lshlrev_b64 v[9:10], 2, v[77:78]
	s_waitcnt lgkmcnt(0)
	v_add_co_u32 v11, vcc_lo, s8, v9
	v_add_co_ci_u32_e64 v12, null, s9, v10, vcc_lo
	v_add_co_u32 v9, vcc_lo, s10, v9
	v_add_co_ci_u32_e64 v10, null, s11, v10, vcc_lo
	global_load_dword v103, v[11:12], off
	v_add_co_u32 v11, vcc_lo, v11, 4
	v_add_co_ci_u32_e64 v12, null, 0, v12, vcc_lo
	s_cmp_eq_u64 s[10:11], 0
	s_cselect_b32 vcc_lo, -1, 0
	s_cmp_eq_u32 s1, 1
	v_cndmask_b32_e32 v10, v10, v12, vcc_lo
	v_cndmask_b32_e32 v9, v9, v11, vcc_lo
	global_load_dword v11, v[9:10], off
	s_waitcnt vmcnt(1)
	v_subrev_nc_u32_e32 v9, s2, v103
	v_add_nc_u32_e32 v78, v9, v0
	v_ashrrev_i32_e32 v79, 31, v78
	s_waitcnt vmcnt(0)
	v_subrev_nc_u32_e32 v102, s2, v11
	v_lshlrev_b64 v[9:10], 7, v[78:79]
	v_cmp_lt_i32_e64 s0, v78, v102
	v_add_co_u32 v80, vcc_lo, s14, v9
	v_add_co_ci_u32_e64 v81, null, s15, v10, vcc_lo
	s_cbranch_scc1 .LBB138_23
; %bb.12:
	v_mov_b32_e32 v90, 0
	v_mov_b32_e32 v92, 0
	;; [unrolled: 1-line block ×16, first 2 shown]
	s_and_saveexec_b32 s3, s0
	s_cbranch_execz .LBB138_22
; %bb.13:
	v_add_nc_u32_e32 v9, v103, v0
	v_not_b32_e32 v10, v103
	v_mov_b32_e32 v82, 0
	v_mov_b32_e32 v84, 0
	;; [unrolled: 1-line block ×3, first 2 shown]
	v_subrev_nc_u32_e32 v9, s2, v9
	v_mov_b32_e32 v86, 0
	v_mov_b32_e32 v96, 0
	;; [unrolled: 1-line block ×4, first 2 shown]
	v_add_nc_u32_e32 v9, 32, v9
	v_mov_b32_e32 v90, 0
	v_mov_b32_e32 v101, v81
	;; [unrolled: 1-line block ×4, first 2 shown]
	v_max_i32_e32 v9, v9, v102
	v_mov_b32_e32 v89, 0
	v_mov_b32_e32 v87, 0
	;; [unrolled: 1-line block ×4, first 2 shown]
	v_add3_u32 v9, s2, v9, v10
	v_mov_b32_e32 v93, 0
	v_mov_b32_e32 v91, 0
	;; [unrolled: 1-line block ×4, first 2 shown]
	v_sub_nc_u32_e32 v9, v9, v0
	s_mov_b32 s1, exec_lo
	v_and_b32_e32 v10, 0x60, v9
	v_cmpx_ne_u32_e32 0x60, v10
	s_cbranch_execz .LBB138_17
; %bb.14:
	v_lshrrev_b32_e32 v10, 5, v9
	v_mov_b32_e32 v90, 0
	v_mov_b32_e32 v92, 0
	;; [unrolled: 1-line block ×4, first 2 shown]
	v_add_nc_u32_e32 v10, 1, v10
	v_mov_b32_e32 v86, 0
	v_mov_b32_e32 v88, 0
	;; [unrolled: 1-line block ×4, first 2 shown]
	v_and_b32_e32 v10, 3, v10
	v_mov_b32_e32 v101, v81
	v_mov_b32_e32 v91, 0
	;; [unrolled: 1-line block ×10, first 2 shown]
	v_sub_nc_u32_e32 v10, 0, v10
	v_mov_b32_e32 v100, v80
	s_mov_b32 s8, 0
.LBB138_15:                             ; =>This Inner Loop Header: Depth=1
	v_ashrrev_i32_e32 v99, 31, v98
	v_add_co_u32 v10, s9, v10, 1
	s_or_b32 s8, s9, s8
	v_lshlrev_b64 v[11:12], 2, v[98:99]
	v_add_nc_u32_e32 v98, 32, v98
	v_add_co_u32 v11, vcc_lo, s12, v11
	v_add_co_ci_u32_e64 v12, null, s13, v12, vcc_lo
	global_load_dword v43, v[11:12], off
	s_clause 0x7
	global_load_dwordx4 v[11:14], v[100:101], off offset:48
	global_load_dwordx4 v[15:18], v[100:101], off offset:32
	;; [unrolled: 1-line block ×3, first 2 shown]
	global_load_dwordx4 v[23:26], v[100:101], off
	global_load_dwordx4 v[27:30], v[100:101], off offset:112
	global_load_dwordx4 v[31:34], v[100:101], off offset:96
	;; [unrolled: 1-line block ×4, first 2 shown]
	s_waitcnt vmcnt(8)
	v_subrev_nc_u32_e32 v43, s2, v43
	v_lshlrev_b32_e32 v43, 2, v43
	v_ashrrev_i32_e32 v44, 31, v43
	v_lshlrev_b64 v[43:44], 4, v[43:44]
	v_add_co_u32 v55, vcc_lo, s6, v43
	v_add_co_ci_u32_e64 v56, null, s7, v44, vcc_lo
	v_add_co_u32 v100, vcc_lo, 0x1000, v100
	v_add_co_ci_u32_e64 v101, null, 0, v101, vcc_lo
	s_clause 0x3
	global_load_dwordx4 v[43:46], v[55:56], off
	global_load_dwordx4 v[47:50], v[55:56], off offset:16
	global_load_dwordx4 v[51:54], v[55:56], off offset:32
	;; [unrolled: 1-line block ×3, first 2 shown]
	s_waitcnt vmcnt(3)
	v_fma_f64 v[59:60], v[23:24], v[43:44], v[92:93]
	v_fma_f64 v[61:62], v[43:44], 0, v[90:91]
	v_fma_f64 v[63:64], v[15:16], v[43:44], v[96:97]
	v_fma_f64 v[65:66], v[43:44], 0, v[94:95]
	v_fma_f64 v[67:68], v[39:40], v[43:44], v[88:89]
	v_fma_f64 v[69:70], v[43:44], 0, v[86:87]
	v_fma_f64 v[71:72], v[31:32], v[43:44], v[82:83]
	v_fma_f64 v[43:44], v[43:44], 0, v[84:85]
	v_fma_f64 v[59:60], 0x80000000, v[45:46], v[59:60]
	v_fma_f64 v[23:24], v[23:24], v[45:46], v[61:62]
	v_fma_f64 v[61:62], 0x80000000, v[45:46], v[63:64]
	v_fma_f64 v[15:16], v[15:16], v[45:46], v[65:66]
	v_fma_f64 v[63:64], 0x80000000, v[45:46], v[67:68]
	v_fma_f64 v[39:40], v[39:40], v[45:46], v[69:70]
	v_fma_f64 v[65:66], 0x80000000, v[45:46], v[71:72]
	v_fma_f64 v[31:32], v[31:32], v[45:46], v[43:44]
	s_waitcnt vmcnt(2)
	v_fma_f64 v[43:44], v[25:26], v[47:48], v[59:60]
	v_fma_f64 v[23:24], v[47:48], 0, v[23:24]
	v_fma_f64 v[45:46], v[17:18], v[47:48], v[61:62]
	v_fma_f64 v[15:16], v[47:48], 0, v[15:16]
	v_fma_f64 v[59:60], v[41:42], v[47:48], v[63:64]
	v_fma_f64 v[39:40], v[47:48], 0, v[39:40]
	v_fma_f64 v[61:62], v[33:34], v[47:48], v[65:66]
	v_fma_f64 v[31:32], v[47:48], 0, v[31:32]
	v_fma_f64 v[43:44], 0x80000000, v[49:50], v[43:44]
	v_fma_f64 v[23:24], v[25:26], v[49:50], v[23:24]
	v_fma_f64 v[25:26], 0x80000000, v[49:50], v[45:46]
	v_fma_f64 v[15:16], v[17:18], v[49:50], v[15:16]
	v_fma_f64 v[17:18], 0x80000000, v[49:50], v[59:60]
	v_fma_f64 v[39:40], v[41:42], v[49:50], v[39:40]
	v_fma_f64 v[41:42], 0x80000000, v[49:50], v[61:62]
	v_fma_f64 v[31:32], v[33:34], v[49:50], v[31:32]
	;; [unrolled: 17-line block ×4, first 2 shown]
	s_andn2_b32 exec_lo, exec_lo, s8
	s_cbranch_execnz .LBB138_15
; %bb.16:
	s_or_b32 exec_lo, exec_lo, s8
.LBB138_17:
	s_or_b32 exec_lo, exec_lo, s1
	s_mov_b32 s8, exec_lo
	v_cmpx_lt_u32_e32 0x5f, v9
	s_cbranch_execz .LBB138_21
; %bb.18:
	s_mov_b32 s9, 0
.LBB138_19:                             ; =>This Inner Loop Header: Depth=1
	v_ashrrev_i32_e32 v99, 31, v98
	v_add_co_u32 v41, vcc_lo, 0x1000, v100
	v_add_co_ci_u32_e64 v42, null, 0, v101, vcc_lo
	v_lshlrev_b64 v[140:141], 2, v[98:99]
	v_add_co_u32 v53, vcc_lo, 0x2000, v100
	v_add_co_ci_u32_e64 v54, null, 0, v101, vcc_lo
	v_add_co_u32 v148, vcc_lo, 0x3000, v100
	v_add_co_ci_u32_e64 v149, null, 0, v101, vcc_lo
	;; [unrolled: 2-line block ×3, first 2 shown]
	s_clause 0x19
	global_load_dwordx4 v[9:12], v[100:101], off offset:48
	global_load_dwordx4 v[21:24], v[100:101], off offset:32
	;; [unrolled: 1-line block ×3, first 2 shown]
	global_load_dwordx4 v[29:32], v[100:101], off
	global_load_dwordx4 v[17:20], v[100:101], off offset:112
	global_load_dwordx4 v[33:36], v[100:101], off offset:96
	;; [unrolled: 1-line block ×6, first 2 shown]
	global_load_dwordx4 v[108:111], v[41:42], off
	global_load_dwordx4 v[73:76], v[41:42], off offset:16
	global_load_dwordx4 v[61:64], v[41:42], off offset:112
	global_load_dwordx4 v[112:115], v[41:42], off offset:96
	global_load_dwordx4 v[69:72], v[41:42], off offset:80
	global_load_dwordx4 v[116:119], v[41:42], off offset:64
	global_load_dwordx4 v[41:44], v[53:54], off offset:48
	global_load_dwordx4 v[120:123], v[53:54], off offset:32
	global_load_dwordx4 v[124:127], v[53:54], off
	global_load_dwordx4 v[49:52], v[53:54], off offset:16
	global_load_dwordx4 v[45:48], v[53:54], off offset:112
	;; [unrolled: 1-line block ×5, first 2 shown]
	global_load_dwordx4 v[65:68], v[148:149], off
	global_load_dwordx4 v[53:56], v[148:149], off offset:48
	s_clause 0x3
	global_load_dword v79, v[140:141], off
	global_load_dword v99, v[140:141], off offset:128
	global_load_dword v152, v[140:141], off offset:256
	;; [unrolled: 1-line block ×3, first 2 shown]
	v_add_nc_u32_e32 v98, 0x80, v98
	v_add_co_u32 v100, s1, 0x4000, v100
	v_add_co_ci_u32_e64 v101, null, 0, v101, s1
	s_waitcnt vmcnt(3)
	v_subrev_nc_u32_e32 v79, s2, v79
	v_lshlrev_b32_e32 v140, 2, v79
	s_waitcnt vmcnt(2)
	v_subrev_nc_u32_e32 v79, s2, v99
	v_ashrrev_i32_e32 v141, 31, v140
	v_lshlrev_b64 v[140:141], 4, v[140:141]
	v_add_co_u32 v150, vcc_lo, s6, v140
	v_add_co_ci_u32_e64 v151, null, s7, v141, vcc_lo
	s_clause 0x1
	global_load_dwordx4 v[140:143], v[150:151], off
	global_load_dwordx4 v[144:147], v[150:151], off offset:16
	s_waitcnt vmcnt(1)
	v_fma_f64 v[90:91], v[140:141], 0, v[90:91]
	v_fma_f64 v[94:95], v[140:141], 0, v[94:95]
	;; [unrolled: 1-line block ×15, first 2 shown]
	global_load_dwordx4 v[82:85], v[148:149], off offset:32
	v_fma_f64 v[88:89], 0x80000000, v[142:143], v[88:89]
	s_waitcnt vmcnt(1)
	v_fma_f64 v[29:30], v[144:145], 0, v[29:30]
	v_fma_f64 v[21:22], v[144:145], 0, v[21:22]
	;; [unrolled: 1-line block ×9, first 2 shown]
	v_lshlrev_b32_e32 v29, 2, v79
	v_fma_f64 v[140:141], v[23:24], v[146:147], v[21:22]
	v_fma_f64 v[90:91], 0x80000000, v[146:147], v[90:91]
	;; [unrolled: 1-line block ×4, first 2 shown]
	v_ashrrev_i32_e32 v30, 31, v29
	v_fma_f64 v[144:145], v[35:36], v[146:147], v[33:34]
	v_subrev_nc_u32_e32 v79, s2, v152
	v_lshlrev_b64 v[29:30], 4, v[29:30]
	v_add_co_u32 v96, vcc_lo, s6, v29
	v_add_co_ci_u32_e64 v97, null, s7, v30, vcc_lo
	s_clause 0x1
	global_load_dwordx4 v[21:24], v[150:151], off offset:32
	global_load_dwordx4 v[29:32], v[150:151], off offset:48
	v_fma_f64 v[150:151], 0x80000000, v[146:147], v[88:89]
	v_fma_f64 v[146:147], 0x80000000, v[146:147], v[86:87]
	s_clause 0x2
	global_load_dwordx4 v[37:40], v[96:97], off
	global_load_dwordx4 v[33:36], v[96:97], off offset:16
	global_load_dwordx4 v[86:89], v[96:97], off offset:32
	s_waitcnt vmcnt(4)
	v_fma_f64 v[94:95], v[21:22], 0, v[94:95]
	v_fma_f64 v[90:91], v[13:14], v[21:22], v[90:91]
	;; [unrolled: 1-line block ×12, first 2 shown]
	v_lshlrev_b32_e32 v142, 2, v79
	v_fma_f64 v[92:93], 0x80000000, v[23:24], v[92:93]
	v_fma_f64 v[94:95], 0x80000000, v[23:24], v[150:151]
	;; [unrolled: 1-line block ×4, first 2 shown]
	v_ashrrev_i32_e32 v143, 31, v142
	v_subrev_nc_u32_e32 v79, s2, v153
	global_load_dwordx4 v[21:24], v[148:149], off offset:112
	s_waitcnt vmcnt(4)
	v_fma_f64 v[13:14], v[29:30], 0, v[13:14]
	v_fma_f64 v[90:91], v[15:16], v[29:30], v[90:91]
	;; [unrolled: 1-line block ×9, first 2 shown]
	global_load_dwordx4 v[13:16], v[96:97], off offset:48
	v_lshlrev_b64 v[96:97], 4, v[142:143]
	v_fma_f64 v[142:143], v[11:12], v[31:32], v[9:10]
	v_fma_f64 v[90:91], 0x80000000, v[31:32], v[90:91]
	;; [unrolled: 1-line block ×5, first 2 shown]
	v_add_co_u32 v96, vcc_lo, s6, v96
	v_add_co_ci_u32_e64 v97, null, s7, v97, vcc_lo
	v_fma_f64 v[94:95], 0x80000000, v[31:32], v[94:95]
	v_fma_f64 v[150:151], 0x80000000, v[31:32], v[29:30]
	global_load_dwordx4 v[25:28], v[148:149], off offset:96
	s_clause 0x2
	global_load_dwordx4 v[9:12], v[96:97], off
	global_load_dwordx4 v[17:20], v[96:97], off offset:16
	global_load_dwordx4 v[29:32], v[96:97], off offset:32
	s_waitcnt vmcnt(8)
	v_fma_f64 v[144:145], v[37:38], 0, v[144:145]
	v_fma_f64 v[142:143], v[37:38], 0, v[142:143]
	;; [unrolled: 1-line block ×14, first 2 shown]
	v_lshlrev_b32_e32 v94, 2, v79
	v_fma_f64 v[144:145], 0x80000000, v[39:40], v[150:151]
	v_fma_f64 v[112:113], v[112:113], v[39:40], v[37:38]
	global_load_dwordx4 v[37:40], v[148:149], off offset:64
	v_ashrrev_i32_e32 v95, 31, v94
	s_waitcnt vmcnt(8)
	v_fma_f64 v[92:93], v[33:34], 0, v[108:109]
	v_lshlrev_b64 v[94:95], 4, v[94:95]
	v_fma_f64 v[108:109], v[110:111], v[33:34], v[90:91]
	v_fma_f64 v[116:117], v[33:34], 0, v[116:117]
	v_add_co_u32 v146, vcc_lo, s6, v94
	v_add_co_ci_u32_e64 v147, null, s7, v95, vcc_lo
	v_fma_f64 v[94:95], v[33:34], 0, v[104:105]
	v_fma_f64 v[104:105], v[106:107], v[33:34], v[140:141]
	;; [unrolled: 1-line block ×5, first 2 shown]
	v_cmp_ge_i32_e32 vcc_lo, v98, v102
	s_or_b32 s9, vcc_lo, s9
	v_fma_f64 v[110:111], v[110:111], v[35:36], v[92:93]
	global_load_dwordx4 v[90:93], v[96:97], off offset:48
	v_fma_f64 v[108:109], 0x80000000, v[35:36], v[108:109]
	v_fma_f64 v[116:117], v[118:119], v[35:36], v[116:117]
	;; [unrolled: 1-line block ×3, first 2 shown]
	global_load_dwordx4 v[94:97], v[146:147], off
	v_fma_f64 v[104:105], 0x80000000, v[35:36], v[104:105]
	v_fma_f64 v[112:113], 0x80000000, v[35:36], v[140:141]
	;; [unrolled: 1-line block ×4, first 2 shown]
	global_load_dwordx4 v[33:36], v[146:147], off offset:16
	s_waitcnt vmcnt(10)
	v_fma_f64 v[110:111], v[86:87], 0, v[110:111]
	v_fma_f64 v[108:109], v[73:74], v[86:87], v[108:109]
	;; [unrolled: 1-line block ×16, first 2 shown]
	s_clause 0x1
	global_load_dwordx4 v[104:107], v[148:149], off offset:80
	global_load_dwordx4 v[86:89], v[148:149], off offset:16
	;; [unrolled: 1-line block ×3, first 2 shown]
	s_waitcnt vmcnt(11)
	v_fma_f64 v[114:115], v[75:76], v[13:14], v[114:115]
	v_fma_f64 v[73:74], v[13:14], 0, v[73:74]
	;; [unrolled: 1-line block ×16, first 2 shown]
	global_load_dwordx4 v[13:16], v[146:147], off offset:48
	s_waitcnt vmcnt(10)
	v_fma_f64 v[61:62], v[124:125], v[9:10], v[61:62]
	v_fma_f64 v[73:74], v[9:10], 0, v[73:74]
	v_fma_f64 v[75:76], v[120:121], v[9:10], v[75:76]
	v_fma_f64 v[57:58], v[9:10], 0, v[57:58]
	v_fma_f64 v[59:60], v[136:137], v[9:10], v[59:60]
	v_fma_f64 v[69:70], v[9:10], 0, v[69:70]
	v_fma_f64 v[71:72], v[128:129], v[9:10], v[71:72]
	v_fma_f64 v[9:10], v[9:10], 0, v[63:64]
	v_fma_f64 v[61:62], 0x80000000, v[11:12], v[61:62]
	v_fma_f64 v[63:64], v[124:125], v[11:12], v[73:74]
	v_fma_f64 v[73:74], 0x80000000, v[11:12], v[75:76]
	v_fma_f64 v[57:58], v[120:121], v[11:12], v[57:58]
	v_fma_f64 v[59:60], 0x80000000, v[11:12], v[59:60]
	v_fma_f64 v[69:70], v[136:137], v[11:12], v[69:70]
	v_fma_f64 v[71:72], 0x80000000, v[11:12], v[71:72]
	v_fma_f64 v[9:10], v[128:129], v[11:12], v[9:10]
	s_waitcnt vmcnt(9)
	v_fma_f64 v[11:12], v[126:127], v[17:18], v[61:62]
	v_fma_f64 v[61:62], v[17:18], 0, v[63:64]
	v_fma_f64 v[63:64], v[122:123], v[17:18], v[73:74]
	v_fma_f64 v[57:58], v[17:18], 0, v[57:58]
	v_fma_f64 v[59:60], v[138:139], v[17:18], v[59:60]
	v_fma_f64 v[69:70], v[17:18], 0, v[69:70]
	v_fma_f64 v[71:72], v[130:131], v[17:18], v[71:72]
	v_fma_f64 v[9:10], v[17:18], 0, v[9:10]
	v_fma_f64 v[11:12], 0x80000000, v[19:20], v[11:12]
	v_fma_f64 v[17:18], v[126:127], v[19:20], v[61:62]
	v_fma_f64 v[61:62], 0x80000000, v[19:20], v[63:64]
	v_fma_f64 v[57:58], v[122:123], v[19:20], v[57:58]
	v_fma_f64 v[59:60], 0x80000000, v[19:20], v[59:60]
	v_fma_f64 v[63:64], v[138:139], v[19:20], v[69:70]
	v_fma_f64 v[69:70], 0x80000000, v[19:20], v[71:72]
	v_fma_f64 v[9:10], v[130:131], v[19:20], v[9:10]
	;; [unrolled: 17-line block ×8, first 2 shown]
	s_andn2_b32 exec_lo, exec_lo, s9
	s_cbranch_execnz .LBB138_19
; %bb.20:
	s_or_b32 exec_lo, exec_lo, s9
.LBB138_21:
	s_or_b32 exec_lo, exec_lo, s8
.LBB138_22:
	s_or_b32 exec_lo, exec_lo, s3
	s_cbranch_execz .LBB138_24
	s_branch .LBB138_35
.LBB138_23:
                                        ; implicit-def: $vgpr90_vgpr91
                                        ; implicit-def: $vgpr92_vgpr93
                                        ; implicit-def: $vgpr94_vgpr95
                                        ; implicit-def: $vgpr96_vgpr97
                                        ; implicit-def: $vgpr86_vgpr87
                                        ; implicit-def: $vgpr88_vgpr89
                                        ; implicit-def: $vgpr84_vgpr85
                                        ; implicit-def: $vgpr82_vgpr83
.LBB138_24:
	v_mov_b32_e32 v90, 0
	v_mov_b32_e32 v92, 0
	;; [unrolled: 1-line block ×16, first 2 shown]
	s_and_saveexec_b32 s1, s0
	s_cbranch_execz .LBB138_34
; %bb.25:
	v_add_nc_u32_e32 v9, v103, v0
	v_not_b32_e32 v10, v103
	v_mov_b32_e32 v82, 0
	v_mov_b32_e32 v84, 0
	;; [unrolled: 1-line block ×3, first 2 shown]
	v_subrev_nc_u32_e32 v9, s2, v9
	v_mov_b32_e32 v86, 0
	v_mov_b32_e32 v96, 0
	;; [unrolled: 1-line block ×4, first 2 shown]
	v_add_nc_u32_e32 v9, 32, v9
	v_mov_b32_e32 v90, 0
	v_mov_b32_e32 v83, 0
	;; [unrolled: 1-line block ×4, first 2 shown]
	v_max_i32_e32 v9, v9, v102
	v_mov_b32_e32 v87, 0
	v_mov_b32_e32 v97, 0
	;; [unrolled: 1-line block ×4, first 2 shown]
	v_add3_u32 v9, s2, v9, v10
	v_mov_b32_e32 v91, 0
	s_mov_b32 s0, exec_lo
	v_sub_nc_u32_e32 v9, v9, v0
	v_and_b32_e32 v10, 0x60, v9
	v_cmpx_ne_u32_e32 0x60, v10
	s_cbranch_execz .LBB138_29
; %bb.26:
	v_lshrrev_b32_e32 v10, 5, v9
	v_mov_b32_e32 v90, 0
	v_mov_b32_e32 v92, 0
	;; [unrolled: 1-line block ×4, first 2 shown]
	v_add_nc_u32_e32 v10, 1, v10
	v_mov_b32_e32 v86, 0
	v_mov_b32_e32 v88, 0
	;; [unrolled: 1-line block ×4, first 2 shown]
	v_and_b32_e32 v10, 3, v10
	v_mov_b32_e32 v91, 0
	v_mov_b32_e32 v93, 0
	;; [unrolled: 1-line block ×8, first 2 shown]
	v_sub_nc_u32_e32 v10, 0, v10
	s_mov_b32 s3, 0
.LBB138_27:                             ; =>This Inner Loop Header: Depth=1
	v_ashrrev_i32_e32 v79, 31, v78
	v_add_co_u32 v10, s8, v10, 1
	s_or_b32 s3, s8, s3
	v_lshlrev_b64 v[11:12], 2, v[78:79]
	v_add_nc_u32_e32 v78, 32, v78
	v_add_co_u32 v11, vcc_lo, s12, v11
	v_add_co_ci_u32_e64 v12, null, s13, v12, vcc_lo
	global_load_dword v19, v[11:12], off
	s_clause 0x1
	global_load_dwordx4 v[11:14], v[80:81], off offset:16
	global_load_dwordx4 v[15:18], v[80:81], off
	s_waitcnt vmcnt(2)
	v_subrev_nc_u32_e32 v19, s2, v19
	v_lshlrev_b32_e32 v19, 2, v19
	v_ashrrev_i32_e32 v20, 31, v19
	v_lshlrev_b64 v[19:20], 4, v[19:20]
	v_add_co_u32 v47, vcc_lo, s6, v19
	v_add_co_ci_u32_e64 v48, null, s7, v20, vcc_lo
	s_clause 0x1
	global_load_dwordx4 v[19:22], v[47:48], off
	global_load_dwordx4 v[23:26], v[47:48], off offset:16
	s_clause 0x3
	global_load_dwordx4 v[27:30], v[80:81], off offset:32
	global_load_dwordx4 v[31:34], v[80:81], off offset:48
	;; [unrolled: 1-line block ×4, first 2 shown]
	s_clause 0x1
	global_load_dwordx4 v[43:46], v[47:48], off offset:32
	global_load_dwordx4 v[47:50], v[47:48], off offset:48
	s_clause 0x1
	global_load_dwordx4 v[51:54], v[80:81], off offset:96
	global_load_dwordx4 v[55:58], v[80:81], off offset:112
	v_add_co_u32 v80, vcc_lo, 0x1000, v80
	v_add_co_ci_u32_e64 v81, null, 0, v81, vcc_lo
	s_waitcnt vmcnt(9)
	v_fma_f64 v[59:60], v[15:16], v[19:20], v[92:93]
	v_fma_f64 v[61:62], v[19:20], 0, v[90:91]
	;; [unrolled: 1-line block ×16, first 2 shown]
	s_waitcnt vmcnt(7)
	v_fma_f64 v[19:20], v[27:28], v[23:24], v[59:60]
	v_fma_f64 v[15:16], v[23:24], 0, v[15:16]
	;; [unrolled: 1-line block ×4, first 2 shown]
	s_waitcnt vmcnt(6)
	v_fma_f64 v[59:60], v[31:32], v[23:24], v[63:64]
	v_fma_f64 v[11:12], v[23:24], 0, v[11:12]
	v_fma_f64 v[61:62], v[33:34], v[23:24], v[65:66]
	v_fma_f64 v[13:14], v[23:24], 0, v[13:14]
	v_fma_f64 v[19:20], 0x80000000, v[25:26], v[19:20]
	v_fma_f64 v[15:16], v[27:28], v[25:26], v[15:16]
	v_fma_f64 v[21:22], 0x80000000, v[25:26], v[21:22]
	v_fma_f64 v[17:18], v[29:30], v[25:26], v[17:18]
	v_fma_f64 v[23:24], 0x80000000, v[25:26], v[59:60]
	v_fma_f64 v[11:12], v[31:32], v[25:26], v[11:12]
	v_fma_f64 v[27:28], 0x80000000, v[25:26], v[61:62]
	v_fma_f64 v[13:14], v[33:34], v[25:26], v[13:14]
	s_waitcnt vmcnt(3)
	v_fma_f64 v[19:20], v[39:40], v[43:44], v[19:20]
	v_fma_f64 v[15:16], v[43:44], 0, v[15:16]
	;; [unrolled: 1-line block ×16, first 2 shown]
	s_waitcnt vmcnt(1)
	v_fma_f64 v[19:20], v[51:52], v[47:48], v[19:20]
	v_fma_f64 v[15:16], v[47:48], 0, v[15:16]
	;; [unrolled: 1-line block ×4, first 2 shown]
	s_waitcnt vmcnt(0)
	v_fma_f64 v[23:24], v[55:56], v[47:48], v[23:24]
	v_fma_f64 v[11:12], v[47:48], 0, v[11:12]
	;; [unrolled: 1-line block ×12, first 2 shown]
	s_andn2_b32 exec_lo, exec_lo, s3
	s_cbranch_execnz .LBB138_27
; %bb.28:
	s_or_b32 exec_lo, exec_lo, s3
.LBB138_29:
	s_or_b32 exec_lo, exec_lo, s0
	s_mov_b32 s3, exec_lo
	v_cmpx_lt_u32_e32 0x5f, v9
	s_cbranch_execz .LBB138_33
; %bb.30:
	s_mov_b32 s8, 0
.LBB138_31:                             ; =>This Inner Loop Header: Depth=1
	v_ashrrev_i32_e32 v79, 31, v78
	v_add_co_u32 v69, vcc_lo, 0x1000, v80
	v_add_co_ci_u32_e64 v70, null, 0, v81, vcc_lo
	v_lshlrev_b64 v[103:104], 2, v[78:79]
	v_add_co_u32 v123, vcc_lo, 0x2000, v80
	v_add_co_ci_u32_e64 v124, null, 0, v81, vcc_lo
	v_add_co_u32 v125, vcc_lo, 0x3000, v80
	v_add_co_ci_u32_e64 v126, null, 0, v81, vcc_lo
	;; [unrolled: 2-line block ×3, first 2 shown]
	s_clause 0x11
	global_load_dwordx4 v[9:12], v[80:81], off offset:48
	global_load_dwordx4 v[13:16], v[80:81], off offset:32
	;; [unrolled: 1-line block ×3, first 2 shown]
	global_load_dwordx4 v[37:40], v[80:81], off
	global_load_dwordx4 v[17:20], v[80:81], off offset:112
	global_load_dwordx4 v[21:24], v[80:81], off offset:96
	;; [unrolled: 1-line block ×6, first 2 shown]
	global_load_dwordx4 v[49:52], v[69:70], off
	global_load_dwordx4 v[53:56], v[69:70], off offset:16
	global_load_dwordx4 v[57:60], v[69:70], off offset:112
	;; [unrolled: 1-line block ×5, first 2 shown]
	global_load_dwordx4 v[73:76], v[123:124], off
	global_load_dwordx4 v[98:101], v[123:124], off offset:48
	s_clause 0x3
	global_load_dword v79, v[103:104], off
	global_load_dword v105, v[103:104], off offset:128
	global_load_dword v135, v[103:104], off offset:256
	;; [unrolled: 1-line block ×3, first 2 shown]
	v_add_nc_u32_e32 v78, 0x80, v78
	v_add_co_u32 v80, s0, 0x4000, v80
	v_add_co_ci_u32_e64 v81, null, 0, v81, s0
	s_waitcnt vmcnt(3)
	v_subrev_nc_u32_e32 v79, s2, v79
	s_waitcnt vmcnt(2)
	v_subrev_nc_u32_e32 v104, s2, v105
	v_lshlrev_b32_e32 v103, 2, v79
	v_lshlrev_b32_e32 v105, 2, v104
	s_waitcnt vmcnt(1)
	v_subrev_nc_u32_e32 v79, s2, v135
	v_ashrrev_i32_e32 v104, 31, v103
	v_ashrrev_i32_e32 v106, 31, v105
	v_lshlrev_b64 v[103:104], 4, v[103:104]
	v_lshlrev_b64 v[105:106], 4, v[105:106]
	v_add_co_u32 v115, vcc_lo, s6, v103
	v_add_co_ci_u32_e64 v116, null, s7, v104, vcc_lo
	v_add_co_u32 v127, vcc_lo, s6, v105
	v_add_co_ci_u32_e64 v128, null, s7, v106, vcc_lo
	s_clause 0x4
	global_load_dwordx4 v[103:106], v[115:116], off
	global_load_dwordx4 v[107:110], v[115:116], off offset:16
	global_load_dwordx4 v[111:114], v[115:116], off offset:32
	;; [unrolled: 1-line block ×3, first 2 shown]
	global_load_dwordx4 v[119:122], v[127:128], off
	s_waitcnt vmcnt(4)
	v_fma_f64 v[90:91], v[103:104], 0, v[90:91]
	v_fma_f64 v[94:95], v[103:104], 0, v[94:95]
	;; [unrolled: 1-line block ×10, first 2 shown]
	global_load_dwordx4 v[37:40], v[127:128], off offset:16
	v_fma_f64 v[103:104], v[25:26], v[105:106], v[86:87]
	v_fma_f64 v[129:130], v[27:28], v[105:106], v[84:85]
	;; [unrolled: 1-line block ×6, first 2 shown]
	global_load_dwordx4 v[82:85], v[127:128], off offset:32
	global_load_dwordx4 v[25:28], v[123:124], off offset:32
	s_waitcnt vmcnt(6)
	v_fma_f64 v[88:89], v[107:108], 0, v[90:91]
	v_fma_f64 v[90:91], v[107:108], 0, v[94:95]
	;; [unrolled: 1-line block ×3, first 2 shown]
	v_lshlrev_b32_e32 v86, 2, v79
	v_fma_f64 v[92:93], v[15:16], v[107:108], v[92:93]
	v_fma_f64 v[96:97], v[9:10], v[107:108], v[96:97]
	;; [unrolled: 1-line block ×3, first 2 shown]
	v_subrev_nc_u32_e32 v79, s2, v137
	v_ashrrev_i32_e32 v87, 31, v86
	v_lshlrev_b64 v[86:87], 4, v[86:87]
	v_fma_f64 v[131:132], v[13:14], v[109:110], v[88:89]
	v_add_co_u32 v135, vcc_lo, s6, v86
	v_fma_f64 v[133:134], v[15:16], v[109:110], v[90:91]
	v_add_co_ci_u32_e64 v136, null, s7, v87, vcc_lo
	global_load_dwordx4 v[86:89], v[127:128], off offset:48
	v_fma_f64 v[90:91], v[107:108], 0, v[103:104]
	v_fma_f64 v[103:104], v[107:108], 0, v[129:130]
	;; [unrolled: 1-line block ×6, first 2 shown]
	global_load_dwordx4 v[13:16], v[123:124], off offset:16
	s_waitcnt vmcnt(7)
	v_fma_f64 v[129:130], v[111:112], 0, v[133:134]
	v_fma_f64 v[107:108], v[9:10], v[109:110], v[90:91]
	;; [unrolled: 1-line block ×8, first 2 shown]
	s_clause 0x1
	global_load_dwordx4 v[9:12], v[123:124], off offset:112
	global_load_dwordx4 v[90:93], v[123:124], off offset:96
	v_fma_f64 v[129:130], v[35:36], v[113:114], v[129:130]
	v_fma_f64 v[107:108], v[111:112], 0, v[107:108]
	;; [unrolled: 1-line block ×4, first 2 shown]
	global_load_dwordx4 v[33:36], v[135:136], off
	v_fma_f64 v[111:112], 0x80000000, v[113:114], v[94:95]
	v_fma_f64 v[127:128], 0x80000000, v[113:114], v[127:128]
	;; [unrolled: 1-line block ×4, first 2 shown]
	global_load_dwordx4 v[94:97], v[135:136], off offset:16
	v_fma_f64 v[107:108], v[29:30], v[113:114], v[107:108]
	v_fma_f64 v[103:104], v[31:32], v[113:114], v[103:104]
	s_waitcnt vmcnt(10)
	v_fma_f64 v[109:110], v[115:116], 0, v[109:110]
	v_fma_f64 v[113:114], v[115:116], 0, v[129:130]
	global_load_dwordx4 v[29:32], v[123:124], off offset:80
	v_fma_f64 v[111:112], v[21:22], v[115:116], v[111:112]
	v_fma_f64 v[127:128], v[23:24], v[115:116], v[127:128]
	;; [unrolled: 1-line block ×7, first 2 shown]
	global_load_dwordx4 v[21:24], v[123:124], off offset:64
	v_fma_f64 v[123:124], v[17:18], v[115:116], v[131:132]
	v_fma_f64 v[115:116], v[17:18], v[117:118], v[107:108]
	;; [unrolled: 1-line block ×5, first 2 shown]
	s_waitcnt vmcnt(11)
	v_fma_f64 v[109:110], v[119:120], 0, v[109:110]
	v_fma_f64 v[123:124], 0x80000000, v[117:118], v[123:124]
	;; [unrolled: 1-line block ×3, first 2 shown]
	global_load_dwordx4 v[103:106], v[135:136], off offset:32
	v_fma_f64 v[113:114], v[119:120], 0, v[113:114]
	global_load_dwordx4 v[17:20], v[125:126], off
	v_fma_f64 v[115:116], v[119:120], 0, v[115:116]
	v_fma_f64 v[129:130], v[119:120], 0, v[129:130]
	;; [unrolled: 1-line block ×5, first 2 shown]
	global_load_dwordx4 v[107:110], v[135:136], off offset:48
	v_fma_f64 v[123:124], v[53:54], v[119:120], v[123:124]
	v_fma_f64 v[117:118], v[55:56], v[119:120], v[117:118]
	;; [unrolled: 1-line block ×3, first 2 shown]
	global_load_dwordx4 v[49:52], v[125:126], off offset:16
	v_fma_f64 v[115:116], v[53:54], v[121:122], v[115:116]
	v_lshlrev_b32_e32 v53, 2, v79
	v_fma_f64 v[119:120], v[55:56], v[121:122], v[129:130]
	v_fma_f64 v[127:128], 0x80000000, v[121:122], v[127:128]
	;; [unrolled: 1-line block ×3, first 2 shown]
	v_ashrrev_i32_e32 v54, 31, v53
	v_fma_f64 v[123:124], 0x80000000, v[121:122], v[123:124]
	v_fma_f64 v[117:118], 0x80000000, v[121:122], v[117:118]
	v_lshlrev_b64 v[53:54], 4, v[53:54]
	v_add_co_u32 v129, vcc_lo, s6, v53
	v_add_co_ci_u32_e64 v130, null, s7, v54, vcc_lo
	v_cmp_ge_i32_e32 vcc_lo, v78, v102
	global_load_dwordx4 v[53:56], v[129:130], off
	s_or_b32 s8, vcc_lo, s8
	s_waitcnt vmcnt(15)
	v_fma_f64 v[121:122], v[37:38], 0, v[131:132]
	v_fma_f64 v[113:114], v[37:38], 0, v[113:114]
	;; [unrolled: 1-line block ×16, first 2 shown]
	global_load_dwordx4 v[45:48], v[129:130], off offset:16
	s_clause 0x1
	global_load_dwordx4 v[37:40], v[125:126], off offset:32
	global_load_dwordx4 v[41:44], v[125:126], off offset:48
	s_waitcnt vmcnt(17)
	v_fma_f64 v[121:122], v[82:83], 0, v[121:122]
	v_fma_f64 v[113:114], v[82:83], 0, v[113:114]
	;; [unrolled: 1-line block ×16, first 2 shown]
	s_clause 0x1
	global_load_dwordx4 v[65:68], v[125:126], off offset:80
	global_load_dwordx4 v[69:72], v[125:126], off offset:64
	;; [unrolled: 1-line block ×3, first 2 shown]
	s_waitcnt vmcnt(18)
	v_fma_f64 v[121:122], v[86:87], 0, v[121:122]
	v_fma_f64 v[113:114], v[86:87], 0, v[113:114]
	;; [unrolled: 1-line block ×16, first 2 shown]
	s_clause 0x1
	global_load_dwordx4 v[57:60], v[125:126], off offset:96
	global_load_dwordx4 v[61:64], v[125:126], off offset:112
	;; [unrolled: 1-line block ×3, first 2 shown]
	s_waitcnt vmcnt(17)
	v_fma_f64 v[125:126], v[33:34], 0, v[131:132]
	v_fma_f64 v[88:89], v[73:74], v[33:34], v[119:120]
	v_fma_f64 v[119:120], v[33:34], 0, v[121:122]
	v_fma_f64 v[121:122], v[75:76], v[33:34], v[127:128]
	v_fma_f64 v[123:124], v[13:14], v[33:34], v[123:124]
	v_fma_f64 v[115:116], v[33:34], 0, v[115:116]
	v_fma_f64 v[117:118], v[15:16], v[33:34], v[117:118]
	v_fma_f64 v[33:34], v[33:34], 0, v[86:87]
	v_fma_f64 v[75:76], v[75:76], v[35:36], v[125:126]
	v_fma_f64 v[86:87], 0x80000000, v[35:36], v[88:89]
	v_fma_f64 v[73:74], v[73:74], v[35:36], v[119:120]
	v_fma_f64 v[88:89], 0x80000000, v[35:36], v[121:122]
	v_fma_f64 v[119:120], 0x80000000, v[35:36], v[123:124]
	v_fma_f64 v[13:14], v[13:14], v[35:36], v[115:116]
	v_fma_f64 v[115:116], 0x80000000, v[35:36], v[117:118]
	v_fma_f64 v[15:16], v[15:16], v[35:36], v[33:34]
	s_waitcnt vmcnt(16)
	v_fma_f64 v[75:76], v[94:95], 0, v[75:76]
	v_fma_f64 v[33:34], v[25:26], v[94:95], v[86:87]
	v_fma_f64 v[35:36], v[94:95], 0, v[73:74]
	v_fma_f64 v[73:74], v[27:28], v[94:95], v[88:89]
	v_fma_f64 v[86:87], v[98:99], v[94:95], v[119:120]
	v_fma_f64 v[13:14], v[94:95], 0, v[13:14]
	v_fma_f64 v[88:89], v[100:101], v[94:95], v[115:116]
	v_fma_f64 v[15:16], v[94:95], 0, v[15:16]
	v_fma_f64 v[27:28], v[27:28], v[96:97], v[75:76]
	v_fma_f64 v[33:34], 0x80000000, v[96:97], v[33:34]
	v_fma_f64 v[25:26], v[25:26], v[96:97], v[35:36]
	v_fma_f64 v[35:36], 0x80000000, v[96:97], v[73:74]
	v_fma_f64 v[73:74], 0x80000000, v[96:97], v[86:87]
	v_fma_f64 v[13:14], v[98:99], v[96:97], v[13:14]
	v_fma_f64 v[75:76], 0x80000000, v[96:97], v[88:89]
	v_fma_f64 v[15:16], v[100:101], v[96:97], v[15:16]
	s_waitcnt vmcnt(13)
	v_fma_f64 v[27:28], v[103:104], 0, v[27:28]
	v_fma_f64 v[33:34], v[21:22], v[103:104], v[33:34]
	v_fma_f64 v[25:26], v[103:104], 0, v[25:26]
	v_fma_f64 v[35:36], v[23:24], v[103:104], v[35:36]
	v_fma_f64 v[73:74], v[29:30], v[103:104], v[73:74]
	v_fma_f64 v[13:14], v[103:104], 0, v[13:14]
	v_fma_f64 v[75:76], v[31:32], v[103:104], v[75:76]
	v_fma_f64 v[15:16], v[103:104], 0, v[15:16]
	v_fma_f64 v[23:24], v[23:24], v[105:106], v[27:28]
	v_fma_f64 v[33:34], 0x80000000, v[105:106], v[33:34]
	v_fma_f64 v[21:22], v[21:22], v[105:106], v[25:26]
	v_fma_f64 v[25:26], 0x80000000, v[105:106], v[35:36]
	v_fma_f64 v[27:28], 0x80000000, v[105:106], v[73:74]
	v_fma_f64 v[13:14], v[29:30], v[105:106], v[13:14]
	v_fma_f64 v[29:30], 0x80000000, v[105:106], v[75:76]
	v_fma_f64 v[15:16], v[31:32], v[105:106], v[15:16]
	s_waitcnt vmcnt(11)
	v_fma_f64 v[23:24], v[107:108], 0, v[23:24]
	v_fma_f64 v[31:32], v[90:91], v[107:108], v[33:34]
	v_fma_f64 v[21:22], v[107:108], 0, v[21:22]
	v_fma_f64 v[25:26], v[92:93], v[107:108], v[25:26]
	v_fma_f64 v[27:28], v[9:10], v[107:108], v[27:28]
	v_fma_f64 v[13:14], v[107:108], 0, v[13:14]
	v_fma_f64 v[29:30], v[11:12], v[107:108], v[29:30]
	v_fma_f64 v[15:16], v[107:108], 0, v[15:16]
	v_fma_f64 v[23:24], v[92:93], v[109:110], v[23:24]
	v_fma_f64 v[31:32], 0x80000000, v[109:110], v[31:32]
	v_fma_f64 v[21:22], v[90:91], v[109:110], v[21:22]
	v_fma_f64 v[25:26], 0x80000000, v[109:110], v[25:26]
	v_fma_f64 v[27:28], 0x80000000, v[109:110], v[27:28]
	v_fma_f64 v[9:10], v[9:10], v[109:110], v[13:14]
	v_fma_f64 v[13:14], 0x80000000, v[109:110], v[29:30]
	v_fma_f64 v[11:12], v[11:12], v[109:110], v[15:16]
	s_waitcnt vmcnt(9)
	v_fma_f64 v[23:24], v[53:54], 0, v[23:24]
	v_fma_f64 v[15:16], v[17:18], v[53:54], v[31:32]
	v_fma_f64 v[21:22], v[53:54], 0, v[21:22]
	v_fma_f64 v[25:26], v[19:20], v[53:54], v[25:26]
	v_fma_f64 v[27:28], v[49:50], v[53:54], v[27:28]
	v_fma_f64 v[9:10], v[53:54], 0, v[9:10]
	v_fma_f64 v[13:14], v[51:52], v[53:54], v[13:14]
	v_fma_f64 v[11:12], v[53:54], 0, v[11:12]
	v_fma_f64 v[19:20], v[19:20], v[55:56], v[23:24]
	v_fma_f64 v[15:16], 0x80000000, v[55:56], v[15:16]
	v_fma_f64 v[17:18], v[17:18], v[55:56], v[21:22]
	v_fma_f64 v[21:22], 0x80000000, v[55:56], v[25:26]
	v_fma_f64 v[23:24], 0x80000000, v[55:56], v[27:28]
	v_fma_f64 v[9:10], v[49:50], v[55:56], v[9:10]
	v_fma_f64 v[13:14], 0x80000000, v[55:56], v[13:14]
	v_fma_f64 v[11:12], v[51:52], v[55:56], v[11:12]
	s_waitcnt vmcnt(8)
	v_fma_f64 v[19:20], v[45:46], 0, v[19:20]
	s_waitcnt vmcnt(7)
	v_fma_f64 v[15:16], v[37:38], v[45:46], v[15:16]
	v_fma_f64 v[17:18], v[45:46], 0, v[17:18]
	;; [unrolled: 1-line block ×3, first 2 shown]
	s_waitcnt vmcnt(6)
	v_fma_f64 v[23:24], v[41:42], v[45:46], v[23:24]
	v_fma_f64 v[9:10], v[45:46], 0, v[9:10]
	;; [unrolled: 1-line block ×12, first 2 shown]
	s_waitcnt vmcnt(3)
	v_fma_f64 v[19:20], v[82:83], 0, v[19:20]
	v_fma_f64 v[15:16], v[69:70], v[82:83], v[15:16]
	;; [unrolled: 1-line block ×16, first 2 shown]
	s_waitcnt vmcnt(0)
	v_fma_f64 v[19:20], v[111:112], 0, v[19:20]
	v_fma_f64 v[15:16], v[57:58], v[111:112], v[15:16]
	;; [unrolled: 1-line block ×16, first 2 shown]
	s_andn2_b32 exec_lo, exec_lo, s8
	s_cbranch_execnz .LBB138_31
; %bb.32:
	s_or_b32 exec_lo, exec_lo, s8
.LBB138_33:
	s_or_b32 exec_lo, exec_lo, s3
.LBB138_34:
	s_or_b32 exec_lo, exec_lo, s1
.LBB138_35:
	v_mbcnt_lo_u32_b32 v41, -1, 0
	v_xor_b32_e32 v9, 16, v41
	v_xor_b32_e32 v25, 8, v41
	v_cmp_gt_i32_e32 vcc_lo, 32, v9
	v_cndmask_b32_e32 v9, v41, v9, vcc_lo
	v_cmp_gt_i32_e32 vcc_lo, 32, v25
	v_lshlrev_b32_e32 v24, 2, v9
	v_cndmask_b32_e32 v25, v41, v25, vcc_lo
	ds_bpermute_b32 v9, v24, v92
	ds_bpermute_b32 v10, v24, v93
	;; [unrolled: 1-line block ×16, first 2 shown]
	v_lshlrev_b32_e32 v40, 2, v25
	s_waitcnt lgkmcnt(14)
	v_add_f64 v[9:10], v[92:93], v[9:10]
	s_waitcnt lgkmcnt(12)
	v_add_f64 v[11:12], v[90:91], v[11:12]
	;; [unrolled: 2-line block ×8, first 2 shown]
	ds_bpermute_b32 v25, v40, v9
	ds_bpermute_b32 v26, v40, v10
	;; [unrolled: 1-line block ×16, first 2 shown]
	s_waitcnt lgkmcnt(14)
	v_add_f64 v[9:10], v[9:10], v[25:26]
	v_xor_b32_e32 v25, 4, v41
	s_waitcnt lgkmcnt(12)
	v_add_f64 v[11:12], v[11:12], v[27:28]
	s_waitcnt lgkmcnt(10)
	v_add_f64 v[13:14], v[13:14], v[29:30]
	v_cmp_gt_i32_e32 vcc_lo, 32, v25
	s_waitcnt lgkmcnt(8)
	v_add_f64 v[15:16], v[15:16], v[31:32]
	s_waitcnt lgkmcnt(6)
	v_add_f64 v[17:18], v[17:18], v[33:34]
	;; [unrolled: 2-line block ×3, first 2 shown]
	v_cndmask_b32_e32 v25, v41, v25, vcc_lo
	s_waitcnt lgkmcnt(2)
	v_add_f64 v[21:22], v[21:22], v[37:38]
	s_waitcnt lgkmcnt(0)
	v_add_f64 v[23:24], v[23:24], v[39:40]
	v_lshlrev_b32_e32 v40, 2, v25
	ds_bpermute_b32 v25, v40, v9
	ds_bpermute_b32 v26, v40, v10
	;; [unrolled: 1-line block ×16, first 2 shown]
	s_waitcnt lgkmcnt(14)
	v_add_f64 v[9:10], v[9:10], v[25:26]
	v_xor_b32_e32 v25, 2, v41
	s_waitcnt lgkmcnt(12)
	v_add_f64 v[11:12], v[11:12], v[27:28]
	s_waitcnt lgkmcnt(10)
	v_add_f64 v[13:14], v[13:14], v[29:30]
	v_cmp_gt_i32_e32 vcc_lo, 32, v25
	s_waitcnt lgkmcnt(8)
	v_add_f64 v[15:16], v[15:16], v[31:32]
	s_waitcnt lgkmcnt(6)
	v_add_f64 v[17:18], v[17:18], v[33:34]
	;; [unrolled: 2-line block ×3, first 2 shown]
	v_cndmask_b32_e32 v27, v41, v25, vcc_lo
	s_waitcnt lgkmcnt(2)
	v_add_f64 v[21:22], v[21:22], v[37:38]
	s_waitcnt lgkmcnt(0)
	v_add_f64 v[25:26], v[23:24], v[39:40]
	v_lshlrev_b32_e32 v40, 2, v27
	ds_bpermute_b32 v23, v40, v9
	ds_bpermute_b32 v24, v40, v10
	;; [unrolled: 1-line block ×16, first 2 shown]
	s_waitcnt lgkmcnt(14)
	v_add_f64 v[9:10], v[9:10], v[23:24]
	s_waitcnt lgkmcnt(12)
	v_add_f64 v[27:28], v[11:12], v[27:28]
	;; [unrolled: 2-line block ×3, first 2 shown]
	v_xor_b32_e32 v29, 1, v41
	s_waitcnt lgkmcnt(8)
	v_add_f64 v[23:24], v[15:16], v[31:32]
	s_waitcnt lgkmcnt(6)
	v_add_f64 v[13:14], v[17:18], v[33:34]
	v_cmp_gt_i32_e32 vcc_lo, 32, v29
	s_waitcnt lgkmcnt(4)
	v_add_f64 v[17:18], v[19:20], v[35:36]
	s_waitcnt lgkmcnt(2)
	v_add_f64 v[15:16], v[21:22], v[37:38]
	;; [unrolled: 2-line block ×3, first 2 shown]
	v_cndmask_b32_e32 v29, v41, v29, vcc_lo
	v_cmp_eq_u32_e32 vcc_lo, 31, v0
	v_lshlrev_b32_e32 v34, 2, v29
	ds_bpermute_b32 v21, v34, v9
	ds_bpermute_b32 v22, v34, v10
	;; [unrolled: 1-line block ×16, first 2 shown]
	s_and_b32 exec_lo, exec_lo, vcc_lo
	s_cbranch_execz .LBB138_8
; %bb.36:
	s_waitcnt lgkmcnt(12)
	v_add_f64 v[27:28], v[27:28], v[39:40]
	s_waitcnt lgkmcnt(8)
	v_add_f64 v[23:24], v[23:24], v[37:38]
	;; [unrolled: 2-line block ×4, first 2 shown]
	v_add_f64 v[9:10], v[9:10], v[21:22]
	v_add_f64 v[11:12], v[11:12], v[25:26]
	;; [unrolled: 1-line block ×4, first 2 shown]
	v_cmp_eq_f64_e32 vcc_lo, 0, v[1:2]
	v_cmp_eq_f64_e64 s0, 0, v[3:4]
	s_load_dwordx2 s[2:3], s[4:5], 0x60
	v_mul_f64 v[13:14], v[27:28], -v[7:8]
	v_mul_f64 v[15:16], v[5:6], v[27:28]
	v_mul_f64 v[27:28], v[23:24], -v[7:8]
	v_mul_f64 v[23:24], v[5:6], v[23:24]
	;; [unrolled: 2-line block ×4, first 2 shown]
	s_and_b32 s0, vcc_lo, s0
	v_fma_f64 v[17:18], v[5:6], v[9:10], v[13:14]
	v_fma_f64 v[19:20], v[7:8], v[9:10], v[15:16]
	v_fma_f64 v[13:14], v[5:6], v[11:12], v[27:28]
	v_fma_f64 v[15:16], v[7:8], v[11:12], v[23:24]
	v_fma_f64 v[9:10], v[5:6], v[21:22], v[29:30]
	v_fma_f64 v[11:12], v[7:8], v[21:22], v[31:32]
	v_fma_f64 v[5:6], v[5:6], v[25:26], v[33:34]
	v_fma_f64 v[7:8], v[7:8], v[25:26], v[35:36]
	v_lshlrev_b32_e32 v21, 2, v77
	s_and_saveexec_b32 s1, s0
	s_xor_b32 s0, exec_lo, s1
	s_cbranch_execz .LBB138_38
; %bb.37:
	v_ashrrev_i32_e32 v22, 31, v21
	v_lshlrev_b64 v[0:1], 4, v[21:22]
                                        ; implicit-def: $vgpr21
	s_waitcnt lgkmcnt(0)
	v_add_co_u32 v0, vcc_lo, s2, v0
	v_add_co_ci_u32_e64 v1, null, s3, v1, vcc_lo
	global_store_dwordx4 v[0:1], v[17:20], off
	global_store_dwordx4 v[0:1], v[13:16], off offset:16
	global_store_dwordx4 v[0:1], v[9:12], off offset:32
	;; [unrolled: 1-line block ×3, first 2 shown]
                                        ; implicit-def: $vgpr3_vgpr4
                                        ; implicit-def: $vgpr17_vgpr18
                                        ; implicit-def: $vgpr13_vgpr14
                                        ; implicit-def: $vgpr9_vgpr10
                                        ; implicit-def: $vgpr5_vgpr6
.LBB138_38:
	s_andn2_saveexec_b32 s0, s0
	s_cbranch_execz .LBB138_8
; %bb.39:
	v_ashrrev_i32_e32 v22, 31, v21
	v_lshlrev_b64 v[21:22], 4, v[21:22]
	s_waitcnt lgkmcnt(0)
	v_add_co_u32 v37, vcc_lo, s2, v21
	v_add_co_ci_u32_e64 v38, null, s3, v22, vcc_lo
	s_clause 0x3
	global_load_dwordx4 v[21:24], v[37:38], off
	global_load_dwordx4 v[25:28], v[37:38], off offset:16
	global_load_dwordx4 v[29:32], v[37:38], off offset:32
	;; [unrolled: 1-line block ×3, first 2 shown]
	s_waitcnt vmcnt(3)
	v_fma_f64 v[17:18], v[1:2], v[21:22], v[17:18]
	v_fma_f64 v[19:20], v[3:4], v[21:22], v[19:20]
	s_waitcnt vmcnt(2)
	v_fma_f64 v[13:14], v[1:2], v[25:26], v[13:14]
	v_fma_f64 v[15:16], v[3:4], v[25:26], v[15:16]
	;; [unrolled: 3-line block ×4, first 2 shown]
	v_fma_f64 v[5:6], -v[3:4], v[23:24], v[17:18]
	v_fma_f64 v[7:8], v[1:2], v[23:24], v[19:20]
	v_fma_f64 v[9:10], -v[3:4], v[27:28], v[13:14]
	v_fma_f64 v[11:12], v[1:2], v[27:28], v[15:16]
	;; [unrolled: 2-line block ×4, first 2 shown]
	global_store_dwordx4 v[37:38], v[5:8], off
	global_store_dwordx4 v[37:38], v[9:12], off offset:16
	global_store_dwordx4 v[37:38], v[13:16], off offset:32
	;; [unrolled: 1-line block ×3, first 2 shown]
	s_endpgm
	.section	.rodata,"a",@progbits
	.p2align	6, 0x0
	.amdhsa_kernel _ZN9rocsparseL18bsrxmvn_4x4_kernelILj128ELj32E21rocsparse_complex_numIdEiidS2_S2_EEvT3_20rocsparse_direction_NS_24const_host_device_scalarIT1_EES3_PKS3_PKT2_SC_S9_PKT4_PKT5_S7_PT6_21rocsparse_index_base_b
		.amdhsa_group_segment_fixed_size 0
		.amdhsa_private_segment_fixed_size 0
		.amdhsa_kernarg_size 112
		.amdhsa_user_sgpr_count 6
		.amdhsa_user_sgpr_private_segment_buffer 1
		.amdhsa_user_sgpr_dispatch_ptr 0
		.amdhsa_user_sgpr_queue_ptr 0
		.amdhsa_user_sgpr_kernarg_segment_ptr 1
		.amdhsa_user_sgpr_dispatch_id 0
		.amdhsa_user_sgpr_flat_scratch_init 0
		.amdhsa_user_sgpr_private_segment_size 0
		.amdhsa_wavefront_size32 1
		.amdhsa_uses_dynamic_stack 0
		.amdhsa_system_sgpr_private_segment_wavefront_offset 0
		.amdhsa_system_sgpr_workgroup_id_x 1
		.amdhsa_system_sgpr_workgroup_id_y 0
		.amdhsa_system_sgpr_workgroup_id_z 0
		.amdhsa_system_sgpr_workgroup_info 0
		.amdhsa_system_vgpr_workitem_id 0
		.amdhsa_next_free_vgpr 154
		.amdhsa_next_free_sgpr 16
		.amdhsa_reserve_vcc 1
		.amdhsa_reserve_flat_scratch 0
		.amdhsa_float_round_mode_32 0
		.amdhsa_float_round_mode_16_64 0
		.amdhsa_float_denorm_mode_32 3
		.amdhsa_float_denorm_mode_16_64 3
		.amdhsa_dx10_clamp 1
		.amdhsa_ieee_mode 1
		.amdhsa_fp16_overflow 0
		.amdhsa_workgroup_processor_mode 1
		.amdhsa_memory_ordered 1
		.amdhsa_forward_progress 1
		.amdhsa_shared_vgpr_count 0
		.amdhsa_exception_fp_ieee_invalid_op 0
		.amdhsa_exception_fp_denorm_src 0
		.amdhsa_exception_fp_ieee_div_zero 0
		.amdhsa_exception_fp_ieee_overflow 0
		.amdhsa_exception_fp_ieee_underflow 0
		.amdhsa_exception_fp_ieee_inexact 0
		.amdhsa_exception_int_div_zero 0
	.end_amdhsa_kernel
	.section	.text._ZN9rocsparseL18bsrxmvn_4x4_kernelILj128ELj32E21rocsparse_complex_numIdEiidS2_S2_EEvT3_20rocsparse_direction_NS_24const_host_device_scalarIT1_EES3_PKS3_PKT2_SC_S9_PKT4_PKT5_S7_PT6_21rocsparse_index_base_b,"axG",@progbits,_ZN9rocsparseL18bsrxmvn_4x4_kernelILj128ELj32E21rocsparse_complex_numIdEiidS2_S2_EEvT3_20rocsparse_direction_NS_24const_host_device_scalarIT1_EES3_PKS3_PKT2_SC_S9_PKT4_PKT5_S7_PT6_21rocsparse_index_base_b,comdat
.Lfunc_end138:
	.size	_ZN9rocsparseL18bsrxmvn_4x4_kernelILj128ELj32E21rocsparse_complex_numIdEiidS2_S2_EEvT3_20rocsparse_direction_NS_24const_host_device_scalarIT1_EES3_PKS3_PKT2_SC_S9_PKT4_PKT5_S7_PT6_21rocsparse_index_base_b, .Lfunc_end138-_ZN9rocsparseL18bsrxmvn_4x4_kernelILj128ELj32E21rocsparse_complex_numIdEiidS2_S2_EEvT3_20rocsparse_direction_NS_24const_host_device_scalarIT1_EES3_PKS3_PKT2_SC_S9_PKT4_PKT5_S7_PT6_21rocsparse_index_base_b
                                        ; -- End function
	.set _ZN9rocsparseL18bsrxmvn_4x4_kernelILj128ELj32E21rocsparse_complex_numIdEiidS2_S2_EEvT3_20rocsparse_direction_NS_24const_host_device_scalarIT1_EES3_PKS3_PKT2_SC_S9_PKT4_PKT5_S7_PT6_21rocsparse_index_base_b.num_vgpr, 154
	.set _ZN9rocsparseL18bsrxmvn_4x4_kernelILj128ELj32E21rocsparse_complex_numIdEiidS2_S2_EEvT3_20rocsparse_direction_NS_24const_host_device_scalarIT1_EES3_PKS3_PKT2_SC_S9_PKT4_PKT5_S7_PT6_21rocsparse_index_base_b.num_agpr, 0
	.set _ZN9rocsparseL18bsrxmvn_4x4_kernelILj128ELj32E21rocsparse_complex_numIdEiidS2_S2_EEvT3_20rocsparse_direction_NS_24const_host_device_scalarIT1_EES3_PKS3_PKT2_SC_S9_PKT4_PKT5_S7_PT6_21rocsparse_index_base_b.numbered_sgpr, 16
	.set _ZN9rocsparseL18bsrxmvn_4x4_kernelILj128ELj32E21rocsparse_complex_numIdEiidS2_S2_EEvT3_20rocsparse_direction_NS_24const_host_device_scalarIT1_EES3_PKS3_PKT2_SC_S9_PKT4_PKT5_S7_PT6_21rocsparse_index_base_b.num_named_barrier, 0
	.set _ZN9rocsparseL18bsrxmvn_4x4_kernelILj128ELj32E21rocsparse_complex_numIdEiidS2_S2_EEvT3_20rocsparse_direction_NS_24const_host_device_scalarIT1_EES3_PKS3_PKT2_SC_S9_PKT4_PKT5_S7_PT6_21rocsparse_index_base_b.private_seg_size, 0
	.set _ZN9rocsparseL18bsrxmvn_4x4_kernelILj128ELj32E21rocsparse_complex_numIdEiidS2_S2_EEvT3_20rocsparse_direction_NS_24const_host_device_scalarIT1_EES3_PKS3_PKT2_SC_S9_PKT4_PKT5_S7_PT6_21rocsparse_index_base_b.uses_vcc, 1
	.set _ZN9rocsparseL18bsrxmvn_4x4_kernelILj128ELj32E21rocsparse_complex_numIdEiidS2_S2_EEvT3_20rocsparse_direction_NS_24const_host_device_scalarIT1_EES3_PKS3_PKT2_SC_S9_PKT4_PKT5_S7_PT6_21rocsparse_index_base_b.uses_flat_scratch, 0
	.set _ZN9rocsparseL18bsrxmvn_4x4_kernelILj128ELj32E21rocsparse_complex_numIdEiidS2_S2_EEvT3_20rocsparse_direction_NS_24const_host_device_scalarIT1_EES3_PKS3_PKT2_SC_S9_PKT4_PKT5_S7_PT6_21rocsparse_index_base_b.has_dyn_sized_stack, 0
	.set _ZN9rocsparseL18bsrxmvn_4x4_kernelILj128ELj32E21rocsparse_complex_numIdEiidS2_S2_EEvT3_20rocsparse_direction_NS_24const_host_device_scalarIT1_EES3_PKS3_PKT2_SC_S9_PKT4_PKT5_S7_PT6_21rocsparse_index_base_b.has_recursion, 0
	.set _ZN9rocsparseL18bsrxmvn_4x4_kernelILj128ELj32E21rocsparse_complex_numIdEiidS2_S2_EEvT3_20rocsparse_direction_NS_24const_host_device_scalarIT1_EES3_PKS3_PKT2_SC_S9_PKT4_PKT5_S7_PT6_21rocsparse_index_base_b.has_indirect_call, 0
	.section	.AMDGPU.csdata,"",@progbits
; Kernel info:
; codeLenInByte = 10752
; TotalNumSgprs: 18
; NumVgprs: 154
; ScratchSize: 0
; MemoryBound: 0
; FloatMode: 240
; IeeeMode: 1
; LDSByteSize: 0 bytes/workgroup (compile time only)
; SGPRBlocks: 0
; VGPRBlocks: 19
; NumSGPRsForWavesPerEU: 18
; NumVGPRsForWavesPerEU: 154
; Occupancy: 6
; WaveLimiterHint : 1
; COMPUTE_PGM_RSRC2:SCRATCH_EN: 0
; COMPUTE_PGM_RSRC2:USER_SGPR: 6
; COMPUTE_PGM_RSRC2:TRAP_HANDLER: 0
; COMPUTE_PGM_RSRC2:TGID_X_EN: 1
; COMPUTE_PGM_RSRC2:TGID_Y_EN: 0
; COMPUTE_PGM_RSRC2:TGID_Z_EN: 0
; COMPUTE_PGM_RSRC2:TIDIG_COMP_CNT: 0
	.section	.text._ZN9rocsparseL18bsrxmvn_4x4_kernelILj128ELj64E21rocsparse_complex_numIdEiidS2_S2_EEvT3_20rocsparse_direction_NS_24const_host_device_scalarIT1_EES3_PKS3_PKT2_SC_S9_PKT4_PKT5_S7_PT6_21rocsparse_index_base_b,"axG",@progbits,_ZN9rocsparseL18bsrxmvn_4x4_kernelILj128ELj64E21rocsparse_complex_numIdEiidS2_S2_EEvT3_20rocsparse_direction_NS_24const_host_device_scalarIT1_EES3_PKS3_PKT2_SC_S9_PKT4_PKT5_S7_PT6_21rocsparse_index_base_b,comdat
	.globl	_ZN9rocsparseL18bsrxmvn_4x4_kernelILj128ELj64E21rocsparse_complex_numIdEiidS2_S2_EEvT3_20rocsparse_direction_NS_24const_host_device_scalarIT1_EES3_PKS3_PKT2_SC_S9_PKT4_PKT5_S7_PT6_21rocsparse_index_base_b ; -- Begin function _ZN9rocsparseL18bsrxmvn_4x4_kernelILj128ELj64E21rocsparse_complex_numIdEiidS2_S2_EEvT3_20rocsparse_direction_NS_24const_host_device_scalarIT1_EES3_PKS3_PKT2_SC_S9_PKT4_PKT5_S7_PT6_21rocsparse_index_base_b
	.p2align	8
	.type	_ZN9rocsparseL18bsrxmvn_4x4_kernelILj128ELj64E21rocsparse_complex_numIdEiidS2_S2_EEvT3_20rocsparse_direction_NS_24const_host_device_scalarIT1_EES3_PKS3_PKT2_SC_S9_PKT4_PKT5_S7_PT6_21rocsparse_index_base_b,@function
_ZN9rocsparseL18bsrxmvn_4x4_kernelILj128ELj64E21rocsparse_complex_numIdEiidS2_S2_EEvT3_20rocsparse_direction_NS_24const_host_device_scalarIT1_EES3_PKS3_PKT2_SC_S9_PKT4_PKT5_S7_PT6_21rocsparse_index_base_b: ; @_ZN9rocsparseL18bsrxmvn_4x4_kernelILj128ELj64E21rocsparse_complex_numIdEiidS2_S2_EEvT3_20rocsparse_direction_NS_24const_host_device_scalarIT1_EES3_PKS3_PKT2_SC_S9_PKT4_PKT5_S7_PT6_21rocsparse_index_base_b
; %bb.0:
	s_clause 0x1
	s_load_dwordx2 s[2:3], s[4:5], 0x68
	s_load_dwordx2 s[0:1], s[4:5], 0x8
	s_add_u32 s7, s4, 8
	s_addc_u32 s10, s5, 0
	s_add_u32 s11, s4, 0x50
	s_addc_u32 s12, s5, 0
	s_load_dwordx2 s[8:9], s[4:5], 0x50
	s_waitcnt lgkmcnt(0)
	s_bitcmp1_b32 s3, 0
	s_cselect_b32 s0, s7, s0
	s_cselect_b32 s1, s10, s1
	v_mov_b32_e32 v1, s0
	v_mov_b32_e32 v2, s1
	s_cselect_b32 s0, s11, s8
	s_cselect_b32 s1, s12, s9
	flat_load_dwordx4 v[5:8], v[1:2]
	v_mov_b32_e32 v1, s0
	v_mov_b32_e32 v2, s1
	flat_load_dwordx4 v[1:4], v[1:2]
	s_waitcnt vmcnt(1) lgkmcnt(1)
	v_cmp_eq_f64_e32 vcc_lo, 0, v[5:6]
	v_cmp_eq_f64_e64 s0, 0, v[7:8]
	s_and_b32 s3, vcc_lo, s0
	s_mov_b32 s0, -1
	s_and_saveexec_b32 s1, s3
	s_cbranch_execz .LBB139_2
; %bb.1:
	s_waitcnt vmcnt(0) lgkmcnt(0)
	v_cmp_neq_f64_e32 vcc_lo, 1.0, v[1:2]
	v_cmp_neq_f64_e64 s0, 0, v[3:4]
	s_or_b32 s0, vcc_lo, s0
	s_orn2_b32 s0, s0, exec_lo
.LBB139_2:
	s_or_b32 exec_lo, exec_lo, s1
	s_and_saveexec_b32 s1, s0
	s_cbranch_execz .LBB139_8
; %bb.3:
	s_clause 0x1
	s_load_dwordx2 s[8:9], s[4:5], 0x20
	s_load_dwordx2 s[0:1], s[4:5], 0x0
	v_lshrrev_b32_e32 v9, 6, v0
	v_lshl_or_b32 v77, s6, 1, v9
	s_waitcnt lgkmcnt(0)
	s_cmp_lg_u64 s[8:9], 0
	s_cbranch_scc0 .LBB139_9
; %bb.4:
	s_load_dword s3, s[4:5], 0x18
	s_mov_b32 s6, 0
                                        ; implicit-def: $vgpr9
	s_waitcnt lgkmcnt(0)
	v_cmp_gt_i32_e32 vcc_lo, s3, v77
	s_mov_b32 s3, 0
	s_and_saveexec_b32 s7, vcc_lo
	s_xor_b32 s7, exec_lo, s7
	s_cbranch_execz .LBB139_6
; %bb.5:
	v_ashrrev_i32_e32 v78, 31, v77
	s_mov_b32 s3, exec_lo
	v_lshlrev_b64 v[9:10], 2, v[77:78]
	v_add_co_u32 v9, vcc_lo, s8, v9
	v_add_co_ci_u32_e64 v10, null, s9, v10, vcc_lo
	global_load_dword v9, v[9:10], off
	s_waitcnt vmcnt(0)
	v_subrev_nc_u32_e32 v9, s2, v9
.LBB139_6:
	s_or_b32 exec_lo, exec_lo, s7
	s_and_b32 vcc_lo, exec_lo, s6
	s_cbranch_vccz .LBB139_10
.LBB139_7:
	v_cmp_gt_i32_e32 vcc_lo, s0, v77
	s_andn2_b32 s0, s3, exec_lo
	s_and_b32 s3, vcc_lo, exec_lo
	s_or_b32 s3, s0, s3
	s_and_b32 exec_lo, exec_lo, s3
	s_cbranch_execnz .LBB139_11
.LBB139_8:
	s_endpgm
.LBB139_9:
	s_mov_b32 s3, 0
                                        ; implicit-def: $vgpr9
	s_cbranch_execnz .LBB139_7
.LBB139_10:
	v_mov_b32_e32 v77, v9
	s_and_b32 exec_lo, exec_lo, s3
	s_cbranch_execz .LBB139_8
.LBB139_11:
	s_load_dwordx8 s[8:15], s[4:5], 0x28
	v_ashrrev_i32_e32 v78, 31, v77
	v_and_b32_e32 v0, 63, v0
	s_load_dwordx2 s[6:7], s[4:5], 0x48
	v_lshlrev_b64 v[9:10], 2, v[77:78]
	s_waitcnt lgkmcnt(0)
	v_add_co_u32 v11, vcc_lo, s8, v9
	v_add_co_ci_u32_e64 v12, null, s9, v10, vcc_lo
	v_add_co_u32 v9, vcc_lo, s10, v9
	v_add_co_ci_u32_e64 v10, null, s11, v10, vcc_lo
	global_load_dword v103, v[11:12], off
	v_add_co_u32 v11, vcc_lo, v11, 4
	v_add_co_ci_u32_e64 v12, null, 0, v12, vcc_lo
	s_cmp_eq_u64 s[10:11], 0
	s_cselect_b32 vcc_lo, -1, 0
	s_cmp_eq_u32 s1, 1
	v_cndmask_b32_e32 v10, v10, v12, vcc_lo
	v_cndmask_b32_e32 v9, v9, v11, vcc_lo
	global_load_dword v11, v[9:10], off
	s_waitcnt vmcnt(1)
	v_subrev_nc_u32_e32 v9, s2, v103
	v_add_nc_u32_e32 v78, v9, v0
	v_ashrrev_i32_e32 v79, 31, v78
	s_waitcnt vmcnt(0)
	v_subrev_nc_u32_e32 v102, s2, v11
	v_lshlrev_b64 v[9:10], 7, v[78:79]
	v_cmp_lt_i32_e64 s0, v78, v102
	v_add_co_u32 v80, vcc_lo, s14, v9
	v_add_co_ci_u32_e64 v81, null, s15, v10, vcc_lo
	s_cbranch_scc1 .LBB139_23
; %bb.12:
	v_mov_b32_e32 v90, 0
	v_mov_b32_e32 v92, 0
	;; [unrolled: 1-line block ×16, first 2 shown]
	s_and_saveexec_b32 s3, s0
	s_cbranch_execz .LBB139_22
; %bb.13:
	v_add_nc_u32_e32 v9, v103, v0
	v_not_b32_e32 v10, v103
	v_mov_b32_e32 v82, 0
	v_mov_b32_e32 v84, 0
	;; [unrolled: 1-line block ×3, first 2 shown]
	v_subrev_nc_u32_e32 v9, s2, v9
	v_mov_b32_e32 v86, 0
	v_mov_b32_e32 v96, 0
	;; [unrolled: 1-line block ×4, first 2 shown]
	v_add_nc_u32_e32 v9, 64, v9
	v_mov_b32_e32 v90, 0
	v_mov_b32_e32 v101, v81
	;; [unrolled: 1-line block ×4, first 2 shown]
	v_max_i32_e32 v9, v9, v102
	v_mov_b32_e32 v89, 0
	v_mov_b32_e32 v87, 0
	;; [unrolled: 1-line block ×4, first 2 shown]
	v_add3_u32 v9, s2, v9, v10
	v_mov_b32_e32 v93, 0
	v_mov_b32_e32 v91, 0
	;; [unrolled: 1-line block ×4, first 2 shown]
	v_sub_nc_u32_e32 v9, v9, v0
	s_mov_b32 s1, exec_lo
	v_and_b32_e32 v10, 0xc0, v9
	v_cmpx_ne_u32_e32 0xc0, v10
	s_cbranch_execz .LBB139_17
; %bb.14:
	v_lshrrev_b32_e32 v10, 6, v9
	v_mov_b32_e32 v90, 0
	v_mov_b32_e32 v92, 0
	;; [unrolled: 1-line block ×4, first 2 shown]
	v_add_nc_u32_e32 v10, 1, v10
	v_mov_b32_e32 v86, 0
	v_mov_b32_e32 v88, 0
	;; [unrolled: 1-line block ×4, first 2 shown]
	v_and_b32_e32 v10, 3, v10
	v_mov_b32_e32 v101, v81
	v_mov_b32_e32 v91, 0
	v_mov_b32_e32 v98, v78
	v_mov_b32_e32 v93, 0
	v_mov_b32_e32 v95, 0
	v_mov_b32_e32 v97, 0
	v_mov_b32_e32 v87, 0
	v_mov_b32_e32 v89, 0
	v_mov_b32_e32 v85, 0
	v_mov_b32_e32 v83, 0
	v_sub_nc_u32_e32 v10, 0, v10
	v_mov_b32_e32 v100, v80
	s_mov_b32 s8, 0
.LBB139_15:                             ; =>This Inner Loop Header: Depth=1
	v_ashrrev_i32_e32 v99, 31, v98
	v_add_co_u32 v10, s9, v10, 1
	s_or_b32 s8, s9, s8
	v_lshlrev_b64 v[11:12], 2, v[98:99]
	v_add_nc_u32_e32 v98, 64, v98
	v_add_co_u32 v11, vcc_lo, s12, v11
	v_add_co_ci_u32_e64 v12, null, s13, v12, vcc_lo
	global_load_dword v43, v[11:12], off
	s_clause 0x7
	global_load_dwordx4 v[11:14], v[100:101], off offset:48
	global_load_dwordx4 v[15:18], v[100:101], off offset:32
	;; [unrolled: 1-line block ×3, first 2 shown]
	global_load_dwordx4 v[23:26], v[100:101], off
	global_load_dwordx4 v[27:30], v[100:101], off offset:112
	global_load_dwordx4 v[31:34], v[100:101], off offset:96
	;; [unrolled: 1-line block ×4, first 2 shown]
	s_waitcnt vmcnt(8)
	v_subrev_nc_u32_e32 v43, s2, v43
	v_lshlrev_b32_e32 v43, 2, v43
	v_ashrrev_i32_e32 v44, 31, v43
	v_lshlrev_b64 v[43:44], 4, v[43:44]
	v_add_co_u32 v55, vcc_lo, s6, v43
	v_add_co_ci_u32_e64 v56, null, s7, v44, vcc_lo
	v_add_co_u32 v100, vcc_lo, 0x2000, v100
	v_add_co_ci_u32_e64 v101, null, 0, v101, vcc_lo
	s_clause 0x3
	global_load_dwordx4 v[43:46], v[55:56], off
	global_load_dwordx4 v[47:50], v[55:56], off offset:16
	global_load_dwordx4 v[51:54], v[55:56], off offset:32
	global_load_dwordx4 v[55:58], v[55:56], off offset:48
	s_waitcnt vmcnt(3)
	v_fma_f64 v[59:60], v[23:24], v[43:44], v[92:93]
	v_fma_f64 v[61:62], v[43:44], 0, v[90:91]
	v_fma_f64 v[63:64], v[15:16], v[43:44], v[96:97]
	v_fma_f64 v[65:66], v[43:44], 0, v[94:95]
	v_fma_f64 v[67:68], v[39:40], v[43:44], v[88:89]
	v_fma_f64 v[69:70], v[43:44], 0, v[86:87]
	v_fma_f64 v[71:72], v[31:32], v[43:44], v[82:83]
	v_fma_f64 v[43:44], v[43:44], 0, v[84:85]
	v_fma_f64 v[59:60], 0x80000000, v[45:46], v[59:60]
	v_fma_f64 v[23:24], v[23:24], v[45:46], v[61:62]
	v_fma_f64 v[61:62], 0x80000000, v[45:46], v[63:64]
	v_fma_f64 v[15:16], v[15:16], v[45:46], v[65:66]
	v_fma_f64 v[63:64], 0x80000000, v[45:46], v[67:68]
	v_fma_f64 v[39:40], v[39:40], v[45:46], v[69:70]
	v_fma_f64 v[65:66], 0x80000000, v[45:46], v[71:72]
	v_fma_f64 v[31:32], v[31:32], v[45:46], v[43:44]
	s_waitcnt vmcnt(2)
	v_fma_f64 v[43:44], v[25:26], v[47:48], v[59:60]
	v_fma_f64 v[23:24], v[47:48], 0, v[23:24]
	v_fma_f64 v[45:46], v[17:18], v[47:48], v[61:62]
	v_fma_f64 v[15:16], v[47:48], 0, v[15:16]
	v_fma_f64 v[59:60], v[41:42], v[47:48], v[63:64]
	v_fma_f64 v[39:40], v[47:48], 0, v[39:40]
	v_fma_f64 v[61:62], v[33:34], v[47:48], v[65:66]
	v_fma_f64 v[31:32], v[47:48], 0, v[31:32]
	v_fma_f64 v[43:44], 0x80000000, v[49:50], v[43:44]
	v_fma_f64 v[23:24], v[25:26], v[49:50], v[23:24]
	v_fma_f64 v[25:26], 0x80000000, v[49:50], v[45:46]
	v_fma_f64 v[15:16], v[17:18], v[49:50], v[15:16]
	v_fma_f64 v[17:18], 0x80000000, v[49:50], v[59:60]
	v_fma_f64 v[39:40], v[41:42], v[49:50], v[39:40]
	v_fma_f64 v[41:42], 0x80000000, v[49:50], v[61:62]
	v_fma_f64 v[31:32], v[33:34], v[49:50], v[31:32]
	;; [unrolled: 17-line block ×4, first 2 shown]
	s_andn2_b32 exec_lo, exec_lo, s8
	s_cbranch_execnz .LBB139_15
; %bb.16:
	s_or_b32 exec_lo, exec_lo, s8
.LBB139_17:
	s_or_b32 exec_lo, exec_lo, s1
	s_mov_b32 s8, exec_lo
	v_cmpx_lt_u32_e32 0xbf, v9
	s_cbranch_execz .LBB139_21
; %bb.18:
	s_mov_b32 s9, 0
.LBB139_19:                             ; =>This Inner Loop Header: Depth=1
	v_ashrrev_i32_e32 v99, 31, v98
	v_add_co_u32 v41, vcc_lo, 0x2000, v100
	v_add_co_ci_u32_e64 v42, null, 0, v101, vcc_lo
	v_lshlrev_b64 v[140:141], 2, v[98:99]
	v_add_co_u32 v53, vcc_lo, 0x4000, v100
	v_add_co_ci_u32_e64 v54, null, 0, v101, vcc_lo
	v_add_co_u32 v148, vcc_lo, 0x6000, v100
	v_add_co_ci_u32_e64 v149, null, 0, v101, vcc_lo
	;; [unrolled: 2-line block ×3, first 2 shown]
	s_clause 0x19
	global_load_dwordx4 v[9:12], v[100:101], off offset:48
	global_load_dwordx4 v[21:24], v[100:101], off offset:32
	;; [unrolled: 1-line block ×3, first 2 shown]
	global_load_dwordx4 v[29:32], v[100:101], off
	global_load_dwordx4 v[17:20], v[100:101], off offset:112
	global_load_dwordx4 v[33:36], v[100:101], off offset:96
	;; [unrolled: 1-line block ×6, first 2 shown]
	global_load_dwordx4 v[108:111], v[41:42], off
	global_load_dwordx4 v[73:76], v[41:42], off offset:16
	global_load_dwordx4 v[61:64], v[41:42], off offset:112
	;; [unrolled: 1-line block ×7, first 2 shown]
	global_load_dwordx4 v[124:127], v[53:54], off
	global_load_dwordx4 v[49:52], v[53:54], off offset:16
	global_load_dwordx4 v[45:48], v[53:54], off offset:112
	;; [unrolled: 1-line block ×5, first 2 shown]
	global_load_dwordx4 v[65:68], v[148:149], off
	global_load_dwordx4 v[53:56], v[148:149], off offset:48
	s_clause 0x3
	global_load_dword v79, v[140:141], off
	global_load_dword v99, v[140:141], off offset:256
	global_load_dword v152, v[140:141], off offset:512
	;; [unrolled: 1-line block ×3, first 2 shown]
	v_add_nc_u32_e32 v98, 0x100, v98
	v_add_co_u32 v100, s1, 0x8000, v100
	v_add_co_ci_u32_e64 v101, null, 0, v101, s1
	s_waitcnt vmcnt(3)
	v_subrev_nc_u32_e32 v79, s2, v79
	v_lshlrev_b32_e32 v140, 2, v79
	s_waitcnt vmcnt(2)
	v_subrev_nc_u32_e32 v79, s2, v99
	v_ashrrev_i32_e32 v141, 31, v140
	v_lshlrev_b64 v[140:141], 4, v[140:141]
	v_add_co_u32 v150, vcc_lo, s6, v140
	v_add_co_ci_u32_e64 v151, null, s7, v141, vcc_lo
	s_clause 0x1
	global_load_dwordx4 v[140:143], v[150:151], off
	global_load_dwordx4 v[144:147], v[150:151], off offset:16
	s_waitcnt vmcnt(1)
	v_fma_f64 v[90:91], v[140:141], 0, v[90:91]
	v_fma_f64 v[94:95], v[140:141], 0, v[94:95]
	;; [unrolled: 1-line block ×15, first 2 shown]
	global_load_dwordx4 v[82:85], v[148:149], off offset:32
	v_fma_f64 v[88:89], 0x80000000, v[142:143], v[88:89]
	s_waitcnt vmcnt(1)
	v_fma_f64 v[29:30], v[144:145], 0, v[29:30]
	v_fma_f64 v[21:22], v[144:145], 0, v[21:22]
	;; [unrolled: 1-line block ×9, first 2 shown]
	v_lshlrev_b32_e32 v29, 2, v79
	v_fma_f64 v[140:141], v[23:24], v[146:147], v[21:22]
	v_fma_f64 v[90:91], 0x80000000, v[146:147], v[90:91]
	;; [unrolled: 1-line block ×4, first 2 shown]
	v_ashrrev_i32_e32 v30, 31, v29
	v_fma_f64 v[144:145], v[35:36], v[146:147], v[33:34]
	v_subrev_nc_u32_e32 v79, s2, v152
	v_lshlrev_b64 v[29:30], 4, v[29:30]
	v_add_co_u32 v96, vcc_lo, s6, v29
	v_add_co_ci_u32_e64 v97, null, s7, v30, vcc_lo
	s_clause 0x1
	global_load_dwordx4 v[21:24], v[150:151], off offset:32
	global_load_dwordx4 v[29:32], v[150:151], off offset:48
	v_fma_f64 v[150:151], 0x80000000, v[146:147], v[88:89]
	v_fma_f64 v[146:147], 0x80000000, v[146:147], v[86:87]
	s_clause 0x2
	global_load_dwordx4 v[37:40], v[96:97], off
	global_load_dwordx4 v[33:36], v[96:97], off offset:16
	global_load_dwordx4 v[86:89], v[96:97], off offset:32
	s_waitcnt vmcnt(4)
	v_fma_f64 v[94:95], v[21:22], 0, v[94:95]
	v_fma_f64 v[90:91], v[13:14], v[21:22], v[90:91]
	;; [unrolled: 1-line block ×12, first 2 shown]
	v_lshlrev_b32_e32 v142, 2, v79
	v_fma_f64 v[92:93], 0x80000000, v[23:24], v[92:93]
	v_fma_f64 v[94:95], 0x80000000, v[23:24], v[150:151]
	;; [unrolled: 1-line block ×4, first 2 shown]
	v_ashrrev_i32_e32 v143, 31, v142
	v_subrev_nc_u32_e32 v79, s2, v153
	global_load_dwordx4 v[21:24], v[148:149], off offset:112
	s_waitcnt vmcnt(4)
	v_fma_f64 v[13:14], v[29:30], 0, v[13:14]
	v_fma_f64 v[90:91], v[15:16], v[29:30], v[90:91]
	v_fma_f64 v[9:10], v[29:30], 0, v[9:10]
	v_fma_f64 v[25:26], v[29:30], 0, v[25:26]
	v_fma_f64 v[92:93], v[11:12], v[29:30], v[92:93]
	v_fma_f64 v[94:95], v[27:28], v[29:30], v[94:95]
	v_fma_f64 v[17:18], v[29:30], 0, v[17:18]
	v_fma_f64 v[29:30], v[19:20], v[29:30], v[140:141]
	v_fma_f64 v[144:145], v[15:16], v[31:32], v[13:14]
	global_load_dwordx4 v[13:16], v[96:97], off offset:48
	v_lshlrev_b64 v[96:97], 4, v[142:143]
	v_fma_f64 v[142:143], v[11:12], v[31:32], v[9:10]
	v_fma_f64 v[90:91], 0x80000000, v[31:32], v[90:91]
	;; [unrolled: 1-line block ×5, first 2 shown]
	v_add_co_u32 v96, vcc_lo, s6, v96
	v_add_co_ci_u32_e64 v97, null, s7, v97, vcc_lo
	v_fma_f64 v[94:95], 0x80000000, v[31:32], v[94:95]
	v_fma_f64 v[150:151], 0x80000000, v[31:32], v[29:30]
	global_load_dwordx4 v[25:28], v[148:149], off offset:96
	s_clause 0x2
	global_load_dwordx4 v[9:12], v[96:97], off
	global_load_dwordx4 v[17:20], v[96:97], off offset:16
	global_load_dwordx4 v[29:32], v[96:97], off offset:32
	s_waitcnt vmcnt(8)
	v_fma_f64 v[144:145], v[37:38], 0, v[144:145]
	v_fma_f64 v[142:143], v[37:38], 0, v[142:143]
	;; [unrolled: 1-line block ×14, first 2 shown]
	v_lshlrev_b32_e32 v94, 2, v79
	v_fma_f64 v[144:145], 0x80000000, v[39:40], v[150:151]
	v_fma_f64 v[112:113], v[112:113], v[39:40], v[37:38]
	global_load_dwordx4 v[37:40], v[148:149], off offset:64
	v_ashrrev_i32_e32 v95, 31, v94
	s_waitcnt vmcnt(8)
	v_fma_f64 v[92:93], v[33:34], 0, v[108:109]
	v_lshlrev_b64 v[94:95], 4, v[94:95]
	v_fma_f64 v[108:109], v[110:111], v[33:34], v[90:91]
	v_fma_f64 v[116:117], v[33:34], 0, v[116:117]
	v_add_co_u32 v146, vcc_lo, s6, v94
	v_add_co_ci_u32_e64 v147, null, s7, v95, vcc_lo
	v_fma_f64 v[94:95], v[33:34], 0, v[104:105]
	v_fma_f64 v[104:105], v[106:107], v[33:34], v[140:141]
	v_fma_f64 v[140:141], v[118:119], v[33:34], v[142:143]
	v_fma_f64 v[142:143], v[114:115], v[33:34], v[144:145]
	v_fma_f64 v[33:34], v[33:34], 0, v[112:113]
	v_cmp_ge_i32_e32 vcc_lo, v98, v102
	s_or_b32 s9, vcc_lo, s9
	v_fma_f64 v[110:111], v[110:111], v[35:36], v[92:93]
	global_load_dwordx4 v[90:93], v[96:97], off offset:48
	v_fma_f64 v[108:109], 0x80000000, v[35:36], v[108:109]
	v_fma_f64 v[116:117], v[118:119], v[35:36], v[116:117]
	;; [unrolled: 1-line block ×3, first 2 shown]
	global_load_dwordx4 v[94:97], v[146:147], off
	v_fma_f64 v[104:105], 0x80000000, v[35:36], v[104:105]
	v_fma_f64 v[112:113], 0x80000000, v[35:36], v[140:141]
	;; [unrolled: 1-line block ×4, first 2 shown]
	global_load_dwordx4 v[33:36], v[146:147], off offset:16
	s_waitcnt vmcnt(10)
	v_fma_f64 v[110:111], v[86:87], 0, v[110:111]
	v_fma_f64 v[108:109], v[73:74], v[86:87], v[108:109]
	;; [unrolled: 1-line block ×16, first 2 shown]
	s_clause 0x1
	global_load_dwordx4 v[104:107], v[148:149], off offset:80
	global_load_dwordx4 v[86:89], v[148:149], off offset:16
	;; [unrolled: 1-line block ×3, first 2 shown]
	s_waitcnt vmcnt(11)
	v_fma_f64 v[114:115], v[75:76], v[13:14], v[114:115]
	v_fma_f64 v[73:74], v[13:14], 0, v[73:74]
	;; [unrolled: 1-line block ×16, first 2 shown]
	global_load_dwordx4 v[13:16], v[146:147], off offset:48
	s_waitcnt vmcnt(10)
	v_fma_f64 v[61:62], v[124:125], v[9:10], v[61:62]
	v_fma_f64 v[73:74], v[9:10], 0, v[73:74]
	v_fma_f64 v[75:76], v[120:121], v[9:10], v[75:76]
	v_fma_f64 v[57:58], v[9:10], 0, v[57:58]
	v_fma_f64 v[59:60], v[136:137], v[9:10], v[59:60]
	v_fma_f64 v[69:70], v[9:10], 0, v[69:70]
	v_fma_f64 v[71:72], v[128:129], v[9:10], v[71:72]
	v_fma_f64 v[9:10], v[9:10], 0, v[63:64]
	v_fma_f64 v[61:62], 0x80000000, v[11:12], v[61:62]
	v_fma_f64 v[63:64], v[124:125], v[11:12], v[73:74]
	v_fma_f64 v[73:74], 0x80000000, v[11:12], v[75:76]
	v_fma_f64 v[57:58], v[120:121], v[11:12], v[57:58]
	v_fma_f64 v[59:60], 0x80000000, v[11:12], v[59:60]
	v_fma_f64 v[69:70], v[136:137], v[11:12], v[69:70]
	v_fma_f64 v[71:72], 0x80000000, v[11:12], v[71:72]
	v_fma_f64 v[9:10], v[128:129], v[11:12], v[9:10]
	s_waitcnt vmcnt(9)
	v_fma_f64 v[11:12], v[126:127], v[17:18], v[61:62]
	v_fma_f64 v[61:62], v[17:18], 0, v[63:64]
	v_fma_f64 v[63:64], v[122:123], v[17:18], v[73:74]
	v_fma_f64 v[57:58], v[17:18], 0, v[57:58]
	v_fma_f64 v[59:60], v[138:139], v[17:18], v[59:60]
	v_fma_f64 v[69:70], v[17:18], 0, v[69:70]
	v_fma_f64 v[71:72], v[130:131], v[17:18], v[71:72]
	v_fma_f64 v[9:10], v[17:18], 0, v[9:10]
	v_fma_f64 v[11:12], 0x80000000, v[19:20], v[11:12]
	v_fma_f64 v[17:18], v[126:127], v[19:20], v[61:62]
	v_fma_f64 v[61:62], 0x80000000, v[19:20], v[63:64]
	v_fma_f64 v[57:58], v[122:123], v[19:20], v[57:58]
	v_fma_f64 v[59:60], 0x80000000, v[19:20], v[59:60]
	v_fma_f64 v[63:64], v[138:139], v[19:20], v[69:70]
	v_fma_f64 v[69:70], 0x80000000, v[19:20], v[71:72]
	v_fma_f64 v[9:10], v[130:131], v[19:20], v[9:10]
	;; [unrolled: 17-line block ×8, first 2 shown]
	s_andn2_b32 exec_lo, exec_lo, s9
	s_cbranch_execnz .LBB139_19
; %bb.20:
	s_or_b32 exec_lo, exec_lo, s9
.LBB139_21:
	s_or_b32 exec_lo, exec_lo, s8
.LBB139_22:
	s_or_b32 exec_lo, exec_lo, s3
	s_cbranch_execz .LBB139_24
	s_branch .LBB139_35
.LBB139_23:
                                        ; implicit-def: $vgpr90_vgpr91
                                        ; implicit-def: $vgpr92_vgpr93
                                        ; implicit-def: $vgpr94_vgpr95
                                        ; implicit-def: $vgpr96_vgpr97
                                        ; implicit-def: $vgpr86_vgpr87
                                        ; implicit-def: $vgpr88_vgpr89
                                        ; implicit-def: $vgpr84_vgpr85
                                        ; implicit-def: $vgpr82_vgpr83
.LBB139_24:
	v_mov_b32_e32 v90, 0
	v_mov_b32_e32 v92, 0
	;; [unrolled: 1-line block ×16, first 2 shown]
	s_and_saveexec_b32 s1, s0
	s_cbranch_execz .LBB139_34
; %bb.25:
	v_add_nc_u32_e32 v9, v103, v0
	v_not_b32_e32 v10, v103
	v_mov_b32_e32 v82, 0
	v_mov_b32_e32 v84, 0
	;; [unrolled: 1-line block ×3, first 2 shown]
	v_subrev_nc_u32_e32 v9, s2, v9
	v_mov_b32_e32 v86, 0
	v_mov_b32_e32 v96, 0
	;; [unrolled: 1-line block ×4, first 2 shown]
	v_add_nc_u32_e32 v9, 64, v9
	v_mov_b32_e32 v90, 0
	v_mov_b32_e32 v83, 0
	;; [unrolled: 1-line block ×4, first 2 shown]
	v_max_i32_e32 v9, v9, v102
	v_mov_b32_e32 v87, 0
	v_mov_b32_e32 v97, 0
	;; [unrolled: 1-line block ×4, first 2 shown]
	v_add3_u32 v9, s2, v9, v10
	v_mov_b32_e32 v91, 0
	s_mov_b32 s0, exec_lo
	v_sub_nc_u32_e32 v9, v9, v0
	v_and_b32_e32 v10, 0xc0, v9
	v_cmpx_ne_u32_e32 0xc0, v10
	s_cbranch_execz .LBB139_29
; %bb.26:
	v_lshrrev_b32_e32 v10, 6, v9
	v_mov_b32_e32 v90, 0
	v_mov_b32_e32 v92, 0
	;; [unrolled: 1-line block ×4, first 2 shown]
	v_add_nc_u32_e32 v10, 1, v10
	v_mov_b32_e32 v86, 0
	v_mov_b32_e32 v88, 0
	;; [unrolled: 1-line block ×4, first 2 shown]
	v_and_b32_e32 v10, 3, v10
	v_mov_b32_e32 v91, 0
	v_mov_b32_e32 v93, 0
	;; [unrolled: 1-line block ×8, first 2 shown]
	v_sub_nc_u32_e32 v10, 0, v10
	s_mov_b32 s3, 0
.LBB139_27:                             ; =>This Inner Loop Header: Depth=1
	v_ashrrev_i32_e32 v79, 31, v78
	v_add_co_u32 v10, s8, v10, 1
	s_or_b32 s3, s8, s3
	v_lshlrev_b64 v[11:12], 2, v[78:79]
	v_add_nc_u32_e32 v78, 64, v78
	v_add_co_u32 v11, vcc_lo, s12, v11
	v_add_co_ci_u32_e64 v12, null, s13, v12, vcc_lo
	global_load_dword v19, v[11:12], off
	s_clause 0x1
	global_load_dwordx4 v[11:14], v[80:81], off offset:16
	global_load_dwordx4 v[15:18], v[80:81], off
	s_waitcnt vmcnt(2)
	v_subrev_nc_u32_e32 v19, s2, v19
	v_lshlrev_b32_e32 v19, 2, v19
	v_ashrrev_i32_e32 v20, 31, v19
	v_lshlrev_b64 v[19:20], 4, v[19:20]
	v_add_co_u32 v47, vcc_lo, s6, v19
	v_add_co_ci_u32_e64 v48, null, s7, v20, vcc_lo
	s_clause 0x1
	global_load_dwordx4 v[19:22], v[47:48], off
	global_load_dwordx4 v[23:26], v[47:48], off offset:16
	s_clause 0x3
	global_load_dwordx4 v[27:30], v[80:81], off offset:32
	global_load_dwordx4 v[31:34], v[80:81], off offset:48
	global_load_dwordx4 v[35:38], v[80:81], off offset:80
	global_load_dwordx4 v[39:42], v[80:81], off offset:64
	s_clause 0x1
	global_load_dwordx4 v[43:46], v[47:48], off offset:32
	global_load_dwordx4 v[47:50], v[47:48], off offset:48
	s_clause 0x1
	global_load_dwordx4 v[51:54], v[80:81], off offset:96
	global_load_dwordx4 v[55:58], v[80:81], off offset:112
	v_add_co_u32 v80, vcc_lo, 0x2000, v80
	v_add_co_ci_u32_e64 v81, null, 0, v81, vcc_lo
	s_waitcnt vmcnt(9)
	v_fma_f64 v[59:60], v[15:16], v[19:20], v[92:93]
	v_fma_f64 v[61:62], v[19:20], 0, v[90:91]
	;; [unrolled: 1-line block ×16, first 2 shown]
	s_waitcnt vmcnt(7)
	v_fma_f64 v[19:20], v[27:28], v[23:24], v[59:60]
	v_fma_f64 v[15:16], v[23:24], 0, v[15:16]
	;; [unrolled: 1-line block ×4, first 2 shown]
	s_waitcnt vmcnt(6)
	v_fma_f64 v[59:60], v[31:32], v[23:24], v[63:64]
	v_fma_f64 v[11:12], v[23:24], 0, v[11:12]
	;; [unrolled: 1-line block ×12, first 2 shown]
	s_waitcnt vmcnt(3)
	v_fma_f64 v[19:20], v[39:40], v[43:44], v[19:20]
	v_fma_f64 v[15:16], v[43:44], 0, v[15:16]
	;; [unrolled: 1-line block ×16, first 2 shown]
	s_waitcnt vmcnt(1)
	v_fma_f64 v[19:20], v[51:52], v[47:48], v[19:20]
	v_fma_f64 v[15:16], v[47:48], 0, v[15:16]
	;; [unrolled: 1-line block ×4, first 2 shown]
	s_waitcnt vmcnt(0)
	v_fma_f64 v[23:24], v[55:56], v[47:48], v[23:24]
	v_fma_f64 v[11:12], v[47:48], 0, v[11:12]
	;; [unrolled: 1-line block ×12, first 2 shown]
	s_andn2_b32 exec_lo, exec_lo, s3
	s_cbranch_execnz .LBB139_27
; %bb.28:
	s_or_b32 exec_lo, exec_lo, s3
.LBB139_29:
	s_or_b32 exec_lo, exec_lo, s0
	s_mov_b32 s3, exec_lo
	v_cmpx_lt_u32_e32 0xbf, v9
	s_cbranch_execz .LBB139_33
; %bb.30:
	s_mov_b32 s8, 0
.LBB139_31:                             ; =>This Inner Loop Header: Depth=1
	v_ashrrev_i32_e32 v79, 31, v78
	v_add_co_u32 v69, vcc_lo, 0x2000, v80
	v_add_co_ci_u32_e64 v70, null, 0, v81, vcc_lo
	v_lshlrev_b64 v[103:104], 2, v[78:79]
	v_add_co_u32 v123, vcc_lo, 0x4000, v80
	v_add_co_ci_u32_e64 v124, null, 0, v81, vcc_lo
	v_add_co_u32 v125, vcc_lo, 0x6000, v80
	v_add_co_ci_u32_e64 v126, null, 0, v81, vcc_lo
	v_add_co_u32 v103, vcc_lo, s12, v103
	v_add_co_ci_u32_e64 v104, null, s13, v104, vcc_lo
	s_clause 0x11
	global_load_dwordx4 v[9:12], v[80:81], off offset:48
	global_load_dwordx4 v[13:16], v[80:81], off offset:32
	;; [unrolled: 1-line block ×3, first 2 shown]
	global_load_dwordx4 v[37:40], v[80:81], off
	global_load_dwordx4 v[17:20], v[80:81], off offset:112
	global_load_dwordx4 v[21:24], v[80:81], off offset:96
	;; [unrolled: 1-line block ×6, first 2 shown]
	global_load_dwordx4 v[49:52], v[69:70], off
	global_load_dwordx4 v[53:56], v[69:70], off offset:16
	global_load_dwordx4 v[57:60], v[69:70], off offset:112
	global_load_dwordx4 v[61:64], v[69:70], off offset:96
	global_load_dwordx4 v[65:68], v[69:70], off offset:80
	global_load_dwordx4 v[69:72], v[69:70], off offset:64
	global_load_dwordx4 v[73:76], v[123:124], off
	global_load_dwordx4 v[98:101], v[123:124], off offset:48
	s_clause 0x3
	global_load_dword v79, v[103:104], off
	global_load_dword v105, v[103:104], off offset:256
	global_load_dword v135, v[103:104], off offset:512
	;; [unrolled: 1-line block ×3, first 2 shown]
	v_add_nc_u32_e32 v78, 0x100, v78
	v_add_co_u32 v80, s0, 0x8000, v80
	v_add_co_ci_u32_e64 v81, null, 0, v81, s0
	s_waitcnt vmcnt(3)
	v_subrev_nc_u32_e32 v79, s2, v79
	s_waitcnt vmcnt(2)
	v_subrev_nc_u32_e32 v104, s2, v105
	v_lshlrev_b32_e32 v103, 2, v79
	v_lshlrev_b32_e32 v105, 2, v104
	s_waitcnt vmcnt(1)
	v_subrev_nc_u32_e32 v79, s2, v135
	v_ashrrev_i32_e32 v104, 31, v103
	v_ashrrev_i32_e32 v106, 31, v105
	v_lshlrev_b64 v[103:104], 4, v[103:104]
	v_lshlrev_b64 v[105:106], 4, v[105:106]
	v_add_co_u32 v115, vcc_lo, s6, v103
	v_add_co_ci_u32_e64 v116, null, s7, v104, vcc_lo
	v_add_co_u32 v127, vcc_lo, s6, v105
	v_add_co_ci_u32_e64 v128, null, s7, v106, vcc_lo
	s_clause 0x4
	global_load_dwordx4 v[103:106], v[115:116], off
	global_load_dwordx4 v[107:110], v[115:116], off offset:16
	global_load_dwordx4 v[111:114], v[115:116], off offset:32
	;; [unrolled: 1-line block ×3, first 2 shown]
	global_load_dwordx4 v[119:122], v[127:128], off
	s_waitcnt vmcnt(4)
	v_fma_f64 v[90:91], v[103:104], 0, v[90:91]
	v_fma_f64 v[94:95], v[103:104], 0, v[94:95]
	;; [unrolled: 1-line block ×10, first 2 shown]
	global_load_dwordx4 v[37:40], v[127:128], off offset:16
	v_fma_f64 v[103:104], v[25:26], v[105:106], v[86:87]
	v_fma_f64 v[129:130], v[27:28], v[105:106], v[84:85]
	;; [unrolled: 1-line block ×6, first 2 shown]
	global_load_dwordx4 v[82:85], v[127:128], off offset:32
	global_load_dwordx4 v[25:28], v[123:124], off offset:32
	s_waitcnt vmcnt(6)
	v_fma_f64 v[88:89], v[107:108], 0, v[90:91]
	v_fma_f64 v[90:91], v[107:108], 0, v[94:95]
	v_fma_f64 v[94:95], v[13:14], v[107:108], v[86:87]
	v_lshlrev_b32_e32 v86, 2, v79
	v_fma_f64 v[92:93], v[15:16], v[107:108], v[92:93]
	v_fma_f64 v[96:97], v[9:10], v[107:108], v[96:97]
	;; [unrolled: 1-line block ×3, first 2 shown]
	v_subrev_nc_u32_e32 v79, s2, v137
	v_ashrrev_i32_e32 v87, 31, v86
	v_lshlrev_b64 v[86:87], 4, v[86:87]
	v_fma_f64 v[131:132], v[13:14], v[109:110], v[88:89]
	v_add_co_u32 v135, vcc_lo, s6, v86
	v_fma_f64 v[133:134], v[15:16], v[109:110], v[90:91]
	v_add_co_ci_u32_e64 v136, null, s7, v87, vcc_lo
	global_load_dwordx4 v[86:89], v[127:128], off offset:48
	v_fma_f64 v[90:91], v[107:108], 0, v[103:104]
	v_fma_f64 v[103:104], v[107:108], 0, v[129:130]
	;; [unrolled: 1-line block ×6, first 2 shown]
	global_load_dwordx4 v[13:16], v[123:124], off offset:16
	s_waitcnt vmcnt(7)
	v_fma_f64 v[129:130], v[111:112], 0, v[133:134]
	v_fma_f64 v[107:108], v[9:10], v[109:110], v[90:91]
	;; [unrolled: 1-line block ×8, first 2 shown]
	s_clause 0x1
	global_load_dwordx4 v[9:12], v[123:124], off offset:112
	global_load_dwordx4 v[90:93], v[123:124], off offset:96
	v_fma_f64 v[129:130], v[35:36], v[113:114], v[129:130]
	v_fma_f64 v[107:108], v[111:112], 0, v[107:108]
	;; [unrolled: 1-line block ×4, first 2 shown]
	global_load_dwordx4 v[33:36], v[135:136], off
	v_fma_f64 v[111:112], 0x80000000, v[113:114], v[94:95]
	v_fma_f64 v[127:128], 0x80000000, v[113:114], v[127:128]
	;; [unrolled: 1-line block ×4, first 2 shown]
	global_load_dwordx4 v[94:97], v[135:136], off offset:16
	v_fma_f64 v[107:108], v[29:30], v[113:114], v[107:108]
	v_fma_f64 v[103:104], v[31:32], v[113:114], v[103:104]
	s_waitcnt vmcnt(10)
	v_fma_f64 v[109:110], v[115:116], 0, v[109:110]
	v_fma_f64 v[113:114], v[115:116], 0, v[129:130]
	global_load_dwordx4 v[29:32], v[123:124], off offset:80
	v_fma_f64 v[111:112], v[21:22], v[115:116], v[111:112]
	v_fma_f64 v[127:128], v[23:24], v[115:116], v[127:128]
	;; [unrolled: 1-line block ×7, first 2 shown]
	global_load_dwordx4 v[21:24], v[123:124], off offset:64
	v_fma_f64 v[123:124], v[17:18], v[115:116], v[131:132]
	v_fma_f64 v[115:116], v[17:18], v[117:118], v[107:108]
	;; [unrolled: 1-line block ×5, first 2 shown]
	s_waitcnt vmcnt(11)
	v_fma_f64 v[109:110], v[119:120], 0, v[109:110]
	v_fma_f64 v[123:124], 0x80000000, v[117:118], v[123:124]
	;; [unrolled: 1-line block ×3, first 2 shown]
	global_load_dwordx4 v[103:106], v[135:136], off offset:32
	v_fma_f64 v[113:114], v[119:120], 0, v[113:114]
	global_load_dwordx4 v[17:20], v[125:126], off
	v_fma_f64 v[115:116], v[119:120], 0, v[115:116]
	v_fma_f64 v[129:130], v[119:120], 0, v[129:130]
	v_fma_f64 v[127:128], v[49:50], v[119:120], v[107:108]
	v_fma_f64 v[111:112], v[51:52], v[119:120], v[111:112]
	v_fma_f64 v[131:132], v[49:50], v[121:122], v[109:110]
	global_load_dwordx4 v[107:110], v[135:136], off offset:48
	v_fma_f64 v[123:124], v[53:54], v[119:120], v[123:124]
	v_fma_f64 v[117:118], v[55:56], v[119:120], v[117:118]
	;; [unrolled: 1-line block ×3, first 2 shown]
	global_load_dwordx4 v[49:52], v[125:126], off offset:16
	v_fma_f64 v[115:116], v[53:54], v[121:122], v[115:116]
	v_lshlrev_b32_e32 v53, 2, v79
	v_fma_f64 v[119:120], v[55:56], v[121:122], v[129:130]
	v_fma_f64 v[127:128], 0x80000000, v[121:122], v[127:128]
	;; [unrolled: 1-line block ×3, first 2 shown]
	v_ashrrev_i32_e32 v54, 31, v53
	v_fma_f64 v[123:124], 0x80000000, v[121:122], v[123:124]
	v_fma_f64 v[117:118], 0x80000000, v[121:122], v[117:118]
	v_lshlrev_b64 v[53:54], 4, v[53:54]
	v_add_co_u32 v129, vcc_lo, s6, v53
	v_add_co_ci_u32_e64 v130, null, s7, v54, vcc_lo
	v_cmp_ge_i32_e32 vcc_lo, v78, v102
	global_load_dwordx4 v[53:56], v[129:130], off
	s_or_b32 s8, vcc_lo, s8
	s_waitcnt vmcnt(15)
	v_fma_f64 v[121:122], v[37:38], 0, v[131:132]
	v_fma_f64 v[113:114], v[37:38], 0, v[113:114]
	;; [unrolled: 1-line block ×16, first 2 shown]
	global_load_dwordx4 v[45:48], v[129:130], off offset:16
	s_clause 0x1
	global_load_dwordx4 v[37:40], v[125:126], off offset:32
	global_load_dwordx4 v[41:44], v[125:126], off offset:48
	s_waitcnt vmcnt(17)
	v_fma_f64 v[121:122], v[82:83], 0, v[121:122]
	v_fma_f64 v[113:114], v[82:83], 0, v[113:114]
	;; [unrolled: 1-line block ×16, first 2 shown]
	s_clause 0x1
	global_load_dwordx4 v[65:68], v[125:126], off offset:80
	global_load_dwordx4 v[69:72], v[125:126], off offset:64
	;; [unrolled: 1-line block ×3, first 2 shown]
	s_waitcnt vmcnt(18)
	v_fma_f64 v[121:122], v[86:87], 0, v[121:122]
	v_fma_f64 v[113:114], v[86:87], 0, v[113:114]
	;; [unrolled: 1-line block ×16, first 2 shown]
	s_clause 0x1
	global_load_dwordx4 v[57:60], v[125:126], off offset:96
	global_load_dwordx4 v[61:64], v[125:126], off offset:112
	;; [unrolled: 1-line block ×3, first 2 shown]
	s_waitcnt vmcnt(17)
	v_fma_f64 v[125:126], v[33:34], 0, v[131:132]
	v_fma_f64 v[88:89], v[73:74], v[33:34], v[119:120]
	v_fma_f64 v[119:120], v[33:34], 0, v[121:122]
	v_fma_f64 v[121:122], v[75:76], v[33:34], v[127:128]
	v_fma_f64 v[123:124], v[13:14], v[33:34], v[123:124]
	v_fma_f64 v[115:116], v[33:34], 0, v[115:116]
	v_fma_f64 v[117:118], v[15:16], v[33:34], v[117:118]
	v_fma_f64 v[33:34], v[33:34], 0, v[86:87]
	v_fma_f64 v[75:76], v[75:76], v[35:36], v[125:126]
	v_fma_f64 v[86:87], 0x80000000, v[35:36], v[88:89]
	v_fma_f64 v[73:74], v[73:74], v[35:36], v[119:120]
	v_fma_f64 v[88:89], 0x80000000, v[35:36], v[121:122]
	v_fma_f64 v[119:120], 0x80000000, v[35:36], v[123:124]
	v_fma_f64 v[13:14], v[13:14], v[35:36], v[115:116]
	v_fma_f64 v[115:116], 0x80000000, v[35:36], v[117:118]
	v_fma_f64 v[15:16], v[15:16], v[35:36], v[33:34]
	s_waitcnt vmcnt(16)
	v_fma_f64 v[75:76], v[94:95], 0, v[75:76]
	v_fma_f64 v[33:34], v[25:26], v[94:95], v[86:87]
	v_fma_f64 v[35:36], v[94:95], 0, v[73:74]
	v_fma_f64 v[73:74], v[27:28], v[94:95], v[88:89]
	v_fma_f64 v[86:87], v[98:99], v[94:95], v[119:120]
	v_fma_f64 v[13:14], v[94:95], 0, v[13:14]
	v_fma_f64 v[88:89], v[100:101], v[94:95], v[115:116]
	v_fma_f64 v[15:16], v[94:95], 0, v[15:16]
	v_fma_f64 v[27:28], v[27:28], v[96:97], v[75:76]
	v_fma_f64 v[33:34], 0x80000000, v[96:97], v[33:34]
	v_fma_f64 v[25:26], v[25:26], v[96:97], v[35:36]
	v_fma_f64 v[35:36], 0x80000000, v[96:97], v[73:74]
	v_fma_f64 v[73:74], 0x80000000, v[96:97], v[86:87]
	v_fma_f64 v[13:14], v[98:99], v[96:97], v[13:14]
	v_fma_f64 v[75:76], 0x80000000, v[96:97], v[88:89]
	v_fma_f64 v[15:16], v[100:101], v[96:97], v[15:16]
	;; [unrolled: 17-line block ×5, first 2 shown]
	s_waitcnt vmcnt(8)
	v_fma_f64 v[19:20], v[45:46], 0, v[19:20]
	s_waitcnt vmcnt(7)
	v_fma_f64 v[15:16], v[37:38], v[45:46], v[15:16]
	v_fma_f64 v[17:18], v[45:46], 0, v[17:18]
	;; [unrolled: 1-line block ×3, first 2 shown]
	s_waitcnt vmcnt(6)
	v_fma_f64 v[23:24], v[41:42], v[45:46], v[23:24]
	v_fma_f64 v[9:10], v[45:46], 0, v[9:10]
	v_fma_f64 v[13:14], v[43:44], v[45:46], v[13:14]
	v_fma_f64 v[11:12], v[45:46], 0, v[11:12]
	v_fma_f64 v[19:20], v[39:40], v[47:48], v[19:20]
	v_fma_f64 v[15:16], 0x80000000, v[47:48], v[15:16]
	v_fma_f64 v[17:18], v[37:38], v[47:48], v[17:18]
	v_fma_f64 v[21:22], 0x80000000, v[47:48], v[21:22]
	v_fma_f64 v[23:24], 0x80000000, v[47:48], v[23:24]
	v_fma_f64 v[9:10], v[41:42], v[47:48], v[9:10]
	v_fma_f64 v[13:14], 0x80000000, v[47:48], v[13:14]
	v_fma_f64 v[11:12], v[43:44], v[47:48], v[11:12]
	s_waitcnt vmcnt(3)
	v_fma_f64 v[19:20], v[82:83], 0, v[19:20]
	v_fma_f64 v[15:16], v[69:70], v[82:83], v[15:16]
	;; [unrolled: 1-line block ×16, first 2 shown]
	s_waitcnt vmcnt(0)
	v_fma_f64 v[19:20], v[111:112], 0, v[19:20]
	v_fma_f64 v[15:16], v[57:58], v[111:112], v[15:16]
	;; [unrolled: 1-line block ×16, first 2 shown]
	s_andn2_b32 exec_lo, exec_lo, s8
	s_cbranch_execnz .LBB139_31
; %bb.32:
	s_or_b32 exec_lo, exec_lo, s8
.LBB139_33:
	s_or_b32 exec_lo, exec_lo, s3
.LBB139_34:
	s_or_b32 exec_lo, exec_lo, s1
.LBB139_35:
	v_mbcnt_lo_u32_b32 v41, -1, 0
	v_or_b32_e32 v9, 32, v41
	v_xor_b32_e32 v25, 16, v41
	v_cmp_gt_i32_e32 vcc_lo, 32, v9
	v_cndmask_b32_e32 v9, v41, v9, vcc_lo
	v_cmp_gt_i32_e32 vcc_lo, 32, v25
	v_lshlrev_b32_e32 v24, 2, v9
	v_cndmask_b32_e32 v25, v41, v25, vcc_lo
	ds_bpermute_b32 v9, v24, v92
	ds_bpermute_b32 v10, v24, v93
	;; [unrolled: 1-line block ×16, first 2 shown]
	v_lshlrev_b32_e32 v40, 2, v25
	s_waitcnt lgkmcnt(14)
	v_add_f64 v[9:10], v[92:93], v[9:10]
	s_waitcnt lgkmcnt(12)
	v_add_f64 v[11:12], v[90:91], v[11:12]
	;; [unrolled: 2-line block ×8, first 2 shown]
	ds_bpermute_b32 v25, v40, v9
	ds_bpermute_b32 v26, v40, v10
	ds_bpermute_b32 v27, v40, v11
	ds_bpermute_b32 v28, v40, v12
	ds_bpermute_b32 v29, v40, v13
	ds_bpermute_b32 v30, v40, v14
	ds_bpermute_b32 v31, v40, v15
	ds_bpermute_b32 v32, v40, v16
	ds_bpermute_b32 v33, v40, v17
	ds_bpermute_b32 v34, v40, v18
	ds_bpermute_b32 v35, v40, v19
	ds_bpermute_b32 v36, v40, v20
	ds_bpermute_b32 v37, v40, v21
	ds_bpermute_b32 v38, v40, v22
	ds_bpermute_b32 v39, v40, v23
	ds_bpermute_b32 v40, v40, v24
	s_waitcnt lgkmcnt(14)
	v_add_f64 v[9:10], v[9:10], v[25:26]
	v_xor_b32_e32 v25, 8, v41
	s_waitcnt lgkmcnt(12)
	v_add_f64 v[11:12], v[11:12], v[27:28]
	s_waitcnt lgkmcnt(10)
	v_add_f64 v[13:14], v[13:14], v[29:30]
	v_cmp_gt_i32_e32 vcc_lo, 32, v25
	s_waitcnt lgkmcnt(8)
	v_add_f64 v[15:16], v[15:16], v[31:32]
	s_waitcnt lgkmcnt(6)
	v_add_f64 v[17:18], v[17:18], v[33:34]
	s_waitcnt lgkmcnt(4)
	v_add_f64 v[19:20], v[19:20], v[35:36]
	v_cndmask_b32_e32 v25, v41, v25, vcc_lo
	s_waitcnt lgkmcnt(2)
	v_add_f64 v[21:22], v[21:22], v[37:38]
	s_waitcnt lgkmcnt(0)
	v_add_f64 v[23:24], v[23:24], v[39:40]
	v_lshlrev_b32_e32 v40, 2, v25
	ds_bpermute_b32 v25, v40, v9
	ds_bpermute_b32 v26, v40, v10
	ds_bpermute_b32 v27, v40, v11
	ds_bpermute_b32 v28, v40, v12
	ds_bpermute_b32 v29, v40, v13
	ds_bpermute_b32 v30, v40, v14
	ds_bpermute_b32 v31, v40, v15
	ds_bpermute_b32 v32, v40, v16
	ds_bpermute_b32 v33, v40, v17
	ds_bpermute_b32 v34, v40, v18
	ds_bpermute_b32 v35, v40, v19
	ds_bpermute_b32 v36, v40, v20
	ds_bpermute_b32 v37, v40, v21
	ds_bpermute_b32 v38, v40, v22
	ds_bpermute_b32 v39, v40, v23
	ds_bpermute_b32 v40, v40, v24
	s_waitcnt lgkmcnt(14)
	v_add_f64 v[9:10], v[9:10], v[25:26]
	v_xor_b32_e32 v25, 4, v41
	s_waitcnt lgkmcnt(12)
	v_add_f64 v[11:12], v[11:12], v[27:28]
	s_waitcnt lgkmcnt(10)
	v_add_f64 v[13:14], v[13:14], v[29:30]
	v_cmp_gt_i32_e32 vcc_lo, 32, v25
	s_waitcnt lgkmcnt(8)
	v_add_f64 v[15:16], v[15:16], v[31:32]
	s_waitcnt lgkmcnt(6)
	v_add_f64 v[17:18], v[17:18], v[33:34]
	s_waitcnt lgkmcnt(4)
	v_add_f64 v[19:20], v[19:20], v[35:36]
	v_cndmask_b32_e32 v25, v41, v25, vcc_lo
	s_waitcnt lgkmcnt(2)
	v_add_f64 v[21:22], v[21:22], v[37:38]
	s_waitcnt lgkmcnt(0)
	v_add_f64 v[23:24], v[23:24], v[39:40]
	v_lshlrev_b32_e32 v40, 2, v25
	;; [unrolled: 36-line block ×3, first 2 shown]
	ds_bpermute_b32 v23, v40, v9
	ds_bpermute_b32 v24, v40, v10
	;; [unrolled: 1-line block ×16, first 2 shown]
	s_waitcnt lgkmcnt(14)
	v_add_f64 v[9:10], v[9:10], v[23:24]
	s_waitcnt lgkmcnt(12)
	v_add_f64 v[27:28], v[11:12], v[27:28]
	;; [unrolled: 2-line block ×3, first 2 shown]
	v_xor_b32_e32 v29, 1, v41
	s_waitcnt lgkmcnt(8)
	v_add_f64 v[23:24], v[15:16], v[31:32]
	s_waitcnt lgkmcnt(6)
	v_add_f64 v[13:14], v[17:18], v[33:34]
	v_cmp_gt_i32_e32 vcc_lo, 32, v29
	s_waitcnt lgkmcnt(4)
	v_add_f64 v[17:18], v[19:20], v[35:36]
	s_waitcnt lgkmcnt(2)
	v_add_f64 v[15:16], v[21:22], v[37:38]
	;; [unrolled: 2-line block ×3, first 2 shown]
	v_cndmask_b32_e32 v29, v41, v29, vcc_lo
	v_cmp_eq_u32_e32 vcc_lo, 63, v0
	v_lshlrev_b32_e32 v34, 2, v29
	ds_bpermute_b32 v21, v34, v9
	ds_bpermute_b32 v22, v34, v10
	;; [unrolled: 1-line block ×16, first 2 shown]
	s_and_b32 exec_lo, exec_lo, vcc_lo
	s_cbranch_execz .LBB139_8
; %bb.36:
	s_waitcnt lgkmcnt(12)
	v_add_f64 v[27:28], v[27:28], v[39:40]
	s_waitcnt lgkmcnt(8)
	v_add_f64 v[23:24], v[23:24], v[37:38]
	;; [unrolled: 2-line block ×4, first 2 shown]
	v_add_f64 v[9:10], v[9:10], v[21:22]
	v_add_f64 v[11:12], v[11:12], v[25:26]
	;; [unrolled: 1-line block ×4, first 2 shown]
	v_cmp_eq_f64_e32 vcc_lo, 0, v[1:2]
	v_cmp_eq_f64_e64 s0, 0, v[3:4]
	s_load_dwordx2 s[2:3], s[4:5], 0x60
	v_mul_f64 v[13:14], v[27:28], -v[7:8]
	v_mul_f64 v[15:16], v[5:6], v[27:28]
	v_mul_f64 v[27:28], v[23:24], -v[7:8]
	v_mul_f64 v[23:24], v[5:6], v[23:24]
	;; [unrolled: 2-line block ×4, first 2 shown]
	s_and_b32 s0, vcc_lo, s0
	v_fma_f64 v[17:18], v[5:6], v[9:10], v[13:14]
	v_fma_f64 v[19:20], v[7:8], v[9:10], v[15:16]
	;; [unrolled: 1-line block ×8, first 2 shown]
	v_lshlrev_b32_e32 v21, 2, v77
	s_and_saveexec_b32 s1, s0
	s_xor_b32 s0, exec_lo, s1
	s_cbranch_execz .LBB139_38
; %bb.37:
	v_ashrrev_i32_e32 v22, 31, v21
	v_lshlrev_b64 v[0:1], 4, v[21:22]
                                        ; implicit-def: $vgpr21
	s_waitcnt lgkmcnt(0)
	v_add_co_u32 v0, vcc_lo, s2, v0
	v_add_co_ci_u32_e64 v1, null, s3, v1, vcc_lo
	global_store_dwordx4 v[0:1], v[17:20], off
	global_store_dwordx4 v[0:1], v[13:16], off offset:16
	global_store_dwordx4 v[0:1], v[9:12], off offset:32
	;; [unrolled: 1-line block ×3, first 2 shown]
                                        ; implicit-def: $vgpr3_vgpr4
                                        ; implicit-def: $vgpr17_vgpr18
                                        ; implicit-def: $vgpr13_vgpr14
                                        ; implicit-def: $vgpr9_vgpr10
                                        ; implicit-def: $vgpr5_vgpr6
.LBB139_38:
	s_andn2_saveexec_b32 s0, s0
	s_cbranch_execz .LBB139_8
; %bb.39:
	v_ashrrev_i32_e32 v22, 31, v21
	v_lshlrev_b64 v[21:22], 4, v[21:22]
	s_waitcnt lgkmcnt(0)
	v_add_co_u32 v37, vcc_lo, s2, v21
	v_add_co_ci_u32_e64 v38, null, s3, v22, vcc_lo
	s_clause 0x3
	global_load_dwordx4 v[21:24], v[37:38], off
	global_load_dwordx4 v[25:28], v[37:38], off offset:16
	global_load_dwordx4 v[29:32], v[37:38], off offset:32
	;; [unrolled: 1-line block ×3, first 2 shown]
	s_waitcnt vmcnt(3)
	v_fma_f64 v[17:18], v[1:2], v[21:22], v[17:18]
	v_fma_f64 v[19:20], v[3:4], v[21:22], v[19:20]
	s_waitcnt vmcnt(2)
	v_fma_f64 v[13:14], v[1:2], v[25:26], v[13:14]
	v_fma_f64 v[15:16], v[3:4], v[25:26], v[15:16]
	;; [unrolled: 3-line block ×4, first 2 shown]
	v_fma_f64 v[5:6], -v[3:4], v[23:24], v[17:18]
	v_fma_f64 v[7:8], v[1:2], v[23:24], v[19:20]
	v_fma_f64 v[9:10], -v[3:4], v[27:28], v[13:14]
	v_fma_f64 v[11:12], v[1:2], v[27:28], v[15:16]
	v_fma_f64 v[13:14], -v[3:4], v[31:32], v[21:22]
	v_fma_f64 v[15:16], v[1:2], v[31:32], v[25:26]
	v_fma_f64 v[17:18], -v[3:4], v[35:36], v[29:30]
	v_fma_f64 v[19:20], v[1:2], v[35:36], v[33:34]
	global_store_dwordx4 v[37:38], v[5:8], off
	global_store_dwordx4 v[37:38], v[9:12], off offset:16
	global_store_dwordx4 v[37:38], v[13:16], off offset:32
	;; [unrolled: 1-line block ×3, first 2 shown]
	s_endpgm
	.section	.rodata,"a",@progbits
	.p2align	6, 0x0
	.amdhsa_kernel _ZN9rocsparseL18bsrxmvn_4x4_kernelILj128ELj64E21rocsparse_complex_numIdEiidS2_S2_EEvT3_20rocsparse_direction_NS_24const_host_device_scalarIT1_EES3_PKS3_PKT2_SC_S9_PKT4_PKT5_S7_PT6_21rocsparse_index_base_b
		.amdhsa_group_segment_fixed_size 0
		.amdhsa_private_segment_fixed_size 0
		.amdhsa_kernarg_size 112
		.amdhsa_user_sgpr_count 6
		.amdhsa_user_sgpr_private_segment_buffer 1
		.amdhsa_user_sgpr_dispatch_ptr 0
		.amdhsa_user_sgpr_queue_ptr 0
		.amdhsa_user_sgpr_kernarg_segment_ptr 1
		.amdhsa_user_sgpr_dispatch_id 0
		.amdhsa_user_sgpr_flat_scratch_init 0
		.amdhsa_user_sgpr_private_segment_size 0
		.amdhsa_wavefront_size32 1
		.amdhsa_uses_dynamic_stack 0
		.amdhsa_system_sgpr_private_segment_wavefront_offset 0
		.amdhsa_system_sgpr_workgroup_id_x 1
		.amdhsa_system_sgpr_workgroup_id_y 0
		.amdhsa_system_sgpr_workgroup_id_z 0
		.amdhsa_system_sgpr_workgroup_info 0
		.amdhsa_system_vgpr_workitem_id 0
		.amdhsa_next_free_vgpr 154
		.amdhsa_next_free_sgpr 16
		.amdhsa_reserve_vcc 1
		.amdhsa_reserve_flat_scratch 0
		.amdhsa_float_round_mode_32 0
		.amdhsa_float_round_mode_16_64 0
		.amdhsa_float_denorm_mode_32 3
		.amdhsa_float_denorm_mode_16_64 3
		.amdhsa_dx10_clamp 1
		.amdhsa_ieee_mode 1
		.amdhsa_fp16_overflow 0
		.amdhsa_workgroup_processor_mode 1
		.amdhsa_memory_ordered 1
		.amdhsa_forward_progress 1
		.amdhsa_shared_vgpr_count 0
		.amdhsa_exception_fp_ieee_invalid_op 0
		.amdhsa_exception_fp_denorm_src 0
		.amdhsa_exception_fp_ieee_div_zero 0
		.amdhsa_exception_fp_ieee_overflow 0
		.amdhsa_exception_fp_ieee_underflow 0
		.amdhsa_exception_fp_ieee_inexact 0
		.amdhsa_exception_int_div_zero 0
	.end_amdhsa_kernel
	.section	.text._ZN9rocsparseL18bsrxmvn_4x4_kernelILj128ELj64E21rocsparse_complex_numIdEiidS2_S2_EEvT3_20rocsparse_direction_NS_24const_host_device_scalarIT1_EES3_PKS3_PKT2_SC_S9_PKT4_PKT5_S7_PT6_21rocsparse_index_base_b,"axG",@progbits,_ZN9rocsparseL18bsrxmvn_4x4_kernelILj128ELj64E21rocsparse_complex_numIdEiidS2_S2_EEvT3_20rocsparse_direction_NS_24const_host_device_scalarIT1_EES3_PKS3_PKT2_SC_S9_PKT4_PKT5_S7_PT6_21rocsparse_index_base_b,comdat
.Lfunc_end139:
	.size	_ZN9rocsparseL18bsrxmvn_4x4_kernelILj128ELj64E21rocsparse_complex_numIdEiidS2_S2_EEvT3_20rocsparse_direction_NS_24const_host_device_scalarIT1_EES3_PKS3_PKT2_SC_S9_PKT4_PKT5_S7_PT6_21rocsparse_index_base_b, .Lfunc_end139-_ZN9rocsparseL18bsrxmvn_4x4_kernelILj128ELj64E21rocsparse_complex_numIdEiidS2_S2_EEvT3_20rocsparse_direction_NS_24const_host_device_scalarIT1_EES3_PKS3_PKT2_SC_S9_PKT4_PKT5_S7_PT6_21rocsparse_index_base_b
                                        ; -- End function
	.set _ZN9rocsparseL18bsrxmvn_4x4_kernelILj128ELj64E21rocsparse_complex_numIdEiidS2_S2_EEvT3_20rocsparse_direction_NS_24const_host_device_scalarIT1_EES3_PKS3_PKT2_SC_S9_PKT4_PKT5_S7_PT6_21rocsparse_index_base_b.num_vgpr, 154
	.set _ZN9rocsparseL18bsrxmvn_4x4_kernelILj128ELj64E21rocsparse_complex_numIdEiidS2_S2_EEvT3_20rocsparse_direction_NS_24const_host_device_scalarIT1_EES3_PKS3_PKT2_SC_S9_PKT4_PKT5_S7_PT6_21rocsparse_index_base_b.num_agpr, 0
	.set _ZN9rocsparseL18bsrxmvn_4x4_kernelILj128ELj64E21rocsparse_complex_numIdEiidS2_S2_EEvT3_20rocsparse_direction_NS_24const_host_device_scalarIT1_EES3_PKS3_PKT2_SC_S9_PKT4_PKT5_S7_PT6_21rocsparse_index_base_b.numbered_sgpr, 16
	.set _ZN9rocsparseL18bsrxmvn_4x4_kernelILj128ELj64E21rocsparse_complex_numIdEiidS2_S2_EEvT3_20rocsparse_direction_NS_24const_host_device_scalarIT1_EES3_PKS3_PKT2_SC_S9_PKT4_PKT5_S7_PT6_21rocsparse_index_base_b.num_named_barrier, 0
	.set _ZN9rocsparseL18bsrxmvn_4x4_kernelILj128ELj64E21rocsparse_complex_numIdEiidS2_S2_EEvT3_20rocsparse_direction_NS_24const_host_device_scalarIT1_EES3_PKS3_PKT2_SC_S9_PKT4_PKT5_S7_PT6_21rocsparse_index_base_b.private_seg_size, 0
	.set _ZN9rocsparseL18bsrxmvn_4x4_kernelILj128ELj64E21rocsparse_complex_numIdEiidS2_S2_EEvT3_20rocsparse_direction_NS_24const_host_device_scalarIT1_EES3_PKS3_PKT2_SC_S9_PKT4_PKT5_S7_PT6_21rocsparse_index_base_b.uses_vcc, 1
	.set _ZN9rocsparseL18bsrxmvn_4x4_kernelILj128ELj64E21rocsparse_complex_numIdEiidS2_S2_EEvT3_20rocsparse_direction_NS_24const_host_device_scalarIT1_EES3_PKS3_PKT2_SC_S9_PKT4_PKT5_S7_PT6_21rocsparse_index_base_b.uses_flat_scratch, 0
	.set _ZN9rocsparseL18bsrxmvn_4x4_kernelILj128ELj64E21rocsparse_complex_numIdEiidS2_S2_EEvT3_20rocsparse_direction_NS_24const_host_device_scalarIT1_EES3_PKS3_PKT2_SC_S9_PKT4_PKT5_S7_PT6_21rocsparse_index_base_b.has_dyn_sized_stack, 0
	.set _ZN9rocsparseL18bsrxmvn_4x4_kernelILj128ELj64E21rocsparse_complex_numIdEiidS2_S2_EEvT3_20rocsparse_direction_NS_24const_host_device_scalarIT1_EES3_PKS3_PKT2_SC_S9_PKT4_PKT5_S7_PT6_21rocsparse_index_base_b.has_recursion, 0
	.set _ZN9rocsparseL18bsrxmvn_4x4_kernelILj128ELj64E21rocsparse_complex_numIdEiidS2_S2_EEvT3_20rocsparse_direction_NS_24const_host_device_scalarIT1_EES3_PKS3_PKT2_SC_S9_PKT4_PKT5_S7_PT6_21rocsparse_index_base_b.has_indirect_call, 0
	.section	.AMDGPU.csdata,"",@progbits
; Kernel info:
; codeLenInByte = 10992
; TotalNumSgprs: 18
; NumVgprs: 154
; ScratchSize: 0
; MemoryBound: 0
; FloatMode: 240
; IeeeMode: 1
; LDSByteSize: 0 bytes/workgroup (compile time only)
; SGPRBlocks: 0
; VGPRBlocks: 19
; NumSGPRsForWavesPerEU: 18
; NumVGPRsForWavesPerEU: 154
; Occupancy: 6
; WaveLimiterHint : 1
; COMPUTE_PGM_RSRC2:SCRATCH_EN: 0
; COMPUTE_PGM_RSRC2:USER_SGPR: 6
; COMPUTE_PGM_RSRC2:TRAP_HANDLER: 0
; COMPUTE_PGM_RSRC2:TGID_X_EN: 1
; COMPUTE_PGM_RSRC2:TGID_Y_EN: 0
; COMPUTE_PGM_RSRC2:TGID_Z_EN: 0
; COMPUTE_PGM_RSRC2:TIDIG_COMP_CNT: 0
	.section	.text._ZN9rocsparseL18bsrxmvn_4x4_kernelILj128ELj4E21rocsparse_complex_numIdElidS2_S2_EEvT3_20rocsparse_direction_NS_24const_host_device_scalarIT1_EES3_PKS3_PKT2_SC_S9_PKT4_PKT5_S7_PT6_21rocsparse_index_base_b,"axG",@progbits,_ZN9rocsparseL18bsrxmvn_4x4_kernelILj128ELj4E21rocsparse_complex_numIdElidS2_S2_EEvT3_20rocsparse_direction_NS_24const_host_device_scalarIT1_EES3_PKS3_PKT2_SC_S9_PKT4_PKT5_S7_PT6_21rocsparse_index_base_b,comdat
	.globl	_ZN9rocsparseL18bsrxmvn_4x4_kernelILj128ELj4E21rocsparse_complex_numIdElidS2_S2_EEvT3_20rocsparse_direction_NS_24const_host_device_scalarIT1_EES3_PKS3_PKT2_SC_S9_PKT4_PKT5_S7_PT6_21rocsparse_index_base_b ; -- Begin function _ZN9rocsparseL18bsrxmvn_4x4_kernelILj128ELj4E21rocsparse_complex_numIdElidS2_S2_EEvT3_20rocsparse_direction_NS_24const_host_device_scalarIT1_EES3_PKS3_PKT2_SC_S9_PKT4_PKT5_S7_PT6_21rocsparse_index_base_b
	.p2align	8
	.type	_ZN9rocsparseL18bsrxmvn_4x4_kernelILj128ELj4E21rocsparse_complex_numIdElidS2_S2_EEvT3_20rocsparse_direction_NS_24const_host_device_scalarIT1_EES3_PKS3_PKT2_SC_S9_PKT4_PKT5_S7_PT6_21rocsparse_index_base_b,@function
_ZN9rocsparseL18bsrxmvn_4x4_kernelILj128ELj4E21rocsparse_complex_numIdElidS2_S2_EEvT3_20rocsparse_direction_NS_24const_host_device_scalarIT1_EES3_PKS3_PKT2_SC_S9_PKT4_PKT5_S7_PT6_21rocsparse_index_base_b: ; @_ZN9rocsparseL18bsrxmvn_4x4_kernelILj128ELj4E21rocsparse_complex_numIdElidS2_S2_EEvT3_20rocsparse_direction_NS_24const_host_device_scalarIT1_EES3_PKS3_PKT2_SC_S9_PKT4_PKT5_S7_PT6_21rocsparse_index_base_b
; %bb.0:
	s_clause 0x1
	s_load_dwordx2 s[2:3], s[4:5], 0x68
	s_load_dwordx2 s[0:1], s[4:5], 0x8
	s_add_u32 s7, s4, 8
	s_addc_u32 s10, s5, 0
	s_add_u32 s11, s4, 0x50
	s_addc_u32 s12, s5, 0
	s_load_dwordx2 s[8:9], s[4:5], 0x50
	s_waitcnt lgkmcnt(0)
	s_bitcmp1_b32 s3, 0
	s_cselect_b32 s0, s7, s0
	s_cselect_b32 s1, s10, s1
	v_mov_b32_e32 v1, s0
	v_mov_b32_e32 v2, s1
	s_cselect_b32 s0, s11, s8
	s_cselect_b32 s1, s12, s9
	flat_load_dwordx4 v[5:8], v[1:2]
	v_mov_b32_e32 v1, s0
	v_mov_b32_e32 v2, s1
	flat_load_dwordx4 v[1:4], v[1:2]
	s_waitcnt vmcnt(1) lgkmcnt(1)
	v_cmp_eq_f64_e32 vcc_lo, 0, v[5:6]
	v_cmp_eq_f64_e64 s0, 0, v[7:8]
	s_and_b32 s3, vcc_lo, s0
	s_mov_b32 s0, -1
	s_and_saveexec_b32 s1, s3
	s_cbranch_execz .LBB140_2
; %bb.1:
	s_waitcnt vmcnt(0) lgkmcnt(0)
	v_cmp_neq_f64_e32 vcc_lo, 1.0, v[1:2]
	v_cmp_neq_f64_e64 s0, 0, v[3:4]
	s_or_b32 s0, vcc_lo, s0
	s_orn2_b32 s0, s0, exec_lo
.LBB140_2:
	s_or_b32 exec_lo, exec_lo, s1
	s_and_saveexec_b32 s1, s0
	s_cbranch_execz .LBB140_8
; %bb.3:
	s_clause 0x1
	s_load_dwordx2 s[8:9], s[4:5], 0x20
	s_load_dwordx2 s[0:1], s[4:5], 0x0
	v_lshrrev_b32_e32 v9, 2, v0
	v_lshl_or_b32 v97, s6, 5, v9
	s_waitcnt lgkmcnt(0)
	s_cmp_lg_u64 s[8:9], 0
	s_cbranch_scc0 .LBB140_9
; %bb.4:
	s_load_dword s3, s[4:5], 0x18
	s_mov_b32 s6, 0
                                        ; implicit-def: $vgpr9
	s_waitcnt lgkmcnt(0)
	v_cmp_gt_i32_e32 vcc_lo, s3, v97
	s_mov_b32 s3, 0
	s_and_saveexec_b32 s7, vcc_lo
	s_xor_b32 s7, exec_lo, s7
	s_cbranch_execz .LBB140_6
; %bb.5:
	v_ashrrev_i32_e32 v98, 31, v97
	s_mov_b32 s3, exec_lo
	v_lshlrev_b64 v[9:10], 2, v[97:98]
	v_add_co_u32 v9, vcc_lo, s8, v9
	v_add_co_ci_u32_e64 v10, null, s9, v10, vcc_lo
	global_load_dword v9, v[9:10], off
	s_waitcnt vmcnt(0)
	v_subrev_nc_u32_e32 v9, s2, v9
.LBB140_6:
	s_or_b32 exec_lo, exec_lo, s7
	s_and_b32 vcc_lo, exec_lo, s6
	s_cbranch_vccz .LBB140_10
.LBB140_7:
	v_cmp_gt_i32_e32 vcc_lo, s0, v97
	s_andn2_b32 s0, s3, exec_lo
	s_and_b32 s3, vcc_lo, exec_lo
	s_or_b32 s3, s0, s3
	s_and_b32 exec_lo, exec_lo, s3
	s_cbranch_execnz .LBB140_11
.LBB140_8:
	s_endpgm
.LBB140_9:
	s_mov_b32 s3, 0
                                        ; implicit-def: $vgpr9
	s_cbranch_execnz .LBB140_7
.LBB140_10:
	v_mov_b32_e32 v97, v9
	s_and_b32 exec_lo, exec_lo, s3
	s_cbranch_execz .LBB140_8
.LBB140_11:
	s_load_dwordx8 s[8:15], s[4:5], 0x28
	v_ashrrev_i32_e32 v98, 31, v97
	v_and_b32_e32 v0, 3, v0
	s_load_dwordx2 s[6:7], s[4:5], 0x48
	v_lshlrev_b64 v[9:10], 3, v[97:98]
	s_waitcnt lgkmcnt(0)
	v_add_co_u32 v11, vcc_lo, s8, v9
	v_add_co_ci_u32_e64 v12, null, s9, v10, vcc_lo
	v_add_co_u32 v9, vcc_lo, s10, v9
	v_add_co_ci_u32_e64 v10, null, s11, v10, vcc_lo
	;; [unrolled: 2-line block ×3, first 2 shown]
	global_load_dwordx2 v[120:121], v[11:12], off
	s_cmp_eq_u64 s[10:11], 0
	s_cselect_b32 vcc_lo, -1, 0
	s_cmp_eq_u32 s1, 1
	v_cndmask_b32_e32 v10, v10, v14, vcc_lo
	v_cndmask_b32_e32 v9, v9, v13, vcc_lo
	global_load_dwordx2 v[9:10], v[9:10], off
	s_waitcnt vmcnt(1)
	v_sub_co_u32 v11, vcc_lo, v120, s2
	v_subrev_co_ci_u32_e64 v12, null, 0, v121, vcc_lo
	v_add_co_u32 v98, vcc_lo, v11, v0
	v_add_co_ci_u32_e64 v99, null, 0, v12, vcc_lo
	s_waitcnt vmcnt(0)
	v_sub_co_u32 v100, vcc_lo, v9, s2
	v_subrev_co_ci_u32_e64 v101, null, 0, v10, vcc_lo
	v_lshlrev_b64 v[9:10], 7, v[98:99]
	v_cmp_lt_i64_e64 s0, v[98:99], v[100:101]
	v_add_co_u32 v102, vcc_lo, s14, v9
	v_add_co_ci_u32_e64 v103, null, s15, v10, vcc_lo
	s_cbranch_scc1 .LBB140_23
; %bb.12:
	v_mov_b32_e32 v108, 0
	v_mov_b32_e32 v114, 0
	;; [unrolled: 1-line block ×16, first 2 shown]
	s_and_saveexec_b32 s3, s0
	s_cbranch_execz .LBB140_22
; %bb.13:
	v_or_b32_e32 v9, 4, v0
	v_not_b32_e32 v13, v120
	v_not_b32_e32 v11, v121
	v_mov_b32_e32 v104, 0
	v_mov_b32_e32 v106, 0
	v_sub_co_u32 v9, s1, v9, s2
	v_sub_co_ci_u32_e64 v10, null, 0, 0, s1
	v_sub_co_u32 v14, s1, s2, v0
	v_add_co_u32 v9, vcc_lo, v9, v120
	v_add_co_ci_u32_e64 v10, null, v10, v121, vcc_lo
	v_sub_co_ci_u32_e64 v15, null, 0, 0, s1
	v_add_co_u32 v13, s1, v14, v13
	v_cmp_gt_i64_e32 vcc_lo, v[9:10], v[100:101]
	v_add_co_ci_u32_e64 v11, null, v15, v11, s1
	v_mov_b32_e32 v110, 0
	v_mov_b32_e32 v112, 0
	;; [unrolled: 1-line block ×3, first 2 shown]
	v_cndmask_b32_e32 v9, v100, v9, vcc_lo
	v_cndmask_b32_e32 v10, v101, v10, vcc_lo
	v_mov_b32_e32 v116, 0
	v_mov_b32_e32 v114, 0
	;; [unrolled: 1-line block ×3, first 2 shown]
	v_add_co_u32 v9, vcc_lo, v13, v9
	v_mov_b32_e32 v125, v103
	v_mov_b32_e32 v123, v99
	;; [unrolled: 1-line block ×7, first 2 shown]
	v_add_co_ci_u32_e64 v10, null, v11, v10, vcc_lo
	v_and_b32_e32 v11, 12, v9
	v_mov_b32_e32 v119, 0
	v_mov_b32_e32 v117, 0
	;; [unrolled: 1-line block ×6, first 2 shown]
	s_mov_b32 s8, exec_lo
	v_cmpx_ne_u64_e32 12, v[11:12]
	s_cbranch_execz .LBB140_17
; %bb.14:
	v_lshrrev_b32_e32 v13, 2, v9
	v_lshlrev_b64 v[11:12], 2, v[98:99]
	v_mov_b32_e32 v108, 0
	v_mov_b32_e32 v123, v99
	;; [unrolled: 1-line block ×3, first 2 shown]
	v_add_nc_u32_e32 v13, 1, v13
	v_mov_b32_e32 v116, 0
	v_add_co_u32 v11, vcc_lo, s12, v11
	v_mov_b32_e32 v118, 0
	v_and_b32_e32 v13, 3, v13
	v_mov_b32_e32 v112, 0
	v_mov_b32_e32 v110, 0
	;; [unrolled: 1-line block ×4, first 2 shown]
	v_sub_co_u32 v13, s1, 0, v13
	v_mov_b32_e32 v125, v103
	v_mov_b32_e32 v109, 0
	;; [unrolled: 1-line block ×5, first 2 shown]
	v_add_co_ci_u32_e64 v12, null, s13, v12, vcc_lo
	v_sub_co_ci_u32_e64 v14, null, 0, 0, s1
	v_mov_b32_e32 v119, 0
	v_mov_b32_e32 v113, 0
	;; [unrolled: 1-line block ×6, first 2 shown]
	s_mov_b32 s9, 0
.LBB140_15:                             ; =>This Inner Loop Header: Depth=1
	global_load_dword v43, v[11:12], off
	s_clause 0x6
	global_load_dwordx4 v[15:18], v[124:125], off offset:48
	global_load_dwordx4 v[19:22], v[124:125], off offset:32
	;; [unrolled: 1-line block ×3, first 2 shown]
	global_load_dwordx4 v[27:30], v[124:125], off
	global_load_dwordx4 v[31:34], v[124:125], off offset:112
	global_load_dwordx4 v[35:38], v[124:125], off offset:96
	;; [unrolled: 1-line block ×3, first 2 shown]
	v_add_co_u32 v11, s1, v11, 16
	v_add_co_ci_u32_e64 v12, null, 0, v12, s1
	s_waitcnt vmcnt(7)
	v_subrev_nc_u32_e32 v43, s2, v43
	v_lshlrev_b32_e32 v43, 2, v43
	v_ashrrev_i32_e32 v44, 31, v43
	v_lshlrev_b64 v[43:44], 4, v[43:44]
	v_add_co_u32 v59, vcc_lo, s6, v43
	v_add_co_ci_u32_e64 v60, null, s7, v44, vcc_lo
	s_clause 0x1
	global_load_dwordx4 v[43:46], v[59:60], off
	global_load_dwordx4 v[47:50], v[59:60], off offset:16
	global_load_dwordx4 v[51:54], v[124:125], off offset:80
	s_clause 0x1
	global_load_dwordx4 v[55:58], v[59:60], off offset:32
	global_load_dwordx4 v[59:62], v[59:60], off offset:48
	v_add_co_u32 v124, vcc_lo, 0x200, v124
	v_add_co_ci_u32_e64 v125, null, 0, v125, vcc_lo
	v_add_co_u32 v13, vcc_lo, v13, 1
	v_add_co_ci_u32_e64 v14, null, 0, v14, vcc_lo
	;; [unrolled: 2-line block ×3, first 2 shown]
	v_cmp_eq_u64_e32 vcc_lo, 0, v[13:14]
	s_or_b32 s9, vcc_lo, s9
	s_waitcnt vmcnt(4)
	v_fma_f64 v[63:64], v[27:28], v[43:44], v[114:115]
	v_fma_f64 v[65:66], v[43:44], 0, v[108:109]
	v_fma_f64 v[67:68], v[19:20], v[43:44], v[118:119]
	v_fma_f64 v[69:70], v[43:44], 0, v[116:117]
	v_fma_f64 v[71:72], v[39:40], v[43:44], v[110:111]
	v_fma_f64 v[73:74], v[43:44], 0, v[112:113]
	v_fma_f64 v[75:76], v[35:36], v[43:44], v[104:105]
	v_fma_f64 v[43:44], v[43:44], 0, v[106:107]
	v_fma_f64 v[63:64], 0x80000000, v[45:46], v[63:64]
	v_fma_f64 v[27:28], v[27:28], v[45:46], v[65:66]
	v_fma_f64 v[65:66], 0x80000000, v[45:46], v[67:68]
	v_fma_f64 v[19:20], v[19:20], v[45:46], v[69:70]
	v_fma_f64 v[67:68], 0x80000000, v[45:46], v[71:72]
	v_fma_f64 v[39:40], v[39:40], v[45:46], v[73:74]
	v_fma_f64 v[69:70], 0x80000000, v[45:46], v[75:76]
	v_fma_f64 v[35:36], v[35:36], v[45:46], v[43:44]
	s_waitcnt vmcnt(3)
	v_fma_f64 v[43:44], v[29:30], v[47:48], v[63:64]
	v_fma_f64 v[27:28], v[47:48], 0, v[27:28]
	v_fma_f64 v[45:46], v[21:22], v[47:48], v[65:66]
	v_fma_f64 v[19:20], v[47:48], 0, v[19:20]
	v_fma_f64 v[63:64], v[41:42], v[47:48], v[67:68]
	v_fma_f64 v[39:40], v[47:48], 0, v[39:40]
	v_fma_f64 v[65:66], v[37:38], v[47:48], v[69:70]
	v_fma_f64 v[35:36], v[47:48], 0, v[35:36]
	v_fma_f64 v[43:44], 0x80000000, v[49:50], v[43:44]
	v_fma_f64 v[27:28], v[29:30], v[49:50], v[27:28]
	v_fma_f64 v[29:30], 0x80000000, v[49:50], v[45:46]
	v_fma_f64 v[19:20], v[21:22], v[49:50], v[19:20]
	v_fma_f64 v[21:22], 0x80000000, v[49:50], v[63:64]
	v_fma_f64 v[39:40], v[41:42], v[49:50], v[39:40]
	v_fma_f64 v[41:42], 0x80000000, v[49:50], v[65:66]
	v_fma_f64 v[35:36], v[37:38], v[49:50], v[35:36]
	;; [unrolled: 17-line block ×4, first 2 shown]
	s_andn2_b32 exec_lo, exec_lo, s9
	s_cbranch_execnz .LBB140_15
; %bb.16:
	s_or_b32 exec_lo, exec_lo, s9
.LBB140_17:
	s_or_b32 exec_lo, exec_lo, s8
	s_mov_b32 s8, exec_lo
	v_cmpx_lt_u64_e32 11, v[9:10]
	s_cbranch_execz .LBB140_21
; %bb.18:
	v_lshlrev_b64 v[9:10], 2, v[122:123]
	s_mov_b32 s9, 0
	v_add_co_u32 v9, vcc_lo, s12, v9
	v_add_co_ci_u32_e64 v10, null, s13, v10, vcc_lo
	v_add_co_u32 v126, vcc_lo, v9, 32
	v_add_co_ci_u32_e64 v127, null, 0, v10, vcc_lo
.LBB140_19:                             ; =>This Inner Loop Header: Depth=1
	global_load_dword v128, v[126:127], off offset:-32
	s_clause 0x11
	global_load_dwordx4 v[17:20], v[124:125], off offset:48
	global_load_dwordx4 v[61:64], v[124:125], off offset:32
	;; [unrolled: 1-line block ×3, first 2 shown]
	global_load_dwordx4 v[69:72], v[124:125], off
	global_load_dwordx4 v[29:32], v[124:125], off offset:112
	global_load_dwordx4 v[89:92], v[124:125], off offset:96
	;; [unrolled: 1-line block ×14, first 2 shown]
	s_clause 0x2
	global_load_dword v151, v[126:127], off offset:-16
	global_load_dword v153, v[126:127], off
	global_load_dword v155, v[126:127], off offset:16
	s_clause 0x6
	global_load_dwordx4 v[73:76], v[124:125], off offset:1040
	global_load_dwordx4 v[85:88], v[124:125], off offset:1024
	;; [unrolled: 1-line block ×7, first 2 shown]
	v_add_co_u32 v126, s1, v126, 64
	v_add_co_ci_u32_e64 v127, null, 0, v127, s1
	s_waitcnt vmcnt(28)
	v_subrev_nc_u32_e32 v128, s2, v128
	v_lshlrev_b32_e32 v141, 2, v128
	v_ashrrev_i32_e32 v142, 31, v141
	v_lshlrev_b64 v[141:142], 4, v[141:142]
	s_waitcnt vmcnt(8)
	v_subrev_nc_u32_e32 v128, s2, v153
	v_add_co_u32 v149, vcc_lo, s6, v141
	v_add_co_ci_u32_e64 v150, null, s7, v142, vcc_lo
	s_clause 0x1
	global_load_dwordx4 v[141:144], v[149:150], off
	global_load_dwordx4 v[145:148], v[149:150], off offset:16
	s_waitcnt vmcnt(1)
	v_fma_f64 v[108:109], v[141:142], 0, v[108:109]
	v_fma_f64 v[114:115], v[69:70], v[141:142], v[114:115]
	;; [unrolled: 1-line block ×16, first 2 shown]
	global_load_dwordx4 v[104:107], v[124:125], off offset:1568
	s_waitcnt vmcnt(1)
	v_fma_f64 v[69:70], v[145:146], 0, v[69:70]
	v_fma_f64 v[118:119], v[71:72], v[145:146], v[108:109]
	v_subrev_nc_u32_e32 v108, s2, v151
	v_fma_f64 v[61:62], v[145:146], 0, v[61:62]
	v_fma_f64 v[114:115], v[63:64], v[145:146], v[114:115]
	;; [unrolled: 1-line block ×4, first 2 shown]
	v_lshlrev_b32_e32 v108, 2, v108
	v_fma_f64 v[89:90], v[145:146], 0, v[89:90]
	v_fma_f64 v[112:113], v[91:92], v[145:146], v[112:113]
	v_ashrrev_i32_e32 v109, 31, v108
	v_lshlrev_b64 v[108:109], 4, v[108:109]
	v_fma_f64 v[141:142], v[71:72], v[147:148], v[69:70]
	v_add_co_u32 v143, vcc_lo, s6, v108
	global_load_dwordx4 v[69:72], v[124:125], off offset:1552
	v_add_co_ci_u32_e64 v144, null, s7, v109, vcc_lo
	v_fma_f64 v[151:152], v[63:64], v[147:148], v[61:62]
	s_clause 0x1
	global_load_dwordx4 v[61:64], v[149:150], off offset:32
	global_load_dwordx4 v[108:111], v[149:150], off offset:48
	v_fma_f64 v[149:150], v[95:96], v[147:148], v[93:94]
	global_load_dwordx4 v[93:96], v[143:144], off
	v_fma_f64 v[145:146], v[91:92], v[147:148], v[89:90]
	global_load_dwordx4 v[89:92], v[143:144], off offset:16
	v_fma_f64 v[118:119], 0x80000000, v[147:148], v[118:119]
	v_fma_f64 v[153:154], 0x80000000, v[147:148], v[114:115]
	;; [unrolled: 1-line block ×4, first 2 shown]
	global_load_dwordx4 v[112:115], v[143:144], off offset:32
	s_waitcnt vmcnt(4)
	v_fma_f64 v[118:119], v[21:22], v[61:62], v[118:119]
	v_fma_f64 v[141:142], v[61:62], 0, v[141:142]
	;; [unrolled: 1-line block ×16, first 2 shown]
	v_lshlrev_b32_e32 v61, 2, v128
	v_subrev_nc_u32_e32 v128, s2, v155
	v_ashrrev_i32_e32 v62, 31, v61
	v_lshlrev_b64 v[61:62], 4, v[61:62]
	s_waitcnt vmcnt(3)
	v_fma_f64 v[118:119], v[23:24], v[108:109], v[118:119]
	v_fma_f64 v[21:22], v[108:109], 0, v[21:22]
	v_add_co_u32 v147, vcc_lo, s6, v61
	v_add_co_ci_u32_e64 v148, null, s7, v62, vcc_lo
	global_load_dwordx4 v[61:64], v[143:144], off offset:48
	v_fma_f64 v[17:18], v[108:109], 0, v[17:18]
	v_fma_f64 v[141:142], v[19:20], v[108:109], v[141:142]
	;; [unrolled: 1-line block ×8, first 2 shown]
	global_load_dwordx4 v[21:24], v[124:125], off offset:1536
	v_fma_f64 v[149:150], v[19:20], v[110:111], v[17:18]
	global_load_dwordx4 v[17:20], v[147:148], off
	v_fma_f64 v[145:146], v[31:32], v[110:111], v[29:30]
	global_load_dwordx4 v[29:32], v[147:148], off offset:16
	v_fma_f64 v[151:152], v[47:48], v[110:111], v[45:46]
	v_fma_f64 v[141:142], 0x80000000, v[110:111], v[141:142]
	v_fma_f64 v[116:117], 0x80000000, v[110:111], v[116:117]
	v_fma_f64 v[153:154], 0x80000000, v[110:111], v[108:109]
	global_load_dwordx4 v[108:111], v[147:148], off offset:32
	global_load_dwordx4 v[45:48], v[124:125], off offset:1632
	s_waitcnt vmcnt(8)
	v_fma_f64 v[118:119], v[49:50], v[93:94], v[118:119]
	v_fma_f64 v[143:144], v[93:94], 0, v[143:144]
	;; [unrolled: 1-line block ×8, first 2 shown]
	v_lshlrev_b32_e32 v145, 2, v128
	v_ashrrev_i32_e32 v146, 31, v145
	v_fma_f64 v[118:119], 0x80000000, v[95:96], v[118:119]
	v_fma_f64 v[49:50], v[49:50], v[95:96], v[143:144]
	v_lshlrev_b64 v[145:146], 4, v[145:146]
	v_fma_f64 v[41:42], v[41:42], v[95:96], v[149:150]
	v_add_co_u32 v145, vcc_lo, s6, v145
	v_fma_f64 v[141:142], 0x80000000, v[95:96], v[141:142]
	v_fma_f64 v[116:117], 0x80000000, v[95:96], v[116:117]
	;; [unrolled: 1-line block ×5, first 2 shown]
	v_add_co_ci_u32_e64 v146, null, s7, v146, vcc_lo
	global_load_dwordx4 v[93:96], v[124:125], off offset:1600
	v_add_co_u32 v122, vcc_lo, v122, 16
	s_waitcnt vmcnt(8)
	v_fma_f64 v[118:119], v[51:52], v[89:90], v[118:119]
	v_fma_f64 v[49:50], v[89:90], 0, v[49:50]
	v_add_co_ci_u32_e64 v123, null, 0, v123, vcc_lo
	v_fma_f64 v[41:42], v[89:90], 0, v[41:42]
	v_fma_f64 v[141:142], v[43:44], v[89:90], v[141:142]
	;; [unrolled: 1-line block ×8, first 2 shown]
	global_load_dwordx4 v[49:52], v[147:148], off offset:48
	v_fma_f64 v[147:148], v[43:44], v[91:92], v[41:42]
	global_load_dwordx4 v[41:44], v[145:146], off
	v_fma_f64 v[118:119], 0x80000000, v[91:92], v[141:142]
	v_fma_f64 v[116:117], 0x80000000, v[91:92], v[116:117]
	;; [unrolled: 1-line block ×5, first 2 shown]
	global_load_dwordx4 v[53:56], v[145:146], off offset:16
	s_waitcnt vmcnt(10)
	v_fma_f64 v[89:90], v[13:14], v[112:113], v[89:90]
	v_fma_f64 v[141:142], v[112:113], 0, v[149:150]
	;; [unrolled: 1-line block ×16, first 2 shown]
	s_clause 0x1
	global_load_dwordx4 v[57:60], v[124:125], off offset:1648
	global_load_dwordx4 v[89:92], v[124:125], off offset:1616
	;; [unrolled: 1-line block ×3, first 2 shown]
	v_add_co_u32 v124, vcc_lo, 0x800, v124
	v_add_co_ci_u32_e64 v125, null, 0, v125, vcc_lo
	v_cmp_ge_i64_e32 vcc_lo, v[122:123], v[100:101]
	s_or_b32 s9, vcc_lo, s9
	s_waitcnt vmcnt(12)
	v_fma_f64 v[143:144], v[15:16], v[61:62], v[147:148]
	v_fma_f64 v[13:14], v[61:62], 0, v[13:14]
	;; [unrolled: 1-line block ×16, first 2 shown]
	global_load_dwordx4 v[9:12], v[145:146], off offset:48
	s_waitcnt vmcnt(11)
	v_fma_f64 v[35:36], v[85:86], v[17:18], v[61:62]
	v_fma_f64 v[13:14], v[17:18], 0, v[13:14]
	v_fma_f64 v[15:16], v[81:82], v[17:18], v[15:16]
	v_fma_f64 v[61:62], v[17:18], 0, v[118:119]
	v_fma_f64 v[63:64], v[137:138], v[17:18], v[116:117]
	v_fma_f64 v[37:38], v[17:18], 0, v[37:38]
	v_fma_f64 v[39:40], v[129:130], v[17:18], v[39:40]
	v_fma_f64 v[17:18], v[17:18], 0, v[33:34]
	v_fma_f64 v[33:34], 0x80000000, v[19:20], v[35:36]
	v_fma_f64 v[13:14], v[85:86], v[19:20], v[13:14]
	v_fma_f64 v[15:16], 0x80000000, v[19:20], v[15:16]
	v_fma_f64 v[35:36], v[81:82], v[19:20], v[61:62]
	v_fma_f64 v[61:62], 0x80000000, v[19:20], v[63:64]
	v_fma_f64 v[37:38], v[137:138], v[19:20], v[37:38]
	v_fma_f64 v[39:40], 0x80000000, v[19:20], v[39:40]
	v_fma_f64 v[17:18], v[129:130], v[19:20], v[17:18]
	s_waitcnt vmcnt(10)
	v_fma_f64 v[19:20], v[87:88], v[29:30], v[33:34]
	v_fma_f64 v[13:14], v[29:30], 0, v[13:14]
	v_fma_f64 v[15:16], v[83:84], v[29:30], v[15:16]
	v_fma_f64 v[33:34], v[29:30], 0, v[35:36]
	v_fma_f64 v[35:36], v[139:140], v[29:30], v[61:62]
	v_fma_f64 v[37:38], v[29:30], 0, v[37:38]
	v_fma_f64 v[39:40], v[131:132], v[29:30], v[39:40]
	v_fma_f64 v[17:18], v[29:30], 0, v[17:18]
	v_fma_f64 v[19:20], 0x80000000, v[31:32], v[19:20]
	v_fma_f64 v[13:14], v[87:88], v[31:32], v[13:14]
	v_fma_f64 v[15:16], 0x80000000, v[31:32], v[15:16]
	v_fma_f64 v[29:30], v[83:84], v[31:32], v[33:34]
	v_fma_f64 v[33:34], 0x80000000, v[31:32], v[35:36]
	v_fma_f64 v[35:36], v[139:140], v[31:32], v[37:38]
	v_fma_f64 v[37:38], 0x80000000, v[31:32], v[39:40]
	v_fma_f64 v[17:18], v[131:132], v[31:32], v[17:18]
	;; [unrolled: 17-line block ×8, first 2 shown]
	s_andn2_b32 exec_lo, exec_lo, s9
	s_cbranch_execnz .LBB140_19
; %bb.20:
	s_or_b32 exec_lo, exec_lo, s9
.LBB140_21:
	s_or_b32 exec_lo, exec_lo, s8
.LBB140_22:
	s_or_b32 exec_lo, exec_lo, s3
	s_cbranch_execz .LBB140_24
	s_branch .LBB140_35
.LBB140_23:
                                        ; implicit-def: $vgpr108_vgpr109
                                        ; implicit-def: $vgpr114_vgpr115
                                        ; implicit-def: $vgpr116_vgpr117
                                        ; implicit-def: $vgpr118_vgpr119
                                        ; implicit-def: $vgpr112_vgpr113
                                        ; implicit-def: $vgpr110_vgpr111
                                        ; implicit-def: $vgpr106_vgpr107
                                        ; implicit-def: $vgpr104_vgpr105
.LBB140_24:
	v_mov_b32_e32 v108, 0
	v_mov_b32_e32 v114, 0
	;; [unrolled: 1-line block ×16, first 2 shown]
	s_and_saveexec_b32 s1, s0
	s_cbranch_execz .LBB140_34
; %bb.25:
	v_or_b32_e32 v9, 4, v0
	v_not_b32_e32 v13, v120
	v_not_b32_e32 v11, v121
	v_mov_b32_e32 v104, 0
	v_mov_b32_e32 v106, 0
	v_sub_co_u32 v9, s0, v9, s2
	v_sub_co_ci_u32_e64 v10, null, 0, 0, s0
	v_sub_co_u32 v14, s0, s2, v0
	v_add_co_u32 v9, vcc_lo, v9, v120
	v_add_co_ci_u32_e64 v10, null, v10, v121, vcc_lo
	v_sub_co_ci_u32_e64 v15, null, 0, 0, s0
	v_add_co_u32 v13, s0, v14, v13
	v_cmp_gt_i64_e32 vcc_lo, v[9:10], v[100:101]
	v_add_co_ci_u32_e64 v11, null, v15, v11, s0
	v_mov_b32_e32 v110, 0
	v_mov_b32_e32 v112, 0
	v_mov_b32_e32 v118, 0
	v_cndmask_b32_e32 v9, v100, v9, vcc_lo
	v_cndmask_b32_e32 v10, v101, v10, vcc_lo
	v_mov_b32_e32 v116, 0
	v_mov_b32_e32 v114, 0
	v_mov_b32_e32 v108, 0
	v_add_co_u32 v9, vcc_lo, v13, v9
	v_mov_b32_e32 v12, 0
	v_mov_b32_e32 v105, 0
	;; [unrolled: 1-line block ×4, first 2 shown]
	v_add_co_ci_u32_e64 v10, null, v11, v10, vcc_lo
	v_and_b32_e32 v11, 12, v9
	v_mov_b32_e32 v113, 0
	v_mov_b32_e32 v119, 0
	;; [unrolled: 1-line block ×5, first 2 shown]
	s_mov_b32 s3, exec_lo
	v_cmpx_ne_u64_e32 12, v[11:12]
	s_cbranch_execz .LBB140_29
; %bb.26:
	v_lshrrev_b32_e32 v13, 2, v9
	v_lshlrev_b64 v[11:12], 2, v[98:99]
	v_mov_b32_e32 v108, 0
	v_mov_b32_e32 v114, 0
	;; [unrolled: 1-line block ×3, first 2 shown]
	v_add_nc_u32_e32 v13, 1, v13
	v_mov_b32_e32 v118, 0
	v_add_co_u32 v11, vcc_lo, s12, v11
	v_mov_b32_e32 v112, 0
	v_and_b32_e32 v13, 3, v13
	v_mov_b32_e32 v110, 0
	v_mov_b32_e32 v106, 0
	;; [unrolled: 1-line block ×4, first 2 shown]
	v_sub_co_u32 v13, s0, 0, v13
	v_mov_b32_e32 v115, 0
	v_mov_b32_e32 v117, 0
	v_add_co_ci_u32_e64 v12, null, s13, v12, vcc_lo
	v_mov_b32_e32 v119, 0
	v_mov_b32_e32 v113, 0
	v_mov_b32_e32 v111, 0
	v_mov_b32_e32 v107, 0
	v_mov_b32_e32 v105, 0
	v_sub_co_ci_u32_e64 v14, null, 0, 0, s0
	s_mov_b32 s8, 0
.LBB140_27:                             ; =>This Inner Loop Header: Depth=1
	global_load_dword v23, v[11:12], off
	s_clause 0x1
	global_load_dwordx4 v[15:18], v[102:103], off offset:16
	global_load_dwordx4 v[19:22], v[102:103], off
	v_add_co_u32 v11, s0, v11, 16
	v_add_co_ci_u32_e64 v12, null, 0, v12, s0
	s_waitcnt vmcnt(2)
	v_subrev_nc_u32_e32 v23, s2, v23
	v_lshlrev_b32_e32 v23, 2, v23
	v_ashrrev_i32_e32 v24, 31, v23
	v_lshlrev_b64 v[23:24], 4, v[23:24]
	v_add_co_u32 v51, vcc_lo, s6, v23
	v_add_co_ci_u32_e64 v52, null, s7, v24, vcc_lo
	s_clause 0x1
	global_load_dwordx4 v[23:26], v[51:52], off
	global_load_dwordx4 v[27:30], v[51:52], off offset:16
	s_clause 0x3
	global_load_dwordx4 v[31:34], v[102:103], off offset:32
	global_load_dwordx4 v[35:38], v[102:103], off offset:48
	;; [unrolled: 1-line block ×4, first 2 shown]
	s_clause 0x1
	global_load_dwordx4 v[47:50], v[51:52], off offset:32
	global_load_dwordx4 v[51:54], v[51:52], off offset:48
	s_clause 0x1
	global_load_dwordx4 v[55:58], v[102:103], off offset:96
	global_load_dwordx4 v[59:62], v[102:103], off offset:112
	v_add_co_u32 v102, vcc_lo, 0x200, v102
	v_add_co_ci_u32_e64 v103, null, 0, v103, vcc_lo
	v_add_co_u32 v13, vcc_lo, v13, 1
	v_add_co_ci_u32_e64 v14, null, 0, v14, vcc_lo
	v_add_co_u32 v98, vcc_lo, v98, 4
	v_add_co_ci_u32_e64 v99, null, 0, v99, vcc_lo
	v_cmp_eq_u64_e32 vcc_lo, 0, v[13:14]
	s_or_b32 s8, vcc_lo, s8
	s_waitcnt vmcnt(9)
	v_fma_f64 v[63:64], v[19:20], v[23:24], v[114:115]
	v_fma_f64 v[65:66], v[23:24], 0, v[108:109]
	;; [unrolled: 1-line block ×16, first 2 shown]
	s_waitcnt vmcnt(7)
	v_fma_f64 v[23:24], v[31:32], v[27:28], v[63:64]
	v_fma_f64 v[19:20], v[27:28], 0, v[19:20]
	;; [unrolled: 1-line block ×4, first 2 shown]
	s_waitcnt vmcnt(6)
	v_fma_f64 v[63:64], v[35:36], v[27:28], v[67:68]
	v_fma_f64 v[15:16], v[27:28], 0, v[15:16]
	;; [unrolled: 1-line block ×12, first 2 shown]
	s_waitcnt vmcnt(3)
	v_fma_f64 v[23:24], v[43:44], v[47:48], v[23:24]
	v_fma_f64 v[19:20], v[47:48], 0, v[19:20]
	;; [unrolled: 1-line block ×16, first 2 shown]
	s_waitcnt vmcnt(1)
	v_fma_f64 v[23:24], v[55:56], v[51:52], v[23:24]
	v_fma_f64 v[19:20], v[51:52], 0, v[19:20]
	;; [unrolled: 1-line block ×4, first 2 shown]
	s_waitcnt vmcnt(0)
	v_fma_f64 v[27:28], v[59:60], v[51:52], v[27:28]
	v_fma_f64 v[15:16], v[51:52], 0, v[15:16]
	;; [unrolled: 1-line block ×12, first 2 shown]
	s_andn2_b32 exec_lo, exec_lo, s8
	s_cbranch_execnz .LBB140_27
; %bb.28:
	s_or_b32 exec_lo, exec_lo, s8
.LBB140_29:
	s_or_b32 exec_lo, exec_lo, s3
	s_mov_b32 s3, exec_lo
	v_cmpx_lt_u64_e32 11, v[9:10]
	s_cbranch_execz .LBB140_33
; %bb.30:
	v_lshlrev_b64 v[9:10], 2, v[98:99]
	s_mov_b32 s8, 0
	v_add_co_u32 v9, vcc_lo, s12, v9
	v_add_co_ci_u32_e64 v10, null, s13, v10, vcc_lo
	v_add_co_u32 v21, vcc_lo, v9, 32
	v_add_co_ci_u32_e64 v22, null, 0, v10, vcc_lo
.LBB140_31:                             ; =>This Inner Loop Header: Depth=1
	s_clause 0x1
	global_load_dword v87, v[21:22], off offset:-32
	global_load_dword v88, v[21:22], off offset:-16
	s_clause 0xd
	global_load_dwordx4 v[23:26], v[102:103], off offset:48
	global_load_dwordx4 v[27:30], v[102:103], off offset:32
	;; [unrolled: 1-line block ×3, first 2 shown]
	global_load_dwordx4 v[35:38], v[102:103], off
	global_load_dwordx4 v[39:42], v[102:103], off offset:112
	global_load_dwordx4 v[43:46], v[102:103], off offset:96
	;; [unrolled: 1-line block ×10, first 2 shown]
	s_clause 0x1
	global_load_dword v134, v[21:22], off
	global_load_dword v135, v[21:22], off offset:16
	s_clause 0x4
	global_load_dwordx4 v[67:70], v[102:103], off offset:592
	global_load_dwordx4 v[71:74], v[102:103], off offset:576
	global_load_dwordx4 v[75:78], v[102:103], off offset:1072
	global_load_dwordx4 v[79:82], v[102:103], off offset:1056
	global_load_dwordx4 v[83:86], v[102:103], off offset:1040
	v_add_co_u32 v21, s0, v21, 64
	v_add_co_ci_u32_e64 v22, null, 0, v22, s0
	s_waitcnt vmcnt(22)
	v_subrev_nc_u32_e32 v87, s2, v87
	s_waitcnt vmcnt(21)
	v_subrev_nc_u32_e32 v88, s2, v88
	v_lshlrev_b32_e32 v87, 2, v87
	v_lshlrev_b32_e32 v89, 2, v88
	v_ashrrev_i32_e32 v88, 31, v87
	v_ashrrev_i32_e32 v90, 31, v89
	v_lshlrev_b64 v[87:88], 4, v[87:88]
	v_lshlrev_b64 v[89:90], 4, v[89:90]
	v_add_co_u32 v95, vcc_lo, s6, v87
	v_add_co_ci_u32_e64 v96, null, s7, v88, vcc_lo
	v_add_co_u32 v132, vcc_lo, s6, v89
	v_add_co_ci_u32_e64 v133, null, s7, v90, vcc_lo
	s_clause 0x4
	global_load_dwordx4 v[87:90], v[95:96], off
	global_load_dwordx4 v[91:94], v[95:96], off offset:16
	global_load_dwordx4 v[120:123], v[95:96], off offset:32
	;; [unrolled: 1-line block ×3, first 2 shown]
	global_load_dwordx4 v[128:131], v[132:133], off
	s_waitcnt vmcnt(4)
	v_fma_f64 v[95:96], v[87:88], 0, v[108:109]
	v_fma_f64 v[108:109], v[87:88], 0, v[116:117]
	;; [unrolled: 1-line block ×8, first 2 shown]
	v_subrev_nc_u32_e32 v118, s2, v134
	v_fma_f64 v[95:96], v[35:36], v[89:90], v[95:96]
	v_fma_f64 v[108:109], v[37:38], v[89:90], v[108:109]
	global_load_dwordx4 v[35:38], v[132:133], off offset:16
	v_fma_f64 v[104:105], v[31:32], v[89:90], v[112:113]
	v_fma_f64 v[106:107], v[33:34], v[89:90], v[106:107]
	;; [unrolled: 1-line block ×6, first 2 shown]
	global_load_dwordx4 v[87:90], v[132:133], off offset:32
	global_load_dwordx4 v[31:34], v[102:103], off offset:1024
	s_waitcnt vmcnt(6)
	v_fma_f64 v[95:96], v[91:92], 0, v[95:96]
	v_fma_f64 v[108:109], v[91:92], 0, v[108:109]
	;; [unrolled: 1-line block ×9, first 2 shown]
	v_lshlrev_b32_e32 v27, 2, v118
	v_fma_f64 v[108:109], v[29:30], v[93:94], v[108:109]
	v_fma_f64 v[104:105], v[23:24], v[93:94], v[104:105]
	;; [unrolled: 1-line block ×3, first 2 shown]
	v_ashrrev_i32_e32 v28, 31, v27
	v_fma_f64 v[112:113], 0x80000000, v[93:94], v[112:113]
	v_fma_f64 v[114:115], 0x80000000, v[93:94], v[114:115]
	;; [unrolled: 1-line block ×4, first 2 shown]
	v_lshlrev_b64 v[27:28], 4, v[27:28]
	s_clause 0x1
	global_load_dwordx4 v[91:94], v[102:103], off offset:1120
	global_load_dwordx4 v[23:26], v[102:103], off offset:1136
	v_add_co_u32 v118, vcc_lo, s6, v27
	v_add_co_ci_u32_e64 v119, null, s7, v28, vcc_lo
	global_load_dwordx4 v[27:30], v[132:133], off offset:48
	s_waitcnt vmcnt(8)
	v_fma_f64 v[95:96], v[120:121], 0, v[95:96]
	v_fma_f64 v[108:109], v[120:121], 0, v[108:109]
	v_fma_f64 v[104:105], v[120:121], 0, v[104:105]
	v_fma_f64 v[106:107], v[120:121], 0, v[106:107]
	v_fma_f64 v[112:113], v[51:52], v[120:121], v[112:113]
	v_fma_f64 v[114:115], v[53:54], v[120:121], v[114:115]
	v_fma_f64 v[110:111], v[47:48], v[120:121], v[110:111]
	v_fma_f64 v[116:117], v[49:50], v[120:121], v[116:117]
	v_fma_f64 v[95:96], v[51:52], v[122:123], v[95:96]
	v_fma_f64 v[108:109], v[53:54], v[122:123], v[108:109]
	global_load_dwordx4 v[51:54], v[118:119], off
	v_fma_f64 v[120:121], v[47:48], v[122:123], v[104:105]
	v_fma_f64 v[132:133], v[49:50], v[122:123], v[106:107]
	global_load_dwordx4 v[104:107], v[118:119], off offset:16
	v_fma_f64 v[112:113], 0x80000000, v[122:123], v[112:113]
	v_fma_f64 v[114:115], 0x80000000, v[122:123], v[114:115]
	;; [unrolled: 1-line block ×4, first 2 shown]
	global_load_dwordx4 v[47:50], v[102:103], off offset:1104
	s_waitcnt vmcnt(10)
	v_fma_f64 v[95:96], v[124:125], 0, v[95:96]
	v_fma_f64 v[108:109], v[124:125], 0, v[108:109]
	v_fma_f64 v[112:113], v[43:44], v[124:125], v[112:113]
	v_fma_f64 v[114:115], v[45:46], v[124:125], v[114:115]
	v_fma_f64 v[110:111], v[39:40], v[124:125], v[110:111]
	v_fma_f64 v[116:117], v[41:42], v[124:125], v[116:117]
	v_fma_f64 v[95:96], v[43:44], v[126:127], v[95:96]
	v_fma_f64 v[122:123], v[45:46], v[126:127], v[108:109]
	v_fma_f64 v[108:109], v[124:125], 0, v[120:121]
	v_fma_f64 v[120:121], v[124:125], 0, v[132:133]
	global_load_dwordx4 v[43:46], v[102:103], off offset:1088
	v_fma_f64 v[112:113], 0x80000000, v[126:127], v[112:113]
	v_fma_f64 v[114:115], 0x80000000, v[126:127], v[114:115]
	;; [unrolled: 1-line block ×4, first 2 shown]
	s_waitcnt vmcnt(10)
	v_fma_f64 v[95:96], v[128:129], 0, v[95:96]
	v_fma_f64 v[122:123], v[128:129], 0, v[122:123]
	;; [unrolled: 1-line block ×4, first 2 shown]
	global_load_dwordx4 v[108:111], v[118:119], off offset:32
	global_load_dwordx4 v[39:42], v[102:103], off offset:1552
	v_fma_f64 v[112:113], v[63:64], v[128:129], v[112:113]
	v_fma_f64 v[114:115], v[65:66], v[128:129], v[114:115]
	;; [unrolled: 1-line block ×8, first 2 shown]
	global_load_dwordx4 v[63:66], v[102:103], off offset:1536
	v_fma_f64 v[128:129], 0x80000000, v[130:131], v[112:113]
	v_fma_f64 v[132:133], 0x80000000, v[130:131], v[114:115]
	;; [unrolled: 1-line block ×6, first 2 shown]
	global_load_dwordx4 v[59:62], v[118:119], off offset:48
	v_subrev_nc_u32_e32 v118, s2, v135
	v_lshlrev_b32_e32 v118, 2, v118
	v_ashrrev_i32_e32 v119, 31, v118
	v_lshlrev_b64 v[118:119], 4, v[118:119]
	v_add_co_u32 v118, vcc_lo, s6, v118
	v_add_co_ci_u32_e64 v119, null, s7, v119, vcc_lo
	v_add_co_u32 v98, vcc_lo, v98, 16
	v_add_co_ci_u32_e64 v99, null, 0, v99, vcc_lo
	global_load_dwordx4 v[112:115], v[118:119], off
	s_waitcnt vmcnt(14)
	v_fma_f64 v[95:96], v[35:36], 0, v[95:96]
	v_fma_f64 v[122:123], v[35:36], 0, v[122:123]
	;; [unrolled: 1-line block ×16, first 2 shown]
	global_load_dwordx4 v[55:58], v[118:119], off offset:16
	s_clause 0x1
	global_load_dwordx4 v[17:20], v[102:103], off offset:1568
	global_load_dwordx4 v[35:38], v[102:103], off offset:1584
	s_waitcnt vmcnt(16)
	v_fma_f64 v[95:96], v[87:88], 0, v[95:96]
	v_fma_f64 v[122:123], v[87:88], 0, v[122:123]
	v_fma_f64 v[120:121], v[71:72], v[87:88], v[120:121]
	v_fma_f64 v[128:129], v[73:74], v[87:88], v[128:129]
	v_fma_f64 v[126:127], v[67:68], v[87:88], v[126:127]
	v_fma_f64 v[124:125], v[87:88], 0, v[124:125]
	v_fma_f64 v[116:117], v[69:70], v[87:88], v[116:117]
	v_fma_f64 v[87:88], v[87:88], 0, v[130:131]
	v_fma_f64 v[95:96], v[71:72], v[89:90], v[95:96]
	v_fma_f64 v[122:123], v[73:74], v[89:90], v[122:123]
	v_fma_f64 v[120:121], 0x80000000, v[89:90], v[120:121]
	v_fma_f64 v[128:129], 0x80000000, v[89:90], v[128:129]
	v_fma_f64 v[126:127], 0x80000000, v[89:90], v[126:127]
	v_fma_f64 v[124:125], v[67:68], v[89:90], v[124:125]
	v_fma_f64 v[116:117], 0x80000000, v[89:90], v[116:117]
	v_fma_f64 v[130:131], v[69:70], v[89:90], v[87:88]
	s_clause 0x1
	global_load_dwordx4 v[67:70], v[102:103], off offset:1616
	global_load_dwordx4 v[71:74], v[102:103], off offset:1600
	global_load_dwordx4 v[87:90], v[118:119], off offset:32
	s_waitcnt vmcnt(15)
	v_fma_f64 v[95:96], v[27:28], 0, v[95:96]
	v_fma_f64 v[122:123], v[27:28], 0, v[122:123]
	;; [unrolled: 1-line block ×16, first 2 shown]
	s_clause 0x1
	global_load_dwordx4 v[9:12], v[102:103], off offset:1632
	global_load_dwordx4 v[13:16], v[102:103], off offset:1648
	;; [unrolled: 1-line block ×3, first 2 shown]
	v_add_co_u32 v102, vcc_lo, 0x800, v102
	v_add_co_ci_u32_e64 v103, null, 0, v103, vcc_lo
	v_cmp_ge_i64_e32 vcc_lo, v[98:99], v[100:101]
	s_or_b32 s8, vcc_lo, s8
	s_waitcnt vmcnt(17)
	v_fma_f64 v[95:96], v[51:52], 0, v[95:96]
	v_fma_f64 v[122:123], v[51:52], 0, v[122:123]
	v_fma_f64 v[118:119], v[31:32], v[51:52], v[120:121]
	v_fma_f64 v[120:121], v[33:34], v[51:52], v[128:129]
	v_fma_f64 v[126:127], v[83:84], v[51:52], v[126:127]
	v_fma_f64 v[124:125], v[51:52], 0, v[124:125]
	v_fma_f64 v[116:117], v[85:86], v[51:52], v[116:117]
	v_fma_f64 v[51:52], v[51:52], 0, v[130:131]
	v_fma_f64 v[31:32], v[31:32], v[53:54], v[95:96]
	v_fma_f64 v[33:34], v[33:34], v[53:54], v[122:123]
	v_fma_f64 v[118:119], 0x80000000, v[53:54], v[118:119]
	v_fma_f64 v[95:96], 0x80000000, v[53:54], v[120:121]
	v_fma_f64 v[120:121], 0x80000000, v[53:54], v[126:127]
	v_fma_f64 v[83:84], v[83:84], v[53:54], v[124:125]
	v_fma_f64 v[116:117], 0x80000000, v[53:54], v[116:117]
	v_fma_f64 v[51:52], v[85:86], v[53:54], v[51:52]
	s_waitcnt vmcnt(16)
	v_fma_f64 v[31:32], v[104:105], 0, v[31:32]
	v_fma_f64 v[33:34], v[104:105], 0, v[33:34]
	v_fma_f64 v[53:54], v[79:80], v[104:105], v[118:119]
	v_fma_f64 v[85:86], v[81:82], v[104:105], v[95:96]
	v_fma_f64 v[95:96], v[75:76], v[104:105], v[120:121]
	v_fma_f64 v[83:84], v[104:105], 0, v[83:84]
	v_fma_f64 v[116:117], v[77:78], v[104:105], v[116:117]
	v_fma_f64 v[51:52], v[104:105], 0, v[51:52]
	v_fma_f64 v[31:32], v[79:80], v[106:107], v[31:32]
	v_fma_f64 v[33:34], v[81:82], v[106:107], v[33:34]
	v_fma_f64 v[53:54], 0x80000000, v[106:107], v[53:54]
	v_fma_f64 v[79:80], 0x80000000, v[106:107], v[85:86]
	v_fma_f64 v[81:82], 0x80000000, v[106:107], v[95:96]
	v_fma_f64 v[75:76], v[75:76], v[106:107], v[83:84]
	v_fma_f64 v[83:84], 0x80000000, v[106:107], v[116:117]
	v_fma_f64 v[51:52], v[77:78], v[106:107], v[51:52]
	;; [unrolled: 17-line block ×5, first 2 shown]
	s_waitcnt vmcnt(8)
	v_fma_f64 v[31:32], v[55:56], 0, v[31:32]
	v_fma_f64 v[33:34], v[55:56], 0, v[33:34]
	s_waitcnt vmcnt(7)
	v_fma_f64 v[41:42], v[17:18], v[55:56], v[49:50]
	v_fma_f64 v[43:44], v[19:20], v[55:56], v[43:44]
	;; [unrolled: 3-line block ×3, first 2 shown]
	v_fma_f64 v[39:40], v[37:38], v[55:56], v[39:40]
	v_fma_f64 v[25:26], v[55:56], 0, v[25:26]
	;; [unrolled: 1-line block ×10, first 2 shown]
	s_waitcnt vmcnt(3)
	v_fma_f64 v[17:18], v[87:88], 0, v[17:18]
	v_fma_f64 v[19:20], v[87:88], 0, v[19:20]
	;; [unrolled: 1-line block ×16, first 2 shown]
	s_waitcnt vmcnt(0)
	v_fma_f64 v[17:18], v[27:28], 0, v[17:18]
	v_fma_f64 v[19:20], v[27:28], 0, v[19:20]
	;; [unrolled: 1-line block ×16, first 2 shown]
	s_andn2_b32 exec_lo, exec_lo, s8
	s_cbranch_execnz .LBB140_31
; %bb.32:
	s_or_b32 exec_lo, exec_lo, s8
.LBB140_33:
	s_or_b32 exec_lo, exec_lo, s3
.LBB140_34:
	s_or_b32 exec_lo, exec_lo, s1
.LBB140_35:
	v_mbcnt_lo_u32_b32 v29, -1, 0
	v_xor_b32_e32 v9, 2, v29
	v_xor_b32_e32 v30, 1, v29
	v_cmp_gt_i32_e32 vcc_lo, 32, v9
	v_cndmask_b32_e32 v9, v29, v9, vcc_lo
	v_cmp_gt_i32_e32 vcc_lo, 32, v30
	v_lshlrev_b32_e32 v23, 2, v9
	v_cndmask_b32_e32 v29, v29, v30, vcc_lo
	v_cmp_eq_u32_e32 vcc_lo, 3, v0
	ds_bpermute_b32 v9, v23, v114
	ds_bpermute_b32 v10, v23, v115
	;; [unrolled: 1-line block ×16, first 2 shown]
	v_lshlrev_b32_e32 v34, 2, v29
	s_waitcnt lgkmcnt(14)
	v_add_f64 v[9:10], v[114:115], v[9:10]
	s_waitcnt lgkmcnt(12)
	v_add_f64 v[27:28], v[108:109], v[11:12]
	s_waitcnt lgkmcnt(10)
	v_add_f64 v[11:12], v[118:119], v[13:14]
	s_waitcnt lgkmcnt(8)
	v_add_f64 v[23:24], v[116:117], v[15:16]
	s_waitcnt lgkmcnt(6)
	v_add_f64 v[13:14], v[110:111], v[17:18]
	s_waitcnt lgkmcnt(4)
	v_add_f64 v[17:18], v[112:113], v[19:20]
	s_waitcnt lgkmcnt(2)
	v_add_f64 v[15:16], v[104:105], v[21:22]
	s_waitcnt lgkmcnt(0)
	v_add_f64 v[19:20], v[106:107], v[25:26]
	ds_bpermute_b32 v21, v34, v9
	ds_bpermute_b32 v22, v34, v10
	;; [unrolled: 1-line block ×16, first 2 shown]
	s_and_b32 exec_lo, exec_lo, vcc_lo
	s_cbranch_execz .LBB140_8
; %bb.36:
	s_waitcnt lgkmcnt(12)
	v_add_f64 v[27:28], v[27:28], v[39:40]
	s_waitcnt lgkmcnt(8)
	v_add_f64 v[23:24], v[23:24], v[37:38]
	;; [unrolled: 2-line block ×4, first 2 shown]
	v_add_f64 v[9:10], v[9:10], v[21:22]
	v_add_f64 v[11:12], v[11:12], v[25:26]
	;; [unrolled: 1-line block ×4, first 2 shown]
	v_cmp_eq_f64_e32 vcc_lo, 0, v[1:2]
	v_cmp_eq_f64_e64 s0, 0, v[3:4]
	s_load_dwordx2 s[2:3], s[4:5], 0x60
	v_mul_f64 v[13:14], v[27:28], -v[7:8]
	v_mul_f64 v[15:16], v[5:6], v[27:28]
	v_mul_f64 v[27:28], v[23:24], -v[7:8]
	v_mul_f64 v[23:24], v[5:6], v[23:24]
	;; [unrolled: 2-line block ×4, first 2 shown]
	s_and_b32 s0, vcc_lo, s0
	v_fma_f64 v[17:18], v[5:6], v[9:10], v[13:14]
	v_fma_f64 v[19:20], v[7:8], v[9:10], v[15:16]
	;; [unrolled: 1-line block ×8, first 2 shown]
	v_lshlrev_b32_e32 v21, 2, v97
	s_and_saveexec_b32 s1, s0
	s_xor_b32 s0, exec_lo, s1
	s_cbranch_execz .LBB140_38
; %bb.37:
	v_ashrrev_i32_e32 v22, 31, v21
	v_lshlrev_b64 v[0:1], 4, v[21:22]
                                        ; implicit-def: $vgpr21
	s_waitcnt lgkmcnt(0)
	v_add_co_u32 v0, vcc_lo, s2, v0
	v_add_co_ci_u32_e64 v1, null, s3, v1, vcc_lo
	global_store_dwordx4 v[0:1], v[17:20], off
	global_store_dwordx4 v[0:1], v[13:16], off offset:16
	global_store_dwordx4 v[0:1], v[9:12], off offset:32
	;; [unrolled: 1-line block ×3, first 2 shown]
                                        ; implicit-def: $vgpr3_vgpr4
                                        ; implicit-def: $vgpr17_vgpr18
                                        ; implicit-def: $vgpr13_vgpr14
                                        ; implicit-def: $vgpr9_vgpr10
                                        ; implicit-def: $vgpr5_vgpr6
.LBB140_38:
	s_andn2_saveexec_b32 s0, s0
	s_cbranch_execz .LBB140_8
; %bb.39:
	v_ashrrev_i32_e32 v22, 31, v21
	v_lshlrev_b64 v[21:22], 4, v[21:22]
	s_waitcnt lgkmcnt(0)
	v_add_co_u32 v37, vcc_lo, s2, v21
	v_add_co_ci_u32_e64 v38, null, s3, v22, vcc_lo
	s_clause 0x3
	global_load_dwordx4 v[21:24], v[37:38], off
	global_load_dwordx4 v[25:28], v[37:38], off offset:16
	global_load_dwordx4 v[29:32], v[37:38], off offset:32
	;; [unrolled: 1-line block ×3, first 2 shown]
	s_waitcnt vmcnt(3)
	v_fma_f64 v[17:18], v[1:2], v[21:22], v[17:18]
	v_fma_f64 v[19:20], v[3:4], v[21:22], v[19:20]
	s_waitcnt vmcnt(2)
	v_fma_f64 v[13:14], v[1:2], v[25:26], v[13:14]
	v_fma_f64 v[15:16], v[3:4], v[25:26], v[15:16]
	;; [unrolled: 3-line block ×4, first 2 shown]
	v_fma_f64 v[5:6], -v[3:4], v[23:24], v[17:18]
	v_fma_f64 v[7:8], v[1:2], v[23:24], v[19:20]
	v_fma_f64 v[9:10], -v[3:4], v[27:28], v[13:14]
	v_fma_f64 v[11:12], v[1:2], v[27:28], v[15:16]
	;; [unrolled: 2-line block ×4, first 2 shown]
	global_store_dwordx4 v[37:38], v[5:8], off
	global_store_dwordx4 v[37:38], v[9:12], off offset:16
	global_store_dwordx4 v[37:38], v[13:16], off offset:32
	;; [unrolled: 1-line block ×3, first 2 shown]
	s_endpgm
	.section	.rodata,"a",@progbits
	.p2align	6, 0x0
	.amdhsa_kernel _ZN9rocsparseL18bsrxmvn_4x4_kernelILj128ELj4E21rocsparse_complex_numIdElidS2_S2_EEvT3_20rocsparse_direction_NS_24const_host_device_scalarIT1_EES3_PKS3_PKT2_SC_S9_PKT4_PKT5_S7_PT6_21rocsparse_index_base_b
		.amdhsa_group_segment_fixed_size 0
		.amdhsa_private_segment_fixed_size 0
		.amdhsa_kernarg_size 112
		.amdhsa_user_sgpr_count 6
		.amdhsa_user_sgpr_private_segment_buffer 1
		.amdhsa_user_sgpr_dispatch_ptr 0
		.amdhsa_user_sgpr_queue_ptr 0
		.amdhsa_user_sgpr_kernarg_segment_ptr 1
		.amdhsa_user_sgpr_dispatch_id 0
		.amdhsa_user_sgpr_flat_scratch_init 0
		.amdhsa_user_sgpr_private_segment_size 0
		.amdhsa_wavefront_size32 1
		.amdhsa_uses_dynamic_stack 0
		.amdhsa_system_sgpr_private_segment_wavefront_offset 0
		.amdhsa_system_sgpr_workgroup_id_x 1
		.amdhsa_system_sgpr_workgroup_id_y 0
		.amdhsa_system_sgpr_workgroup_id_z 0
		.amdhsa_system_sgpr_workgroup_info 0
		.amdhsa_system_vgpr_workitem_id 0
		.amdhsa_next_free_vgpr 156
		.amdhsa_next_free_sgpr 16
		.amdhsa_reserve_vcc 1
		.amdhsa_reserve_flat_scratch 0
		.amdhsa_float_round_mode_32 0
		.amdhsa_float_round_mode_16_64 0
		.amdhsa_float_denorm_mode_32 3
		.amdhsa_float_denorm_mode_16_64 3
		.amdhsa_dx10_clamp 1
		.amdhsa_ieee_mode 1
		.amdhsa_fp16_overflow 0
		.amdhsa_workgroup_processor_mode 1
		.amdhsa_memory_ordered 1
		.amdhsa_forward_progress 1
		.amdhsa_shared_vgpr_count 0
		.amdhsa_exception_fp_ieee_invalid_op 0
		.amdhsa_exception_fp_denorm_src 0
		.amdhsa_exception_fp_ieee_div_zero 0
		.amdhsa_exception_fp_ieee_overflow 0
		.amdhsa_exception_fp_ieee_underflow 0
		.amdhsa_exception_fp_ieee_inexact 0
		.amdhsa_exception_int_div_zero 0
	.end_amdhsa_kernel
	.section	.text._ZN9rocsparseL18bsrxmvn_4x4_kernelILj128ELj4E21rocsparse_complex_numIdElidS2_S2_EEvT3_20rocsparse_direction_NS_24const_host_device_scalarIT1_EES3_PKS3_PKT2_SC_S9_PKT4_PKT5_S7_PT6_21rocsparse_index_base_b,"axG",@progbits,_ZN9rocsparseL18bsrxmvn_4x4_kernelILj128ELj4E21rocsparse_complex_numIdElidS2_S2_EEvT3_20rocsparse_direction_NS_24const_host_device_scalarIT1_EES3_PKS3_PKT2_SC_S9_PKT4_PKT5_S7_PT6_21rocsparse_index_base_b,comdat
.Lfunc_end140:
	.size	_ZN9rocsparseL18bsrxmvn_4x4_kernelILj128ELj4E21rocsparse_complex_numIdElidS2_S2_EEvT3_20rocsparse_direction_NS_24const_host_device_scalarIT1_EES3_PKS3_PKT2_SC_S9_PKT4_PKT5_S7_PT6_21rocsparse_index_base_b, .Lfunc_end140-_ZN9rocsparseL18bsrxmvn_4x4_kernelILj128ELj4E21rocsparse_complex_numIdElidS2_S2_EEvT3_20rocsparse_direction_NS_24const_host_device_scalarIT1_EES3_PKS3_PKT2_SC_S9_PKT4_PKT5_S7_PT6_21rocsparse_index_base_b
                                        ; -- End function
	.set _ZN9rocsparseL18bsrxmvn_4x4_kernelILj128ELj4E21rocsparse_complex_numIdElidS2_S2_EEvT3_20rocsparse_direction_NS_24const_host_device_scalarIT1_EES3_PKS3_PKT2_SC_S9_PKT4_PKT5_S7_PT6_21rocsparse_index_base_b.num_vgpr, 156
	.set _ZN9rocsparseL18bsrxmvn_4x4_kernelILj128ELj4E21rocsparse_complex_numIdElidS2_S2_EEvT3_20rocsparse_direction_NS_24const_host_device_scalarIT1_EES3_PKS3_PKT2_SC_S9_PKT4_PKT5_S7_PT6_21rocsparse_index_base_b.num_agpr, 0
	.set _ZN9rocsparseL18bsrxmvn_4x4_kernelILj128ELj4E21rocsparse_complex_numIdElidS2_S2_EEvT3_20rocsparse_direction_NS_24const_host_device_scalarIT1_EES3_PKS3_PKT2_SC_S9_PKT4_PKT5_S7_PT6_21rocsparse_index_base_b.numbered_sgpr, 16
	.set _ZN9rocsparseL18bsrxmvn_4x4_kernelILj128ELj4E21rocsparse_complex_numIdElidS2_S2_EEvT3_20rocsparse_direction_NS_24const_host_device_scalarIT1_EES3_PKS3_PKT2_SC_S9_PKT4_PKT5_S7_PT6_21rocsparse_index_base_b.num_named_barrier, 0
	.set _ZN9rocsparseL18bsrxmvn_4x4_kernelILj128ELj4E21rocsparse_complex_numIdElidS2_S2_EEvT3_20rocsparse_direction_NS_24const_host_device_scalarIT1_EES3_PKS3_PKT2_SC_S9_PKT4_PKT5_S7_PT6_21rocsparse_index_base_b.private_seg_size, 0
	.set _ZN9rocsparseL18bsrxmvn_4x4_kernelILj128ELj4E21rocsparse_complex_numIdElidS2_S2_EEvT3_20rocsparse_direction_NS_24const_host_device_scalarIT1_EES3_PKS3_PKT2_SC_S9_PKT4_PKT5_S7_PT6_21rocsparse_index_base_b.uses_vcc, 1
	.set _ZN9rocsparseL18bsrxmvn_4x4_kernelILj128ELj4E21rocsparse_complex_numIdElidS2_S2_EEvT3_20rocsparse_direction_NS_24const_host_device_scalarIT1_EES3_PKS3_PKT2_SC_S9_PKT4_PKT5_S7_PT6_21rocsparse_index_base_b.uses_flat_scratch, 0
	.set _ZN9rocsparseL18bsrxmvn_4x4_kernelILj128ELj4E21rocsparse_complex_numIdElidS2_S2_EEvT3_20rocsparse_direction_NS_24const_host_device_scalarIT1_EES3_PKS3_PKT2_SC_S9_PKT4_PKT5_S7_PT6_21rocsparse_index_base_b.has_dyn_sized_stack, 0
	.set _ZN9rocsparseL18bsrxmvn_4x4_kernelILj128ELj4E21rocsparse_complex_numIdElidS2_S2_EEvT3_20rocsparse_direction_NS_24const_host_device_scalarIT1_EES3_PKS3_PKT2_SC_S9_PKT4_PKT5_S7_PT6_21rocsparse_index_base_b.has_recursion, 0
	.set _ZN9rocsparseL18bsrxmvn_4x4_kernelILj128ELj4E21rocsparse_complex_numIdElidS2_S2_EEvT3_20rocsparse_direction_NS_24const_host_device_scalarIT1_EES3_PKS3_PKT2_SC_S9_PKT4_PKT5_S7_PT6_21rocsparse_index_base_b.has_indirect_call, 0
	.section	.AMDGPU.csdata,"",@progbits
; Kernel info:
; codeLenInByte = 10252
; TotalNumSgprs: 18
; NumVgprs: 156
; ScratchSize: 0
; MemoryBound: 0
; FloatMode: 240
; IeeeMode: 1
; LDSByteSize: 0 bytes/workgroup (compile time only)
; SGPRBlocks: 0
; VGPRBlocks: 19
; NumSGPRsForWavesPerEU: 18
; NumVGPRsForWavesPerEU: 156
; Occupancy: 6
; WaveLimiterHint : 1
; COMPUTE_PGM_RSRC2:SCRATCH_EN: 0
; COMPUTE_PGM_RSRC2:USER_SGPR: 6
; COMPUTE_PGM_RSRC2:TRAP_HANDLER: 0
; COMPUTE_PGM_RSRC2:TGID_X_EN: 1
; COMPUTE_PGM_RSRC2:TGID_Y_EN: 0
; COMPUTE_PGM_RSRC2:TGID_Z_EN: 0
; COMPUTE_PGM_RSRC2:TIDIG_COMP_CNT: 0
	.section	.text._ZN9rocsparseL18bsrxmvn_4x4_kernelILj128ELj8E21rocsparse_complex_numIdElidS2_S2_EEvT3_20rocsparse_direction_NS_24const_host_device_scalarIT1_EES3_PKS3_PKT2_SC_S9_PKT4_PKT5_S7_PT6_21rocsparse_index_base_b,"axG",@progbits,_ZN9rocsparseL18bsrxmvn_4x4_kernelILj128ELj8E21rocsparse_complex_numIdElidS2_S2_EEvT3_20rocsparse_direction_NS_24const_host_device_scalarIT1_EES3_PKS3_PKT2_SC_S9_PKT4_PKT5_S7_PT6_21rocsparse_index_base_b,comdat
	.globl	_ZN9rocsparseL18bsrxmvn_4x4_kernelILj128ELj8E21rocsparse_complex_numIdElidS2_S2_EEvT3_20rocsparse_direction_NS_24const_host_device_scalarIT1_EES3_PKS3_PKT2_SC_S9_PKT4_PKT5_S7_PT6_21rocsparse_index_base_b ; -- Begin function _ZN9rocsparseL18bsrxmvn_4x4_kernelILj128ELj8E21rocsparse_complex_numIdElidS2_S2_EEvT3_20rocsparse_direction_NS_24const_host_device_scalarIT1_EES3_PKS3_PKT2_SC_S9_PKT4_PKT5_S7_PT6_21rocsparse_index_base_b
	.p2align	8
	.type	_ZN9rocsparseL18bsrxmvn_4x4_kernelILj128ELj8E21rocsparse_complex_numIdElidS2_S2_EEvT3_20rocsparse_direction_NS_24const_host_device_scalarIT1_EES3_PKS3_PKT2_SC_S9_PKT4_PKT5_S7_PT6_21rocsparse_index_base_b,@function
_ZN9rocsparseL18bsrxmvn_4x4_kernelILj128ELj8E21rocsparse_complex_numIdElidS2_S2_EEvT3_20rocsparse_direction_NS_24const_host_device_scalarIT1_EES3_PKS3_PKT2_SC_S9_PKT4_PKT5_S7_PT6_21rocsparse_index_base_b: ; @_ZN9rocsparseL18bsrxmvn_4x4_kernelILj128ELj8E21rocsparse_complex_numIdElidS2_S2_EEvT3_20rocsparse_direction_NS_24const_host_device_scalarIT1_EES3_PKS3_PKT2_SC_S9_PKT4_PKT5_S7_PT6_21rocsparse_index_base_b
; %bb.0:
	s_clause 0x1
	s_load_dwordx2 s[2:3], s[4:5], 0x68
	s_load_dwordx2 s[0:1], s[4:5], 0x8
	s_add_u32 s7, s4, 8
	s_addc_u32 s10, s5, 0
	s_add_u32 s11, s4, 0x50
	s_addc_u32 s12, s5, 0
	s_load_dwordx2 s[8:9], s[4:5], 0x50
	s_waitcnt lgkmcnt(0)
	s_bitcmp1_b32 s3, 0
	s_cselect_b32 s0, s7, s0
	s_cselect_b32 s1, s10, s1
	v_mov_b32_e32 v1, s0
	v_mov_b32_e32 v2, s1
	s_cselect_b32 s0, s11, s8
	s_cselect_b32 s1, s12, s9
	flat_load_dwordx4 v[5:8], v[1:2]
	v_mov_b32_e32 v1, s0
	v_mov_b32_e32 v2, s1
	flat_load_dwordx4 v[1:4], v[1:2]
	s_waitcnt vmcnt(1) lgkmcnt(1)
	v_cmp_eq_f64_e32 vcc_lo, 0, v[5:6]
	v_cmp_eq_f64_e64 s0, 0, v[7:8]
	s_and_b32 s3, vcc_lo, s0
	s_mov_b32 s0, -1
	s_and_saveexec_b32 s1, s3
	s_cbranch_execz .LBB141_2
; %bb.1:
	s_waitcnt vmcnt(0) lgkmcnt(0)
	v_cmp_neq_f64_e32 vcc_lo, 1.0, v[1:2]
	v_cmp_neq_f64_e64 s0, 0, v[3:4]
	s_or_b32 s0, vcc_lo, s0
	s_orn2_b32 s0, s0, exec_lo
.LBB141_2:
	s_or_b32 exec_lo, exec_lo, s1
	s_and_saveexec_b32 s1, s0
	s_cbranch_execz .LBB141_8
; %bb.3:
	s_clause 0x1
	s_load_dwordx2 s[8:9], s[4:5], 0x20
	s_load_dwordx2 s[0:1], s[4:5], 0x0
	v_lshrrev_b32_e32 v9, 3, v0
	v_lshl_or_b32 v65, s6, 4, v9
	s_waitcnt lgkmcnt(0)
	s_cmp_lg_u64 s[8:9], 0
	s_cbranch_scc0 .LBB141_9
; %bb.4:
	s_load_dword s3, s[4:5], 0x18
	s_mov_b32 s6, 0
                                        ; implicit-def: $vgpr9
	s_waitcnt lgkmcnt(0)
	v_cmp_gt_i32_e32 vcc_lo, s3, v65
	s_mov_b32 s3, 0
	s_and_saveexec_b32 s7, vcc_lo
	s_xor_b32 s7, exec_lo, s7
	s_cbranch_execz .LBB141_6
; %bb.5:
	v_ashrrev_i32_e32 v66, 31, v65
	s_mov_b32 s3, exec_lo
	v_lshlrev_b64 v[9:10], 2, v[65:66]
	v_add_co_u32 v9, vcc_lo, s8, v9
	v_add_co_ci_u32_e64 v10, null, s9, v10, vcc_lo
	global_load_dword v9, v[9:10], off
	s_waitcnt vmcnt(0)
	v_subrev_nc_u32_e32 v9, s2, v9
.LBB141_6:
	s_or_b32 exec_lo, exec_lo, s7
	s_and_b32 vcc_lo, exec_lo, s6
	s_cbranch_vccz .LBB141_10
.LBB141_7:
	v_cmp_gt_i32_e32 vcc_lo, s0, v65
	s_andn2_b32 s0, s3, exec_lo
	s_and_b32 s3, vcc_lo, exec_lo
	s_or_b32 s3, s0, s3
	s_and_b32 exec_lo, exec_lo, s3
	s_cbranch_execnz .LBB141_11
.LBB141_8:
	s_endpgm
.LBB141_9:
	s_mov_b32 s3, 0
                                        ; implicit-def: $vgpr9
	s_cbranch_execnz .LBB141_7
.LBB141_10:
	v_mov_b32_e32 v65, v9
	s_and_b32 exec_lo, exec_lo, s3
	s_cbranch_execz .LBB141_8
.LBB141_11:
	s_load_dwordx8 s[8:15], s[4:5], 0x28
	v_ashrrev_i32_e32 v66, 31, v65
	v_and_b32_e32 v0, 7, v0
	s_load_dwordx2 s[6:7], s[4:5], 0x48
	v_lshlrev_b64 v[9:10], 3, v[65:66]
	s_waitcnt lgkmcnt(0)
	v_add_co_u32 v11, vcc_lo, s8, v9
	v_add_co_ci_u32_e64 v12, null, s9, v10, vcc_lo
	v_add_co_u32 v9, vcc_lo, s10, v9
	v_add_co_ci_u32_e64 v10, null, s11, v10, vcc_lo
	;; [unrolled: 2-line block ×3, first 2 shown]
	global_load_dwordx2 v[88:89], v[11:12], off
	s_cmp_eq_u64 s[10:11], 0
	s_cselect_b32 vcc_lo, -1, 0
	s_cmp_eq_u32 s1, 1
	v_cndmask_b32_e32 v10, v10, v14, vcc_lo
	v_cndmask_b32_e32 v9, v9, v13, vcc_lo
	global_load_dwordx2 v[9:10], v[9:10], off
	s_waitcnt vmcnt(1)
	v_sub_co_u32 v11, vcc_lo, v88, s2
	v_subrev_co_ci_u32_e64 v12, null, 0, v89, vcc_lo
	v_add_co_u32 v66, vcc_lo, v11, v0
	v_add_co_ci_u32_e64 v67, null, 0, v12, vcc_lo
	s_waitcnt vmcnt(0)
	v_sub_co_u32 v68, vcc_lo, v9, s2
	v_subrev_co_ci_u32_e64 v69, null, 0, v10, vcc_lo
	v_lshlrev_b64 v[9:10], 7, v[66:67]
	v_cmp_lt_i64_e64 s0, v[66:67], v[68:69]
	v_add_co_u32 v70, vcc_lo, s14, v9
	v_add_co_ci_u32_e64 v71, null, s15, v10, vcc_lo
	s_cbranch_scc1 .LBB141_23
; %bb.12:
	v_mov_b32_e32 v72, 0
	v_mov_b32_e32 v76, 0
	;; [unrolled: 1-line block ×16, first 2 shown]
	s_and_saveexec_b32 s3, s0
	s_cbranch_execz .LBB141_22
; %bb.13:
	v_or_b32_e32 v9, 8, v0
	v_not_b32_e32 v13, v88
	v_not_b32_e32 v11, v89
	v_mov_b32_e32 v74, 0
	v_mov_b32_e32 v80, 0
	v_sub_co_u32 v9, s1, v9, s2
	v_sub_co_ci_u32_e64 v10, null, 0, 0, s1
	v_sub_co_u32 v14, s1, s2, v0
	v_add_co_u32 v9, vcc_lo, v9, v88
	v_add_co_ci_u32_e64 v10, null, v10, v89, vcc_lo
	v_sub_co_ci_u32_e64 v15, null, 0, 0, s1
	v_add_co_u32 v13, s1, v14, v13
	v_cmp_gt_i64_e32 vcc_lo, v[9:10], v[68:69]
	v_add_co_ci_u32_e64 v11, null, v15, v11, s1
	v_mov_b32_e32 v82, 0
	v_mov_b32_e32 v84, 0
	;; [unrolled: 1-line block ×3, first 2 shown]
	v_cndmask_b32_e32 v9, v68, v9, vcc_lo
	v_cndmask_b32_e32 v10, v69, v10, vcc_lo
	v_mov_b32_e32 v78, 0
	v_mov_b32_e32 v76, 0
	;; [unrolled: 1-line block ×3, first 2 shown]
	v_add_co_u32 v9, vcc_lo, v13, v9
	v_mov_b32_e32 v93, v71
	v_mov_b32_e32 v91, v67
	;; [unrolled: 1-line block ×7, first 2 shown]
	v_add_co_ci_u32_e64 v10, null, v11, v10, vcc_lo
	v_and_b32_e32 v11, 24, v9
	v_mov_b32_e32 v87, 0
	v_mov_b32_e32 v79, 0
	;; [unrolled: 1-line block ×6, first 2 shown]
	s_mov_b32 s8, exec_lo
	v_cmpx_ne_u64_e32 24, v[11:12]
	s_cbranch_execz .LBB141_17
; %bb.14:
	v_lshrrev_b32_e32 v13, 3, v9
	v_lshlrev_b64 v[11:12], 2, v[66:67]
	v_mov_b32_e32 v72, 0
	v_mov_b32_e32 v91, v67
	;; [unrolled: 1-line block ×3, first 2 shown]
	v_add_nc_u32_e32 v13, 1, v13
	v_mov_b32_e32 v78, 0
	v_add_co_u32 v11, vcc_lo, s12, v11
	v_mov_b32_e32 v86, 0
	v_and_b32_e32 v13, 3, v13
	v_mov_b32_e32 v84, 0
	v_mov_b32_e32 v82, 0
	v_mov_b32_e32 v80, 0
	v_mov_b32_e32 v74, 0
	v_sub_co_u32 v13, s1, 0, v13
	v_mov_b32_e32 v93, v71
	v_mov_b32_e32 v73, 0
	;; [unrolled: 1-line block ×5, first 2 shown]
	v_add_co_ci_u32_e64 v12, null, s13, v12, vcc_lo
	v_sub_co_ci_u32_e64 v14, null, 0, 0, s1
	v_mov_b32_e32 v87, 0
	v_mov_b32_e32 v85, 0
	;; [unrolled: 1-line block ×6, first 2 shown]
	s_mov_b32 s9, 0
.LBB141_15:                             ; =>This Inner Loop Header: Depth=1
	global_load_dword v43, v[11:12], off
	s_clause 0x6
	global_load_dwordx4 v[15:18], v[92:93], off offset:48
	global_load_dwordx4 v[19:22], v[92:93], off offset:32
	;; [unrolled: 1-line block ×3, first 2 shown]
	global_load_dwordx4 v[27:30], v[92:93], off
	global_load_dwordx4 v[31:34], v[92:93], off offset:112
	global_load_dwordx4 v[35:38], v[92:93], off offset:96
	;; [unrolled: 1-line block ×3, first 2 shown]
	v_add_co_u32 v11, s1, v11, 32
	v_add_co_ci_u32_e64 v12, null, 0, v12, s1
	s_waitcnt vmcnt(7)
	v_subrev_nc_u32_e32 v43, s2, v43
	v_lshlrev_b32_e32 v43, 2, v43
	v_ashrrev_i32_e32 v44, 31, v43
	v_lshlrev_b64 v[43:44], 4, v[43:44]
	v_add_co_u32 v59, vcc_lo, s6, v43
	v_add_co_ci_u32_e64 v60, null, s7, v44, vcc_lo
	s_clause 0x1
	global_load_dwordx4 v[43:46], v[59:60], off
	global_load_dwordx4 v[47:50], v[59:60], off offset:16
	global_load_dwordx4 v[51:54], v[92:93], off offset:80
	s_clause 0x1
	global_load_dwordx4 v[55:58], v[59:60], off offset:32
	global_load_dwordx4 v[59:62], v[59:60], off offset:48
	v_add_co_u32 v92, vcc_lo, 0x400, v92
	v_add_co_ci_u32_e64 v93, null, 0, v93, vcc_lo
	v_add_co_u32 v13, vcc_lo, v13, 1
	v_add_co_ci_u32_e64 v14, null, 0, v14, vcc_lo
	;; [unrolled: 2-line block ×3, first 2 shown]
	v_cmp_eq_u64_e32 vcc_lo, 0, v[13:14]
	s_or_b32 s9, vcc_lo, s9
	s_waitcnt vmcnt(4)
	v_fma_f64 v[63:64], v[27:28], v[43:44], v[76:77]
	v_fma_f64 v[72:73], v[43:44], 0, v[72:73]
	v_fma_f64 v[76:77], v[19:20], v[43:44], v[86:87]
	v_fma_f64 v[78:79], v[43:44], 0, v[78:79]
	v_fma_f64 v[82:83], v[39:40], v[43:44], v[82:83]
	v_fma_f64 v[84:85], v[43:44], 0, v[84:85]
	v_fma_f64 v[74:75], v[35:36], v[43:44], v[74:75]
	v_fma_f64 v[43:44], v[43:44], 0, v[80:81]
	v_fma_f64 v[63:64], 0x80000000, v[45:46], v[63:64]
	v_fma_f64 v[27:28], v[27:28], v[45:46], v[72:73]
	v_fma_f64 v[72:73], 0x80000000, v[45:46], v[76:77]
	v_fma_f64 v[19:20], v[19:20], v[45:46], v[78:79]
	v_fma_f64 v[76:77], 0x80000000, v[45:46], v[82:83]
	v_fma_f64 v[39:40], v[39:40], v[45:46], v[84:85]
	v_fma_f64 v[74:75], 0x80000000, v[45:46], v[74:75]
	v_fma_f64 v[35:36], v[35:36], v[45:46], v[43:44]
	s_waitcnt vmcnt(3)
	v_fma_f64 v[43:44], v[29:30], v[47:48], v[63:64]
	v_fma_f64 v[27:28], v[47:48], 0, v[27:28]
	v_fma_f64 v[45:46], v[21:22], v[47:48], v[72:73]
	v_fma_f64 v[19:20], v[47:48], 0, v[19:20]
	v_fma_f64 v[63:64], v[41:42], v[47:48], v[76:77]
	v_fma_f64 v[39:40], v[47:48], 0, v[39:40]
	v_fma_f64 v[72:73], v[37:38], v[47:48], v[74:75]
	v_fma_f64 v[35:36], v[47:48], 0, v[35:36]
	v_fma_f64 v[43:44], 0x80000000, v[49:50], v[43:44]
	v_fma_f64 v[27:28], v[29:30], v[49:50], v[27:28]
	v_fma_f64 v[29:30], 0x80000000, v[49:50], v[45:46]
	v_fma_f64 v[19:20], v[21:22], v[49:50], v[19:20]
	v_fma_f64 v[21:22], 0x80000000, v[49:50], v[63:64]
	v_fma_f64 v[39:40], v[41:42], v[49:50], v[39:40]
	v_fma_f64 v[41:42], 0x80000000, v[49:50], v[72:73]
	v_fma_f64 v[35:36], v[37:38], v[49:50], v[35:36]
	s_waitcnt vmcnt(1)
	v_fma_f64 v[37:38], v[23:24], v[55:56], v[43:44]
	v_fma_f64 v[27:28], v[55:56], 0, v[27:28]
	v_fma_f64 v[29:30], v[15:16], v[55:56], v[29:30]
	v_fma_f64 v[19:20], v[55:56], 0, v[19:20]
	v_fma_f64 v[21:22], v[51:52], v[55:56], v[21:22]
	v_fma_f64 v[39:40], v[55:56], 0, v[39:40]
	v_fma_f64 v[41:42], v[31:32], v[55:56], v[41:42]
	v_fma_f64 v[35:36], v[55:56], 0, v[35:36]
	v_fma_f64 v[37:38], 0x80000000, v[57:58], v[37:38]
	v_fma_f64 v[23:24], v[23:24], v[57:58], v[27:28]
	v_fma_f64 v[27:28], 0x80000000, v[57:58], v[29:30]
	v_fma_f64 v[15:16], v[15:16], v[57:58], v[19:20]
	v_fma_f64 v[19:20], 0x80000000, v[57:58], v[21:22]
	v_fma_f64 v[21:22], v[51:52], v[57:58], v[39:40]
	v_fma_f64 v[29:30], 0x80000000, v[57:58], v[41:42]
	v_fma_f64 v[31:32], v[31:32], v[57:58], v[35:36]
	s_waitcnt vmcnt(0)
	v_fma_f64 v[35:36], v[25:26], v[59:60], v[37:38]
	v_fma_f64 v[23:24], v[59:60], 0, v[23:24]
	v_fma_f64 v[27:28], v[17:18], v[59:60], v[27:28]
	v_fma_f64 v[15:16], v[59:60], 0, v[15:16]
	v_fma_f64 v[19:20], v[53:54], v[59:60], v[19:20]
	v_fma_f64 v[21:22], v[59:60], 0, v[21:22]
	v_fma_f64 v[29:30], v[33:34], v[59:60], v[29:30]
	v_fma_f64 v[31:32], v[59:60], 0, v[31:32]
	v_fma_f64 v[76:77], 0x80000000, v[61:62], v[35:36]
	v_fma_f64 v[72:73], v[25:26], v[61:62], v[23:24]
	v_fma_f64 v[86:87], 0x80000000, v[61:62], v[27:28]
	v_fma_f64 v[78:79], v[17:18], v[61:62], v[15:16]
	v_fma_f64 v[82:83], 0x80000000, v[61:62], v[19:20]
	v_fma_f64 v[84:85], v[53:54], v[61:62], v[21:22]
	v_fma_f64 v[74:75], 0x80000000, v[61:62], v[29:30]
	v_fma_f64 v[80:81], v[33:34], v[61:62], v[31:32]
	s_andn2_b32 exec_lo, exec_lo, s9
	s_cbranch_execnz .LBB141_15
; %bb.16:
	s_or_b32 exec_lo, exec_lo, s9
.LBB141_17:
	s_or_b32 exec_lo, exec_lo, s8
	s_mov_b32 s8, exec_lo
	v_cmpx_lt_u64_e32 23, v[9:10]
	s_cbranch_execz .LBB141_21
; %bb.18:
	v_lshlrev_b64 v[9:10], 2, v[90:91]
	s_mov_b32 s9, 0
	v_add_co_u32 v9, vcc_lo, s12, v9
	v_add_co_ci_u32_e64 v10, null, s13, v10, vcc_lo
	v_add_co_u32 v94, vcc_lo, v9, 64
	v_add_co_ci_u32_e64 v95, null, 0, v10, vcc_lo
.LBB141_19:                             ; =>This Inner Loop Header: Depth=1
	s_clause 0x1
	global_load_dword v98, v[94:95], off offset:-64
	global_load_dword v143, v[94:95], off offset:-32
	s_clause 0xd
	global_load_dwordx4 v[53:56], v[92:93], off offset:48
	global_load_dwordx4 v[99:102], v[92:93], off offset:32
	;; [unrolled: 1-line block ×3, first 2 shown]
	global_load_dwordx4 v[107:110], v[92:93], off
	global_load_dwordx4 v[45:48], v[92:93], off offset:112
	global_load_dwordx4 v[111:114], v[92:93], off offset:96
	;; [unrolled: 1-line block ×10, first 2 shown]
	v_add_co_u32 v96, vcc_lo, 0x800, v92
	v_add_co_ci_u32_e64 v97, null, 0, v93, vcc_lo
	s_clause 0x1
	global_load_dwordx4 v[57:60], v[92:93], off offset:1104
	global_load_dwordx4 v[119:122], v[92:93], off offset:1088
	s_clause 0x1
	global_load_dword v157, v[94:95], off
	global_load_dword v158, v[94:95], off offset:32
	s_clause 0x8
	global_load_dwordx4 v[33:36], v[96:97], off offset:48
	global_load_dwordx4 v[123:126], v[96:97], off offset:32
	global_load_dwordx4 v[127:130], v[96:97], off
	global_load_dwordx4 v[41:44], v[96:97], off offset:16
	global_load_dwordx4 v[61:64], v[96:97], off offset:112
	;; [unrolled: 1-line block ×6, first 2 shown]
	v_add_co_u32 v92, s1, 0x1000, v92
	v_add_co_ci_u32_e64 v93, null, 0, v93, s1
	s_waitcnt vmcnt(28)
	v_subrev_nc_u32_e32 v98, s2, v98
	s_waitcnt vmcnt(27)
	v_subrev_nc_u32_e32 v144, s2, v143
	v_lshlrev_b32_e32 v143, 2, v98
	v_lshlrev_b32_e32 v145, 2, v144
	v_ashrrev_i32_e32 v144, 31, v143
	v_ashrrev_i32_e32 v146, 31, v145
	v_lshlrev_b64 v[143:144], 4, v[143:144]
	v_lshlrev_b64 v[145:146], 4, v[145:146]
	v_add_co_u32 v151, vcc_lo, s6, v143
	v_add_co_ci_u32_e64 v152, null, s7, v144, vcc_lo
	v_add_co_u32 v153, vcc_lo, s6, v145
	v_add_co_ci_u32_e64 v154, null, s7, v146, vcc_lo
	s_clause 0x1
	global_load_dwordx4 v[143:146], v[151:152], off
	global_load_dwordx4 v[147:150], v[151:152], off offset:16
	s_waitcnt vmcnt(1)
	v_fma_f64 v[72:73], v[143:144], 0, v[72:73]
	v_fma_f64 v[76:77], v[107:108], v[143:144], v[76:77]
	v_fma_f64 v[78:79], v[143:144], 0, v[78:79]
	v_fma_f64 v[86:87], v[99:100], v[143:144], v[86:87]
	v_fma_f64 v[82:83], v[115:116], v[143:144], v[82:83]
	v_fma_f64 v[84:85], v[143:144], 0, v[84:85]
	v_fma_f64 v[74:75], v[111:112], v[143:144], v[74:75]
	v_fma_f64 v[80:81], v[143:144], 0, v[80:81]
	v_fma_f64 v[107:108], v[107:108], v[145:146], v[72:73]
	v_fma_f64 v[76:77], 0x80000000, v[145:146], v[76:77]
	v_fma_f64 v[98:99], v[99:100], v[145:146], v[78:79]
	v_fma_f64 v[86:87], 0x80000000, v[145:146], v[86:87]
	v_fma_f64 v[143:144], 0x80000000, v[145:146], v[82:83]
	v_fma_f64 v[84:85], v[115:116], v[145:146], v[84:85]
	v_fma_f64 v[115:116], 0x80000000, v[145:146], v[74:75]
	v_fma_f64 v[111:112], v[111:112], v[145:146], v[80:81]
	global_load_dwordx4 v[72:75], v[96:97], off offset:1056
	s_waitcnt vmcnt(1)
	v_fma_f64 v[78:79], v[147:148], 0, v[107:108]
	v_fma_f64 v[107:108], v[109:110], v[147:148], v[76:77]
	;; [unrolled: 1-line block ×8, first 2 shown]
	global_load_dwordx4 v[76:79], v[151:152], off offset:32
	v_fma_f64 v[155:156], v[101:102], v[149:150], v[80:81]
	global_load_dwordx4 v[80:83], v[151:152], off offset:48
	v_fma_f64 v[109:110], v[101:102], v[147:148], v[86:87]
	v_fma_f64 v[117:118], v[117:118], v[149:150], v[84:85]
	global_load_dwordx4 v[84:87], v[153:154], off
	v_fma_f64 v[113:114], v[113:114], v[149:150], v[98:99]
	global_load_dwordx4 v[98:101], v[153:154], off offset:16
	v_fma_f64 v[115:116], 0x80000000, v[149:150], v[107:108]
	v_fma_f64 v[143:144], 0x80000000, v[149:150], v[143:144]
	;; [unrolled: 1-line block ×4, first 2 shown]
	global_load_dwordx4 v[107:110], v[153:154], off offset:32
	s_waitcnt vmcnt(4)
	v_fma_f64 v[145:146], v[76:77], 0, v[145:146]
	v_fma_f64 v[115:116], v[103:104], v[76:77], v[115:116]
	v_fma_f64 v[147:148], v[53:54], v[76:77], v[147:148]
	v_fma_f64 v[149:150], v[76:77], 0, v[155:156]
	v_fma_f64 v[143:144], v[49:50], v[76:77], v[143:144]
	v_fma_f64 v[117:118], v[76:77], 0, v[117:118]
	v_fma_f64 v[111:112], v[45:46], v[76:77], v[111:112]
	v_fma_f64 v[76:77], v[76:77], 0, v[113:114]
	v_fma_f64 v[102:103], v[103:104], v[78:79], v[145:146]
	v_fma_f64 v[113:114], 0x80000000, v[78:79], v[115:116]
	v_subrev_nc_u32_e32 v104, s2, v157
	v_fma_f64 v[53:54], v[53:54], v[78:79], v[149:150]
	v_fma_f64 v[115:116], 0x80000000, v[78:79], v[147:148]
	;; [unrolled: 1-line block ×4, first 2 shown]
	v_lshlrev_b32_e32 v117, 2, v104
	v_fma_f64 v[45:46], v[45:46], v[78:79], v[76:77]
	v_fma_f64 v[111:112], 0x80000000, v[78:79], v[111:112]
	global_load_dwordx4 v[76:79], v[96:97], off offset:1040
	v_ashrrev_i32_e32 v118, 31, v117
	v_lshlrev_b64 v[117:118], 4, v[117:118]
	s_waitcnt vmcnt(4)
	v_fma_f64 v[102:103], v[80:81], 0, v[102:103]
	v_fma_f64 v[113:114], v[105:106], v[80:81], v[113:114]
	v_add_co_u32 v117, vcc_lo, s6, v117
	v_fma_f64 v[53:54], v[80:81], 0, v[53:54]
	v_add_co_ci_u32_e64 v118, null, s7, v118, vcc_lo
	v_fma_f64 v[115:116], v[55:56], v[80:81], v[115:116]
	v_fma_f64 v[45:46], v[80:81], 0, v[45:46]
	;; [unrolled: 1-line block ×6, first 2 shown]
	global_load_dwordx4 v[102:105], v[153:154], off offset:48
	v_fma_f64 v[113:114], 0x80000000, v[82:83], v[113:114]
	v_subrev_nc_u32_e32 v106, s2, v158
	v_fma_f64 v[147:148], v[55:56], v[82:83], v[53:54]
	global_load_dwordx4 v[53:56], v[117:118], off
	v_fma_f64 v[115:116], 0x80000000, v[82:83], v[115:116]
	v_fma_f64 v[111:112], v[47:48], v[82:83], v[45:46]
	global_load_dwordx4 v[45:48], v[117:118], off offset:16
	v_fma_f64 v[149:150], v[51:52], v[82:83], v[49:50]
	v_fma_f64 v[143:144], 0x80000000, v[82:83], v[143:144]
	;; [unrolled: 1-line block ×3, first 2 shown]
	global_load_dwordx4 v[80:83], v[117:118], off offset:32
	global_load_dwordx4 v[49:52], v[96:97], off offset:1024
	s_waitcnt vmcnt(8)
	v_fma_f64 v[145:146], v[84:85], 0, v[145:146]
	v_fma_f64 v[113:114], v[29:30], v[84:85], v[113:114]
	;; [unrolled: 1-line block ×8, first 2 shown]
	v_lshlrev_b32_e32 v111, 2, v106
	v_ashrrev_i32_e32 v112, 31, v111
	v_fma_f64 v[29:30], v[29:30], v[86:87], v[145:146]
	v_lshlrev_b64 v[111:112], 4, v[111:112]
	v_fma_f64 v[153:154], 0x80000000, v[86:87], v[113:114]
	v_fma_f64 v[25:26], v[25:26], v[86:87], v[147:148]
	;; [unrolled: 1-line block ×3, first 2 shown]
	v_add_co_u32 v147, vcc_lo, s6, v111
	v_add_co_ci_u32_e64 v148, null, s7, v112, vcc_lo
	global_load_dwordx4 v[111:114], v[117:118], off offset:48
	v_fma_f64 v[143:144], 0x80000000, v[86:87], v[143:144]
	v_fma_f64 v[119:120], v[119:120], v[86:87], v[149:150]
	;; [unrolled: 1-line block ×4, first 2 shown]
	global_load_dwordx4 v[84:87], v[96:97], off offset:1120
	v_add_co_u32 v90, vcc_lo, v90, 32
	v_add_co_ci_u32_e64 v91, null, 0, v91, vcc_lo
	s_waitcnt vmcnt(9)
	v_fma_f64 v[29:30], v[98:99], 0, v[29:30]
	v_add_co_u32 v94, vcc_lo, 0x80, v94
	v_fma_f64 v[117:118], v[31:32], v[98:99], v[153:154]
	v_fma_f64 v[25:26], v[98:99], 0, v[25:26]
	v_add_co_ci_u32_e64 v95, null, 0, v95, vcc_lo
	v_fma_f64 v[115:116], v[27:28], v[98:99], v[115:116]
	v_cmp_ge_i64_e32 vcc_lo, v[90:91], v[68:69]
	v_fma_f64 v[143:144], v[121:122], v[98:99], v[143:144]
	v_fma_f64 v[119:120], v[98:99], 0, v[119:120]
	;; [unrolled: 1-line block ×4, first 2 shown]
	s_or_b32 s9, vcc_lo, s9
	v_fma_f64 v[149:150], v[31:32], v[100:101], v[29:30]
	global_load_dwordx4 v[29:32], v[96:97], off offset:1088
	v_fma_f64 v[98:99], 0x80000000, v[100:101], v[117:118]
	v_fma_f64 v[151:152], v[27:28], v[100:101], v[25:26]
	global_load_dwordx4 v[25:28], v[147:148], off
	v_fma_f64 v[115:116], 0x80000000, v[100:101], v[115:116]
	v_fma_f64 v[117:118], 0x80000000, v[100:101], v[143:144]
	;; [unrolled: 1-line block ×5, first 2 shown]
	global_load_dwordx4 v[21:24], v[147:148], off offset:16
	s_waitcnt vmcnt(11)
	v_fma_f64 v[143:144], v[107:108], 0, v[149:150]
	v_fma_f64 v[98:99], v[17:18], v[107:108], v[98:99]
	;; [unrolled: 1-line block ×16, first 2 shown]
	s_clause 0x1
	global_load_dwordx4 v[98:101], v[96:97], off offset:1136
	global_load_dwordx4 v[106:109], v[96:97], off offset:1104
	;; [unrolled: 1-line block ×3, first 2 shown]
	s_waitcnt vmcnt(12)
	v_fma_f64 v[96:97], v[19:20], v[102:103], v[149:150]
	v_fma_f64 v[17:18], v[102:103], 0, v[17:18]
	;; [unrolled: 1-line block ×16, first 2 shown]
	global_load_dwordx4 v[9:12], v[147:148], off offset:48
	s_waitcnt vmcnt(12)
	v_fma_f64 v[15:16], v[127:128], v[53:54], v[96:97]
	v_fma_f64 v[17:18], v[53:54], 0, v[17:18]
	v_fma_f64 v[19:20], v[123:124], v[53:54], v[19:20]
	v_fma_f64 v[96:97], v[53:54], 0, v[102:103]
	v_fma_f64 v[102:103], v[139:140], v[53:54], v[121:122]
	v_fma_f64 v[57:58], v[53:54], 0, v[57:58]
	v_fma_f64 v[59:60], v[131:132], v[53:54], v[59:60]
	v_fma_f64 v[13:14], v[53:54], 0, v[13:14]
	v_fma_f64 v[15:16], 0x80000000, v[55:56], v[15:16]
	v_fma_f64 v[17:18], v[127:128], v[55:56], v[17:18]
	v_fma_f64 v[19:20], 0x80000000, v[55:56], v[19:20]
	v_fma_f64 v[53:54], v[123:124], v[55:56], v[96:97]
	v_fma_f64 v[96:97], 0x80000000, v[55:56], v[102:103]
	v_fma_f64 v[57:58], v[139:140], v[55:56], v[57:58]
	v_fma_f64 v[59:60], 0x80000000, v[55:56], v[59:60]
	v_fma_f64 v[13:14], v[131:132], v[55:56], v[13:14]
	s_waitcnt vmcnt(11)
	v_fma_f64 v[15:16], v[129:130], v[45:46], v[15:16]
	v_fma_f64 v[17:18], v[45:46], 0, v[17:18]
	v_fma_f64 v[19:20], v[125:126], v[45:46], v[19:20]
	v_fma_f64 v[53:54], v[45:46], 0, v[53:54]
	v_fma_f64 v[55:56], v[141:142], v[45:46], v[96:97]
	v_fma_f64 v[57:58], v[45:46], 0, v[57:58]
	v_fma_f64 v[59:60], v[133:134], v[45:46], v[59:60]
	v_fma_f64 v[13:14], v[45:46], 0, v[13:14]
	v_fma_f64 v[15:16], 0x80000000, v[47:48], v[15:16]
	v_fma_f64 v[17:18], v[129:130], v[47:48], v[17:18]
	v_fma_f64 v[19:20], 0x80000000, v[47:48], v[19:20]
	v_fma_f64 v[45:46], v[125:126], v[47:48], v[53:54]
	v_fma_f64 v[53:54], 0x80000000, v[47:48], v[55:56]
	v_fma_f64 v[55:56], v[141:142], v[47:48], v[57:58]
	v_fma_f64 v[57:58], 0x80000000, v[47:48], v[59:60]
	v_fma_f64 v[13:14], v[133:134], v[47:48], v[13:14]
	;; [unrolled: 17-line block ×8, first 2 shown]
	s_andn2_b32 exec_lo, exec_lo, s9
	s_cbranch_execnz .LBB141_19
; %bb.20:
	s_or_b32 exec_lo, exec_lo, s9
.LBB141_21:
	s_or_b32 exec_lo, exec_lo, s8
.LBB141_22:
	s_or_b32 exec_lo, exec_lo, s3
	s_cbranch_execz .LBB141_24
	s_branch .LBB141_35
.LBB141_23:
                                        ; implicit-def: $vgpr72_vgpr73
                                        ; implicit-def: $vgpr76_vgpr77
                                        ; implicit-def: $vgpr78_vgpr79
                                        ; implicit-def: $vgpr86_vgpr87
                                        ; implicit-def: $vgpr84_vgpr85
                                        ; implicit-def: $vgpr82_vgpr83
                                        ; implicit-def: $vgpr80_vgpr81
                                        ; implicit-def: $vgpr74_vgpr75
.LBB141_24:
	v_mov_b32_e32 v72, 0
	v_mov_b32_e32 v76, 0
	;; [unrolled: 1-line block ×16, first 2 shown]
	s_and_saveexec_b32 s1, s0
	s_cbranch_execz .LBB141_34
; %bb.25:
	v_or_b32_e32 v9, 8, v0
	v_not_b32_e32 v13, v88
	v_not_b32_e32 v11, v89
	v_mov_b32_e32 v74, 0
	v_mov_b32_e32 v80, 0
	v_sub_co_u32 v9, s0, v9, s2
	v_sub_co_ci_u32_e64 v10, null, 0, 0, s0
	v_sub_co_u32 v14, s0, s2, v0
	v_add_co_u32 v9, vcc_lo, v9, v88
	v_add_co_ci_u32_e64 v10, null, v10, v89, vcc_lo
	v_sub_co_ci_u32_e64 v15, null, 0, 0, s0
	v_add_co_u32 v13, s0, v14, v13
	v_cmp_gt_i64_e32 vcc_lo, v[9:10], v[68:69]
	v_add_co_ci_u32_e64 v11, null, v15, v11, s0
	v_mov_b32_e32 v82, 0
	v_mov_b32_e32 v84, 0
	;; [unrolled: 1-line block ×3, first 2 shown]
	v_cndmask_b32_e32 v9, v68, v9, vcc_lo
	v_cndmask_b32_e32 v10, v69, v10, vcc_lo
	v_mov_b32_e32 v78, 0
	v_mov_b32_e32 v76, 0
	;; [unrolled: 1-line block ×3, first 2 shown]
	v_add_co_u32 v9, vcc_lo, v13, v9
	v_mov_b32_e32 v12, 0
	v_mov_b32_e32 v75, 0
	;; [unrolled: 1-line block ×4, first 2 shown]
	v_add_co_ci_u32_e64 v10, null, v11, v10, vcc_lo
	v_and_b32_e32 v11, 24, v9
	v_mov_b32_e32 v85, 0
	v_mov_b32_e32 v87, 0
	;; [unrolled: 1-line block ×5, first 2 shown]
	s_mov_b32 s3, exec_lo
	v_cmpx_ne_u64_e32 24, v[11:12]
	s_cbranch_execz .LBB141_29
; %bb.26:
	v_lshrrev_b32_e32 v13, 3, v9
	v_lshlrev_b64 v[11:12], 2, v[66:67]
	v_mov_b32_e32 v72, 0
	v_mov_b32_e32 v76, 0
	;; [unrolled: 1-line block ×3, first 2 shown]
	v_add_nc_u32_e32 v13, 1, v13
	v_mov_b32_e32 v86, 0
	v_add_co_u32 v11, vcc_lo, s12, v11
	v_mov_b32_e32 v84, 0
	v_and_b32_e32 v13, 3, v13
	v_mov_b32_e32 v82, 0
	v_mov_b32_e32 v80, 0
	;; [unrolled: 1-line block ×4, first 2 shown]
	v_sub_co_u32 v13, s0, 0, v13
	v_mov_b32_e32 v77, 0
	v_mov_b32_e32 v79, 0
	v_add_co_ci_u32_e64 v12, null, s13, v12, vcc_lo
	v_mov_b32_e32 v87, 0
	v_mov_b32_e32 v85, 0
	v_mov_b32_e32 v83, 0
	v_mov_b32_e32 v81, 0
	v_mov_b32_e32 v75, 0
	v_sub_co_ci_u32_e64 v14, null, 0, 0, s0
	s_mov_b32 s8, 0
.LBB141_27:                             ; =>This Inner Loop Header: Depth=1
	global_load_dword v23, v[11:12], off
	s_clause 0x1
	global_load_dwordx4 v[15:18], v[70:71], off offset:16
	global_load_dwordx4 v[19:22], v[70:71], off
	v_add_co_u32 v11, s0, v11, 32
	v_add_co_ci_u32_e64 v12, null, 0, v12, s0
	s_waitcnt vmcnt(2)
	v_subrev_nc_u32_e32 v23, s2, v23
	v_lshlrev_b32_e32 v23, 2, v23
	v_ashrrev_i32_e32 v24, 31, v23
	v_lshlrev_b64 v[23:24], 4, v[23:24]
	v_add_co_u32 v51, vcc_lo, s6, v23
	v_add_co_ci_u32_e64 v52, null, s7, v24, vcc_lo
	s_clause 0x1
	global_load_dwordx4 v[23:26], v[51:52], off
	global_load_dwordx4 v[27:30], v[51:52], off offset:16
	s_clause 0x3
	global_load_dwordx4 v[31:34], v[70:71], off offset:32
	global_load_dwordx4 v[35:38], v[70:71], off offset:48
	;; [unrolled: 1-line block ×4, first 2 shown]
	s_clause 0x1
	global_load_dwordx4 v[47:50], v[51:52], off offset:32
	global_load_dwordx4 v[51:54], v[51:52], off offset:48
	s_clause 0x1
	global_load_dwordx4 v[55:58], v[70:71], off offset:96
	global_load_dwordx4 v[59:62], v[70:71], off offset:112
	v_add_co_u32 v70, vcc_lo, 0x400, v70
	v_add_co_ci_u32_e64 v71, null, 0, v71, vcc_lo
	v_add_co_u32 v13, vcc_lo, v13, 1
	v_add_co_ci_u32_e64 v14, null, 0, v14, vcc_lo
	;; [unrolled: 2-line block ×3, first 2 shown]
	v_cmp_eq_u64_e32 vcc_lo, 0, v[13:14]
	s_or_b32 s8, vcc_lo, s8
	s_waitcnt vmcnt(9)
	v_fma_f64 v[63:64], v[19:20], v[23:24], v[76:77]
	v_fma_f64 v[72:73], v[23:24], 0, v[72:73]
	;; [unrolled: 1-line block ×16, first 2 shown]
	s_waitcnt vmcnt(7)
	v_fma_f64 v[23:24], v[31:32], v[27:28], v[63:64]
	v_fma_f64 v[19:20], v[27:28], 0, v[19:20]
	;; [unrolled: 1-line block ×4, first 2 shown]
	s_waitcnt vmcnt(6)
	v_fma_f64 v[63:64], v[35:36], v[27:28], v[76:77]
	v_fma_f64 v[15:16], v[27:28], 0, v[15:16]
	;; [unrolled: 1-line block ×12, first 2 shown]
	s_waitcnt vmcnt(3)
	v_fma_f64 v[23:24], v[43:44], v[47:48], v[23:24]
	v_fma_f64 v[19:20], v[47:48], 0, v[19:20]
	;; [unrolled: 1-line block ×16, first 2 shown]
	s_waitcnt vmcnt(1)
	v_fma_f64 v[23:24], v[55:56], v[51:52], v[23:24]
	v_fma_f64 v[19:20], v[51:52], 0, v[19:20]
	;; [unrolled: 1-line block ×4, first 2 shown]
	s_waitcnt vmcnt(0)
	v_fma_f64 v[27:28], v[59:60], v[51:52], v[27:28]
	v_fma_f64 v[15:16], v[51:52], 0, v[15:16]
	;; [unrolled: 1-line block ×12, first 2 shown]
	s_andn2_b32 exec_lo, exec_lo, s8
	s_cbranch_execnz .LBB141_27
; %bb.28:
	s_or_b32 exec_lo, exec_lo, s8
.LBB141_29:
	s_or_b32 exec_lo, exec_lo, s3
	s_mov_b32 s3, exec_lo
	v_cmpx_lt_u64_e32 23, v[9:10]
	s_cbranch_execz .LBB141_33
; %bb.30:
	v_lshlrev_b64 v[9:10], 2, v[66:67]
	s_mov_b32 s8, 0
	v_add_co_u32 v9, vcc_lo, s12, v9
	v_add_co_ci_u32_e64 v10, null, s13, v10, vcc_lo
	v_add_co_u32 v9, vcc_lo, v9, 64
	v_add_co_ci_u32_e64 v10, null, 0, v10, vcc_lo
.LBB141_31:                             ; =>This Inner Loop Header: Depth=1
	s_clause 0x1
	global_load_dword v51, v[9:10], off offset:-64
	global_load_dword v52, v[9:10], off offset:-32
	s_clause 0x9
	global_load_dwordx4 v[11:14], v[70:71], off offset:48
	global_load_dwordx4 v[15:18], v[70:71], off offset:32
	;; [unrolled: 1-line block ×3, first 2 shown]
	global_load_dwordx4 v[23:26], v[70:71], off
	global_load_dwordx4 v[27:30], v[70:71], off offset:112
	global_load_dwordx4 v[31:34], v[70:71], off offset:96
	;; [unrolled: 1-line block ×6, first 2 shown]
	s_clause 0x1
	global_load_dword v134, v[9:10], off
	global_load_dword v135, v[9:10], off offset:32
	s_waitcnt vmcnt(13)
	v_subrev_nc_u32_e32 v51, s2, v51
	s_waitcnt vmcnt(12)
	v_subrev_nc_u32_e32 v52, s2, v52
	v_lshlrev_b32_e32 v51, 2, v51
	v_lshlrev_b32_e32 v63, 2, v52
	v_ashrrev_i32_e32 v52, 31, v51
	v_ashrrev_i32_e32 v64, 31, v63
	s_waitcnt vmcnt(1)
	v_subrev_nc_u32_e32 v134, s2, v134
	v_lshlrev_b64 v[51:52], 4, v[51:52]
	v_lshlrev_b64 v[63:64], 4, v[63:64]
	v_add_co_u32 v88, vcc_lo, s6, v51
	v_add_co_ci_u32_e64 v89, null, s7, v52, vcc_lo
	v_add_co_u32 v63, vcc_lo, s6, v63
	v_add_co_ci_u32_e64 v64, null, s7, v64, vcc_lo
	s_clause 0x4
	global_load_dwordx4 v[51:54], v[88:89], off
	global_load_dwordx4 v[55:58], v[88:89], off offset:16
	global_load_dwordx4 v[59:62], v[88:89], off offset:32
	;; [unrolled: 1-line block ×3, first 2 shown]
	global_load_dwordx4 v[92:95], v[63:64], off
	s_clause 0x1
	global_load_dwordx4 v[96:99], v[70:71], off offset:1072
	global_load_dwordx4 v[100:103], v[70:71], off offset:1056
	v_add_co_u32 v128, vcc_lo, 0x800, v70
	v_add_co_ci_u32_e64 v129, null, 0, v71, vcc_lo
	s_clause 0x4
	global_load_dwordx4 v[104:107], v[70:71], off offset:1136
	global_load_dwordx4 v[108:111], v[70:71], off offset:1120
	;; [unrolled: 1-line block ×4, first 2 shown]
	global_load_dwordx4 v[120:123], v[128:129], off
	global_load_dwordx4 v[124:127], v[63:64], off offset:16
	v_add_co_u32 v70, s0, 0x1000, v70
	v_add_co_ci_u32_e64 v71, null, 0, v71, s0
	s_waitcnt vmcnt(12)
	v_fma_f64 v[72:73], v[51:52], 0, v[72:73]
	v_fma_f64 v[78:79], v[51:52], 0, v[78:79]
	;; [unrolled: 1-line block ×16, first 2 shown]
	global_load_dwordx4 v[51:54], v[63:64], off offset:32
	s_clause 0x1
	global_load_dwordx4 v[19:22], v[128:129], off offset:32
	global_load_dwordx4 v[23:26], v[128:129], off offset:48
	s_waitcnt vmcnt(14)
	v_fma_f64 v[72:73], v[55:56], 0, v[72:73]
	v_fma_f64 v[78:79], v[55:56], 0, v[78:79]
	;; [unrolled: 1-line block ×7, first 2 shown]
	global_load_dwordx4 v[72:75], v[63:64], off offset:48
	v_fma_f64 v[63:64], v[55:56], 0, v[84:85]
	v_fma_f64 v[55:56], v[13:14], v[55:56], v[86:87]
	;; [unrolled: 1-line block ×3, first 2 shown]
	global_load_dwordx4 v[15:18], v[128:129], off offset:16
	v_fma_f64 v[80:81], v[13:14], v[57:58], v[80:81]
	v_fma_f64 v[86:87], 0x80000000, v[57:58], v[130:131]
	;; [unrolled: 1-line block ×5, first 2 shown]
	v_lshlrev_b32_e32 v11, 2, v134
	v_fma_f64 v[55:56], 0x80000000, v[57:58], v[55:56]
	s_waitcnt vmcnt(15)
	v_fma_f64 v[57:58], v[59:60], 0, v[132:133]
	v_fma_f64 v[78:79], v[59:60], 0, v[78:79]
	;; [unrolled: 1-line block ×3, first 2 shown]
	v_ashrrev_i32_e32 v12, 31, v11
	v_fma_f64 v[76:77], v[41:42], v[59:60], v[76:77]
	v_lshlrev_b64 v[11:12], 4, v[11:12]
	v_add_co_u32 v84, vcc_lo, s6, v11
	v_add_co_ci_u32_e64 v85, null, s7, v12, vcc_lo
	global_load_dwordx4 v[11:14], v[84:85], off
	v_fma_f64 v[130:131], v[39:40], v[61:62], v[57:58]
	v_fma_f64 v[57:58], v[59:60], 0, v[63:64]
	;; [unrolled: 1-line block ×8, first 2 shown]
	global_load_dwordx4 v[39:42], v[128:129], off offset:112
	s_waitcnt vmcnt(16)
	v_fma_f64 v[86:87], v[88:89], 0, v[130:131]
	v_fma_f64 v[59:60], v[35:36], v[61:62], v[57:58]
	;; [unrolled: 1-line block ×5, first 2 shown]
	global_load_dwordx4 v[55:58], v[84:85], off offset:16
	v_fma_f64 v[78:79], v[88:89], 0, v[78:79]
	v_fma_f64 v[76:77], v[33:34], v[88:89], v[76:77]
	global_load_dwordx4 v[35:38], v[128:129], off offset:80
	v_fma_f64 v[82:83], v[31:32], v[88:89], v[82:83]
	v_fma_f64 v[86:87], v[31:32], v[90:91], v[86:87]
	;; [unrolled: 1-line block ×6, first 2 shown]
	global_load_dwordx4 v[31:34], v[128:129], off offset:64
	v_fma_f64 v[78:79], v[27:28], v[88:89], v[80:81]
	v_fma_f64 v[88:89], 0x80000000, v[90:91], v[76:77]
	v_subrev_nc_u32_e32 v76, s2, v135
	v_fma_f64 v[82:83], 0x80000000, v[90:91], v[82:83]
	v_lshlrev_b32_e32 v76, 2, v76
	v_ashrrev_i32_e32 v77, 31, v76
	v_fma_f64 v[80:81], v[27:28], v[90:91], v[59:60]
	v_fma_f64 v[63:64], v[29:30], v[90:91], v[63:64]
	global_load_dwordx4 v[27:30], v[84:85], off offset:32
	v_lshlrev_b64 v[76:77], 4, v[76:77]
	v_fma_f64 v[132:133], 0x80000000, v[90:91], v[78:79]
	v_fma_f64 v[90:91], 0x80000000, v[90:91], v[61:62]
	v_add_co_u32 v134, vcc_lo, s6, v76
	global_load_dwordx4 v[59:62], v[128:129], off offset:96
	v_add_co_ci_u32_e64 v135, null, s7, v77, vcc_lo
	global_load_dwordx4 v[76:79], v[84:85], off offset:48
	s_waitcnt vmcnt(21)
	v_fma_f64 v[84:85], v[92:93], 0, v[86:87]
	v_fma_f64 v[86:87], v[92:93], 0, v[130:131]
	;; [unrolled: 1-line block ×4, first 2 shown]
	v_add_co_u32 v66, vcc_lo, v66, 32
	v_add_co_ci_u32_e64 v67, null, 0, v67, vcc_lo
	v_fma_f64 v[80:81], v[92:93], 0, v[80:81]
	v_fma_f64 v[63:64], v[92:93], 0, v[63:64]
	v_add_co_u32 v9, vcc_lo, 0x80, v9
	v_add_co_ci_u32_e64 v10, null, 0, v10, vcc_lo
	v_fma_f64 v[130:131], v[43:44], v[92:93], v[132:133]
	v_fma_f64 v[90:91], v[45:46], v[92:93], v[90:91]
	v_cmp_ge_i64_e32 vcc_lo, v[66:67], v[68:69]
	v_fma_f64 v[84:85], v[47:48], v[94:95], v[84:85]
	v_fma_f64 v[86:87], v[49:50], v[94:95], v[86:87]
	;; [unrolled: 1-line block ×4, first 2 shown]
	global_load_dwordx4 v[47:50], v[128:129], off offset:1040
	s_or_b32 s8, vcc_lo, s8
	v_fma_f64 v[92:93], v[43:44], v[94:95], v[80:81]
	v_fma_f64 v[63:64], v[45:46], v[94:95], v[63:64]
	global_load_dwordx4 v[43:46], v[128:129], off offset:1024
	global_load_dwordx4 v[80:83], v[134:135], off
	v_fma_f64 v[130:131], 0x80000000, v[94:95], v[130:131]
	v_fma_f64 v[90:91], 0x80000000, v[94:95], v[90:91]
	s_waitcnt vmcnt(16)
	v_fma_f64 v[84:85], v[124:125], 0, v[84:85]
	v_fma_f64 v[86:87], v[124:125], 0, v[86:87]
	;; [unrolled: 1-line block ×12, first 2 shown]
	global_load_dwordx4 v[84:87], v[134:135], off offset:16
	v_fma_f64 v[96:97], v[96:97], v[126:127], v[92:93]
	v_fma_f64 v[63:64], v[98:99], v[126:127], v[63:64]
	;; [unrolled: 1-line block ×4, first 2 shown]
	s_clause 0x1
	global_load_dwordx4 v[88:91], v[128:129], off offset:1056
	global_load_dwordx4 v[92:95], v[128:129], off offset:1072
	s_waitcnt vmcnt(18)
	v_fma_f64 v[98:99], v[116:117], v[51:52], v[124:125]
	v_fma_f64 v[100:101], v[51:52], 0, v[100:101]
	;; [unrolled: 1-line block ×16, first 2 shown]
	s_clause 0x1
	global_load_dwordx4 v[51:54], v[128:129], off offset:1104
	global_load_dwordx4 v[96:99], v[128:129], off offset:1088
	;; [unrolled: 1-line block ×3, first 2 shown]
	s_waitcnt vmcnt(18)
	v_fma_f64 v[63:64], v[108:109], v[72:73], v[63:64]
	v_fma_f64 v[116:117], v[72:73], 0, v[116:117]
	;; [unrolled: 1-line block ×16, first 2 shown]
	s_clause 0x1
	global_load_dwordx4 v[72:75], v[128:129], off offset:1120
	global_load_dwordx4 v[104:107], v[128:129], off offset:1136
	;; [unrolled: 1-line block ×3, first 2 shown]
	s_waitcnt vmcnt(19)
	v_fma_f64 v[63:64], v[120:121], v[11:12], v[63:64]
	v_fma_f64 v[114:115], v[11:12], 0, v[114:115]
	v_fma_f64 v[116:117], v[122:123], v[11:12], v[116:117]
	v_fma_f64 v[118:119], v[11:12], 0, v[118:119]
	v_fma_f64 v[124:125], v[15:16], v[11:12], v[124:125]
	v_fma_f64 v[112:113], v[11:12], 0, v[112:113]
	v_fma_f64 v[126:127], v[17:18], v[11:12], v[126:127]
	v_fma_f64 v[11:12], v[11:12], 0, v[130:131]
	v_fma_f64 v[63:64], 0x80000000, v[13:14], v[63:64]
	v_fma_f64 v[114:115], v[120:121], v[13:14], v[114:115]
	v_fma_f64 v[116:117], 0x80000000, v[13:14], v[116:117]
	v_fma_f64 v[118:119], v[122:123], v[13:14], v[118:119]
	v_fma_f64 v[120:121], 0x80000000, v[13:14], v[124:125]
	v_fma_f64 v[15:16], v[15:16], v[13:14], v[112:113]
	v_fma_f64 v[112:113], 0x80000000, v[13:14], v[126:127]
	v_fma_f64 v[11:12], v[17:18], v[13:14], v[11:12]
	s_waitcnt vmcnt(17)
	v_fma_f64 v[13:14], v[19:20], v[55:56], v[63:64]
	v_fma_f64 v[17:18], v[55:56], 0, v[114:115]
	v_fma_f64 v[63:64], v[21:22], v[55:56], v[116:117]
	v_fma_f64 v[114:115], v[55:56], 0, v[118:119]
	v_fma_f64 v[116:117], v[23:24], v[55:56], v[120:121]
	v_fma_f64 v[15:16], v[55:56], 0, v[15:16]
	v_fma_f64 v[112:113], v[25:26], v[55:56], v[112:113]
	v_fma_f64 v[11:12], v[55:56], 0, v[11:12]
	v_fma_f64 v[13:14], 0x80000000, v[57:58], v[13:14]
	v_fma_f64 v[17:18], v[19:20], v[57:58], v[17:18]
	v_fma_f64 v[19:20], 0x80000000, v[57:58], v[63:64]
	v_fma_f64 v[21:22], v[21:22], v[57:58], v[114:115]
	v_fma_f64 v[55:56], 0x80000000, v[57:58], v[116:117]
	v_fma_f64 v[15:16], v[23:24], v[57:58], v[15:16]
	v_fma_f64 v[23:24], 0x80000000, v[57:58], v[112:113]
	v_fma_f64 v[11:12], v[25:26], v[57:58], v[11:12]
	;; [unrolled: 17-line block ×5, first 2 shown]
	s_waitcnt vmcnt(7)
	v_fma_f64 v[13:14], v[88:89], v[84:85], v[13:14]
	v_fma_f64 v[17:18], v[84:85], 0, v[17:18]
	;; [unrolled: 1-line block ×4, first 2 shown]
	s_waitcnt vmcnt(6)
	v_fma_f64 v[25:26], v[92:93], v[84:85], v[25:26]
	v_fma_f64 v[15:16], v[84:85], 0, v[15:16]
	;; [unrolled: 1-line block ×12, first 2 shown]
	s_waitcnt vmcnt(3)
	v_fma_f64 v[13:14], v[96:97], v[100:101], v[13:14]
	v_fma_f64 v[17:18], v[100:101], 0, v[17:18]
	;; [unrolled: 1-line block ×16, first 2 shown]
	s_waitcnt vmcnt(0)
	v_fma_f64 v[13:14], v[72:73], v[108:109], v[13:14]
	v_fma_f64 v[17:18], v[108:109], 0, v[17:18]
	;; [unrolled: 1-line block ×16, first 2 shown]
	s_andn2_b32 exec_lo, exec_lo, s8
	s_cbranch_execnz .LBB141_31
; %bb.32:
	s_or_b32 exec_lo, exec_lo, s8
.LBB141_33:
	s_or_b32 exec_lo, exec_lo, s3
.LBB141_34:
	s_or_b32 exec_lo, exec_lo, s1
.LBB141_35:
	v_mbcnt_lo_u32_b32 v41, -1, 0
	v_xor_b32_e32 v9, 4, v41
	v_xor_b32_e32 v25, 2, v41
	v_cmp_gt_i32_e32 vcc_lo, 32, v9
	v_cndmask_b32_e32 v9, v41, v9, vcc_lo
	v_cmp_gt_i32_e32 vcc_lo, 32, v25
	v_lshlrev_b32_e32 v24, 2, v9
	v_cndmask_b32_e32 v27, v41, v25, vcc_lo
	ds_bpermute_b32 v9, v24, v76
	ds_bpermute_b32 v10, v24, v77
	;; [unrolled: 1-line block ×16, first 2 shown]
	v_lshlrev_b32_e32 v40, 2, v27
	s_waitcnt lgkmcnt(14)
	v_add_f64 v[9:10], v[76:77], v[9:10]
	s_waitcnt lgkmcnt(12)
	v_add_f64 v[11:12], v[72:73], v[11:12]
	;; [unrolled: 2-line block ×8, first 2 shown]
	ds_bpermute_b32 v23, v40, v9
	ds_bpermute_b32 v24, v40, v10
	;; [unrolled: 1-line block ×16, first 2 shown]
	s_waitcnt lgkmcnt(14)
	v_add_f64 v[9:10], v[9:10], v[23:24]
	s_waitcnt lgkmcnt(12)
	v_add_f64 v[27:28], v[11:12], v[27:28]
	;; [unrolled: 2-line block ×3, first 2 shown]
	v_xor_b32_e32 v29, 1, v41
	s_waitcnt lgkmcnt(8)
	v_add_f64 v[23:24], v[15:16], v[31:32]
	s_waitcnt lgkmcnt(6)
	v_add_f64 v[13:14], v[17:18], v[33:34]
	;; [unrolled: 2-line block ×3, first 2 shown]
	v_cmp_gt_i32_e32 vcc_lo, 32, v29
	s_waitcnt lgkmcnt(2)
	v_add_f64 v[15:16], v[21:22], v[37:38]
	s_waitcnt lgkmcnt(0)
	v_add_f64 v[19:20], v[25:26], v[39:40]
	v_cndmask_b32_e32 v29, v41, v29, vcc_lo
	v_cmp_eq_u32_e32 vcc_lo, 7, v0
	v_lshlrev_b32_e32 v34, 2, v29
	ds_bpermute_b32 v21, v34, v9
	ds_bpermute_b32 v22, v34, v10
	;; [unrolled: 1-line block ×16, first 2 shown]
	s_and_b32 exec_lo, exec_lo, vcc_lo
	s_cbranch_execz .LBB141_8
; %bb.36:
	s_waitcnt lgkmcnt(12)
	v_add_f64 v[27:28], v[27:28], v[39:40]
	s_waitcnt lgkmcnt(8)
	v_add_f64 v[23:24], v[23:24], v[37:38]
	;; [unrolled: 2-line block ×4, first 2 shown]
	v_add_f64 v[9:10], v[9:10], v[21:22]
	v_add_f64 v[11:12], v[11:12], v[25:26]
	;; [unrolled: 1-line block ×4, first 2 shown]
	v_cmp_eq_f64_e32 vcc_lo, 0, v[1:2]
	v_cmp_eq_f64_e64 s0, 0, v[3:4]
	s_load_dwordx2 s[2:3], s[4:5], 0x60
	v_mul_f64 v[13:14], v[27:28], -v[7:8]
	v_mul_f64 v[15:16], v[5:6], v[27:28]
	v_mul_f64 v[27:28], v[23:24], -v[7:8]
	v_mul_f64 v[23:24], v[5:6], v[23:24]
	;; [unrolled: 2-line block ×4, first 2 shown]
	s_and_b32 s0, vcc_lo, s0
	v_fma_f64 v[17:18], v[5:6], v[9:10], v[13:14]
	v_fma_f64 v[19:20], v[7:8], v[9:10], v[15:16]
	;; [unrolled: 1-line block ×8, first 2 shown]
	v_lshlrev_b32_e32 v21, 2, v65
	s_and_saveexec_b32 s1, s0
	s_xor_b32 s0, exec_lo, s1
	s_cbranch_execz .LBB141_38
; %bb.37:
	v_ashrrev_i32_e32 v22, 31, v21
	v_lshlrev_b64 v[0:1], 4, v[21:22]
                                        ; implicit-def: $vgpr21
	s_waitcnt lgkmcnt(0)
	v_add_co_u32 v0, vcc_lo, s2, v0
	v_add_co_ci_u32_e64 v1, null, s3, v1, vcc_lo
	global_store_dwordx4 v[0:1], v[17:20], off
	global_store_dwordx4 v[0:1], v[13:16], off offset:16
	global_store_dwordx4 v[0:1], v[9:12], off offset:32
	;; [unrolled: 1-line block ×3, first 2 shown]
                                        ; implicit-def: $vgpr3_vgpr4
                                        ; implicit-def: $vgpr17_vgpr18
                                        ; implicit-def: $vgpr13_vgpr14
                                        ; implicit-def: $vgpr9_vgpr10
                                        ; implicit-def: $vgpr5_vgpr6
.LBB141_38:
	s_andn2_saveexec_b32 s0, s0
	s_cbranch_execz .LBB141_8
; %bb.39:
	v_ashrrev_i32_e32 v22, 31, v21
	v_lshlrev_b64 v[21:22], 4, v[21:22]
	s_waitcnt lgkmcnt(0)
	v_add_co_u32 v37, vcc_lo, s2, v21
	v_add_co_ci_u32_e64 v38, null, s3, v22, vcc_lo
	s_clause 0x3
	global_load_dwordx4 v[21:24], v[37:38], off
	global_load_dwordx4 v[25:28], v[37:38], off offset:16
	global_load_dwordx4 v[29:32], v[37:38], off offset:32
	;; [unrolled: 1-line block ×3, first 2 shown]
	s_waitcnt vmcnt(3)
	v_fma_f64 v[17:18], v[1:2], v[21:22], v[17:18]
	v_fma_f64 v[19:20], v[3:4], v[21:22], v[19:20]
	s_waitcnt vmcnt(2)
	v_fma_f64 v[13:14], v[1:2], v[25:26], v[13:14]
	v_fma_f64 v[15:16], v[3:4], v[25:26], v[15:16]
	;; [unrolled: 3-line block ×4, first 2 shown]
	v_fma_f64 v[5:6], -v[3:4], v[23:24], v[17:18]
	v_fma_f64 v[7:8], v[1:2], v[23:24], v[19:20]
	v_fma_f64 v[9:10], -v[3:4], v[27:28], v[13:14]
	v_fma_f64 v[11:12], v[1:2], v[27:28], v[15:16]
	;; [unrolled: 2-line block ×4, first 2 shown]
	global_store_dwordx4 v[37:38], v[5:8], off
	global_store_dwordx4 v[37:38], v[9:12], off offset:16
	global_store_dwordx4 v[37:38], v[13:16], off offset:32
	;; [unrolled: 1-line block ×3, first 2 shown]
	s_endpgm
	.section	.rodata,"a",@progbits
	.p2align	6, 0x0
	.amdhsa_kernel _ZN9rocsparseL18bsrxmvn_4x4_kernelILj128ELj8E21rocsparse_complex_numIdElidS2_S2_EEvT3_20rocsparse_direction_NS_24const_host_device_scalarIT1_EES3_PKS3_PKT2_SC_S9_PKT4_PKT5_S7_PT6_21rocsparse_index_base_b
		.amdhsa_group_segment_fixed_size 0
		.amdhsa_private_segment_fixed_size 0
		.amdhsa_kernarg_size 112
		.amdhsa_user_sgpr_count 6
		.amdhsa_user_sgpr_private_segment_buffer 1
		.amdhsa_user_sgpr_dispatch_ptr 0
		.amdhsa_user_sgpr_queue_ptr 0
		.amdhsa_user_sgpr_kernarg_segment_ptr 1
		.amdhsa_user_sgpr_dispatch_id 0
		.amdhsa_user_sgpr_flat_scratch_init 0
		.amdhsa_user_sgpr_private_segment_size 0
		.amdhsa_wavefront_size32 1
		.amdhsa_uses_dynamic_stack 0
		.amdhsa_system_sgpr_private_segment_wavefront_offset 0
		.amdhsa_system_sgpr_workgroup_id_x 1
		.amdhsa_system_sgpr_workgroup_id_y 0
		.amdhsa_system_sgpr_workgroup_id_z 0
		.amdhsa_system_sgpr_workgroup_info 0
		.amdhsa_system_vgpr_workitem_id 0
		.amdhsa_next_free_vgpr 159
		.amdhsa_next_free_sgpr 16
		.amdhsa_reserve_vcc 1
		.amdhsa_reserve_flat_scratch 0
		.amdhsa_float_round_mode_32 0
		.amdhsa_float_round_mode_16_64 0
		.amdhsa_float_denorm_mode_32 3
		.amdhsa_float_denorm_mode_16_64 3
		.amdhsa_dx10_clamp 1
		.amdhsa_ieee_mode 1
		.amdhsa_fp16_overflow 0
		.amdhsa_workgroup_processor_mode 1
		.amdhsa_memory_ordered 1
		.amdhsa_forward_progress 1
		.amdhsa_shared_vgpr_count 0
		.amdhsa_exception_fp_ieee_invalid_op 0
		.amdhsa_exception_fp_denorm_src 0
		.amdhsa_exception_fp_ieee_div_zero 0
		.amdhsa_exception_fp_ieee_overflow 0
		.amdhsa_exception_fp_ieee_underflow 0
		.amdhsa_exception_fp_ieee_inexact 0
		.amdhsa_exception_int_div_zero 0
	.end_amdhsa_kernel
	.section	.text._ZN9rocsparseL18bsrxmvn_4x4_kernelILj128ELj8E21rocsparse_complex_numIdElidS2_S2_EEvT3_20rocsparse_direction_NS_24const_host_device_scalarIT1_EES3_PKS3_PKT2_SC_S9_PKT4_PKT5_S7_PT6_21rocsparse_index_base_b,"axG",@progbits,_ZN9rocsparseL18bsrxmvn_4x4_kernelILj128ELj8E21rocsparse_complex_numIdElidS2_S2_EEvT3_20rocsparse_direction_NS_24const_host_device_scalarIT1_EES3_PKS3_PKT2_SC_S9_PKT4_PKT5_S7_PT6_21rocsparse_index_base_b,comdat
.Lfunc_end141:
	.size	_ZN9rocsparseL18bsrxmvn_4x4_kernelILj128ELj8E21rocsparse_complex_numIdElidS2_S2_EEvT3_20rocsparse_direction_NS_24const_host_device_scalarIT1_EES3_PKS3_PKT2_SC_S9_PKT4_PKT5_S7_PT6_21rocsparse_index_base_b, .Lfunc_end141-_ZN9rocsparseL18bsrxmvn_4x4_kernelILj128ELj8E21rocsparse_complex_numIdElidS2_S2_EEvT3_20rocsparse_direction_NS_24const_host_device_scalarIT1_EES3_PKS3_PKT2_SC_S9_PKT4_PKT5_S7_PT6_21rocsparse_index_base_b
                                        ; -- End function
	.set _ZN9rocsparseL18bsrxmvn_4x4_kernelILj128ELj8E21rocsparse_complex_numIdElidS2_S2_EEvT3_20rocsparse_direction_NS_24const_host_device_scalarIT1_EES3_PKS3_PKT2_SC_S9_PKT4_PKT5_S7_PT6_21rocsparse_index_base_b.num_vgpr, 159
	.set _ZN9rocsparseL18bsrxmvn_4x4_kernelILj128ELj8E21rocsparse_complex_numIdElidS2_S2_EEvT3_20rocsparse_direction_NS_24const_host_device_scalarIT1_EES3_PKS3_PKT2_SC_S9_PKT4_PKT5_S7_PT6_21rocsparse_index_base_b.num_agpr, 0
	.set _ZN9rocsparseL18bsrxmvn_4x4_kernelILj128ELj8E21rocsparse_complex_numIdElidS2_S2_EEvT3_20rocsparse_direction_NS_24const_host_device_scalarIT1_EES3_PKS3_PKT2_SC_S9_PKT4_PKT5_S7_PT6_21rocsparse_index_base_b.numbered_sgpr, 16
	.set _ZN9rocsparseL18bsrxmvn_4x4_kernelILj128ELj8E21rocsparse_complex_numIdElidS2_S2_EEvT3_20rocsparse_direction_NS_24const_host_device_scalarIT1_EES3_PKS3_PKT2_SC_S9_PKT4_PKT5_S7_PT6_21rocsparse_index_base_b.num_named_barrier, 0
	.set _ZN9rocsparseL18bsrxmvn_4x4_kernelILj128ELj8E21rocsparse_complex_numIdElidS2_S2_EEvT3_20rocsparse_direction_NS_24const_host_device_scalarIT1_EES3_PKS3_PKT2_SC_S9_PKT4_PKT5_S7_PT6_21rocsparse_index_base_b.private_seg_size, 0
	.set _ZN9rocsparseL18bsrxmvn_4x4_kernelILj128ELj8E21rocsparse_complex_numIdElidS2_S2_EEvT3_20rocsparse_direction_NS_24const_host_device_scalarIT1_EES3_PKS3_PKT2_SC_S9_PKT4_PKT5_S7_PT6_21rocsparse_index_base_b.uses_vcc, 1
	.set _ZN9rocsparseL18bsrxmvn_4x4_kernelILj128ELj8E21rocsparse_complex_numIdElidS2_S2_EEvT3_20rocsparse_direction_NS_24const_host_device_scalarIT1_EES3_PKS3_PKT2_SC_S9_PKT4_PKT5_S7_PT6_21rocsparse_index_base_b.uses_flat_scratch, 0
	.set _ZN9rocsparseL18bsrxmvn_4x4_kernelILj128ELj8E21rocsparse_complex_numIdElidS2_S2_EEvT3_20rocsparse_direction_NS_24const_host_device_scalarIT1_EES3_PKS3_PKT2_SC_S9_PKT4_PKT5_S7_PT6_21rocsparse_index_base_b.has_dyn_sized_stack, 0
	.set _ZN9rocsparseL18bsrxmvn_4x4_kernelILj128ELj8E21rocsparse_complex_numIdElidS2_S2_EEvT3_20rocsparse_direction_NS_24const_host_device_scalarIT1_EES3_PKS3_PKT2_SC_S9_PKT4_PKT5_S7_PT6_21rocsparse_index_base_b.has_recursion, 0
	.set _ZN9rocsparseL18bsrxmvn_4x4_kernelILj128ELj8E21rocsparse_complex_numIdElidS2_S2_EEvT3_20rocsparse_direction_NS_24const_host_device_scalarIT1_EES3_PKS3_PKT2_SC_S9_PKT4_PKT5_S7_PT6_21rocsparse_index_base_b.has_indirect_call, 0
	.section	.AMDGPU.csdata,"",@progbits
; Kernel info:
; codeLenInByte = 10548
; TotalNumSgprs: 18
; NumVgprs: 159
; ScratchSize: 0
; MemoryBound: 0
; FloatMode: 240
; IeeeMode: 1
; LDSByteSize: 0 bytes/workgroup (compile time only)
; SGPRBlocks: 0
; VGPRBlocks: 19
; NumSGPRsForWavesPerEU: 18
; NumVGPRsForWavesPerEU: 159
; Occupancy: 6
; WaveLimiterHint : 1
; COMPUTE_PGM_RSRC2:SCRATCH_EN: 0
; COMPUTE_PGM_RSRC2:USER_SGPR: 6
; COMPUTE_PGM_RSRC2:TRAP_HANDLER: 0
; COMPUTE_PGM_RSRC2:TGID_X_EN: 1
; COMPUTE_PGM_RSRC2:TGID_Y_EN: 0
; COMPUTE_PGM_RSRC2:TGID_Z_EN: 0
; COMPUTE_PGM_RSRC2:TIDIG_COMP_CNT: 0
	.section	.text._ZN9rocsparseL18bsrxmvn_4x4_kernelILj128ELj16E21rocsparse_complex_numIdElidS2_S2_EEvT3_20rocsparse_direction_NS_24const_host_device_scalarIT1_EES3_PKS3_PKT2_SC_S9_PKT4_PKT5_S7_PT6_21rocsparse_index_base_b,"axG",@progbits,_ZN9rocsparseL18bsrxmvn_4x4_kernelILj128ELj16E21rocsparse_complex_numIdElidS2_S2_EEvT3_20rocsparse_direction_NS_24const_host_device_scalarIT1_EES3_PKS3_PKT2_SC_S9_PKT4_PKT5_S7_PT6_21rocsparse_index_base_b,comdat
	.globl	_ZN9rocsparseL18bsrxmvn_4x4_kernelILj128ELj16E21rocsparse_complex_numIdElidS2_S2_EEvT3_20rocsparse_direction_NS_24const_host_device_scalarIT1_EES3_PKS3_PKT2_SC_S9_PKT4_PKT5_S7_PT6_21rocsparse_index_base_b ; -- Begin function _ZN9rocsparseL18bsrxmvn_4x4_kernelILj128ELj16E21rocsparse_complex_numIdElidS2_S2_EEvT3_20rocsparse_direction_NS_24const_host_device_scalarIT1_EES3_PKS3_PKT2_SC_S9_PKT4_PKT5_S7_PT6_21rocsparse_index_base_b
	.p2align	8
	.type	_ZN9rocsparseL18bsrxmvn_4x4_kernelILj128ELj16E21rocsparse_complex_numIdElidS2_S2_EEvT3_20rocsparse_direction_NS_24const_host_device_scalarIT1_EES3_PKS3_PKT2_SC_S9_PKT4_PKT5_S7_PT6_21rocsparse_index_base_b,@function
_ZN9rocsparseL18bsrxmvn_4x4_kernelILj128ELj16E21rocsparse_complex_numIdElidS2_S2_EEvT3_20rocsparse_direction_NS_24const_host_device_scalarIT1_EES3_PKS3_PKT2_SC_S9_PKT4_PKT5_S7_PT6_21rocsparse_index_base_b: ; @_ZN9rocsparseL18bsrxmvn_4x4_kernelILj128ELj16E21rocsparse_complex_numIdElidS2_S2_EEvT3_20rocsparse_direction_NS_24const_host_device_scalarIT1_EES3_PKS3_PKT2_SC_S9_PKT4_PKT5_S7_PT6_21rocsparse_index_base_b
; %bb.0:
	s_clause 0x1
	s_load_dwordx2 s[2:3], s[4:5], 0x68
	s_load_dwordx2 s[0:1], s[4:5], 0x8
	s_add_u32 s7, s4, 8
	s_addc_u32 s10, s5, 0
	s_add_u32 s11, s4, 0x50
	s_addc_u32 s12, s5, 0
	s_load_dwordx2 s[8:9], s[4:5], 0x50
	s_waitcnt lgkmcnt(0)
	s_bitcmp1_b32 s3, 0
	s_cselect_b32 s0, s7, s0
	s_cselect_b32 s1, s10, s1
	v_mov_b32_e32 v1, s0
	v_mov_b32_e32 v2, s1
	s_cselect_b32 s0, s11, s8
	s_cselect_b32 s1, s12, s9
	flat_load_dwordx4 v[5:8], v[1:2]
	v_mov_b32_e32 v1, s0
	v_mov_b32_e32 v2, s1
	flat_load_dwordx4 v[1:4], v[1:2]
	s_waitcnt vmcnt(1) lgkmcnt(1)
	v_cmp_eq_f64_e32 vcc_lo, 0, v[5:6]
	v_cmp_eq_f64_e64 s0, 0, v[7:8]
	s_and_b32 s3, vcc_lo, s0
	s_mov_b32 s0, -1
	s_and_saveexec_b32 s1, s3
	s_cbranch_execz .LBB142_2
; %bb.1:
	s_waitcnt vmcnt(0) lgkmcnt(0)
	v_cmp_neq_f64_e32 vcc_lo, 1.0, v[1:2]
	v_cmp_neq_f64_e64 s0, 0, v[3:4]
	s_or_b32 s0, vcc_lo, s0
	s_orn2_b32 s0, s0, exec_lo
.LBB142_2:
	s_or_b32 exec_lo, exec_lo, s1
	s_and_saveexec_b32 s1, s0
	s_cbranch_execz .LBB142_8
; %bb.3:
	s_clause 0x1
	s_load_dwordx2 s[8:9], s[4:5], 0x20
	s_load_dwordx2 s[0:1], s[4:5], 0x0
	v_lshrrev_b32_e32 v9, 4, v0
	v_lshl_or_b32 v65, s6, 3, v9
	s_waitcnt lgkmcnt(0)
	s_cmp_lg_u64 s[8:9], 0
	s_cbranch_scc0 .LBB142_9
; %bb.4:
	s_load_dword s3, s[4:5], 0x18
	s_mov_b32 s6, 0
                                        ; implicit-def: $vgpr9
	s_waitcnt lgkmcnt(0)
	v_cmp_gt_i32_e32 vcc_lo, s3, v65
	s_mov_b32 s3, 0
	s_and_saveexec_b32 s7, vcc_lo
	s_xor_b32 s7, exec_lo, s7
	s_cbranch_execz .LBB142_6
; %bb.5:
	v_ashrrev_i32_e32 v66, 31, v65
	s_mov_b32 s3, exec_lo
	v_lshlrev_b64 v[9:10], 2, v[65:66]
	v_add_co_u32 v9, vcc_lo, s8, v9
	v_add_co_ci_u32_e64 v10, null, s9, v10, vcc_lo
	global_load_dword v9, v[9:10], off
	s_waitcnt vmcnt(0)
	v_subrev_nc_u32_e32 v9, s2, v9
.LBB142_6:
	s_or_b32 exec_lo, exec_lo, s7
	s_and_b32 vcc_lo, exec_lo, s6
	s_cbranch_vccz .LBB142_10
.LBB142_7:
	v_cmp_gt_i32_e32 vcc_lo, s0, v65
	s_andn2_b32 s0, s3, exec_lo
	s_and_b32 s3, vcc_lo, exec_lo
	s_or_b32 s3, s0, s3
	s_and_b32 exec_lo, exec_lo, s3
	s_cbranch_execnz .LBB142_11
.LBB142_8:
	s_endpgm
.LBB142_9:
	s_mov_b32 s3, 0
                                        ; implicit-def: $vgpr9
	s_cbranch_execnz .LBB142_7
.LBB142_10:
	v_mov_b32_e32 v65, v9
	s_and_b32 exec_lo, exec_lo, s3
	s_cbranch_execz .LBB142_8
.LBB142_11:
	s_load_dwordx8 s[8:15], s[4:5], 0x28
	v_ashrrev_i32_e32 v66, 31, v65
	v_and_b32_e32 v0, 15, v0
	s_load_dwordx2 s[6:7], s[4:5], 0x48
	v_lshlrev_b64 v[9:10], 3, v[65:66]
	s_waitcnt lgkmcnt(0)
	v_add_co_u32 v11, vcc_lo, s8, v9
	v_add_co_ci_u32_e64 v12, null, s9, v10, vcc_lo
	v_add_co_u32 v9, vcc_lo, s10, v9
	v_add_co_ci_u32_e64 v10, null, s11, v10, vcc_lo
	;; [unrolled: 2-line block ×3, first 2 shown]
	global_load_dwordx2 v[84:85], v[11:12], off
	s_cmp_eq_u64 s[10:11], 0
	s_cselect_b32 vcc_lo, -1, 0
	s_cmp_eq_u32 s1, 1
	v_cndmask_b32_e32 v10, v10, v14, vcc_lo
	v_cndmask_b32_e32 v9, v9, v13, vcc_lo
	global_load_dwordx2 v[9:10], v[9:10], off
	s_waitcnt vmcnt(1)
	v_sub_co_u32 v11, vcc_lo, v84, s2
	v_subrev_co_ci_u32_e64 v12, null, 0, v85, vcc_lo
	v_add_co_u32 v66, vcc_lo, v11, v0
	v_add_co_ci_u32_e64 v67, null, 0, v12, vcc_lo
	s_waitcnt vmcnt(0)
	v_sub_co_u32 v68, vcc_lo, v9, s2
	v_subrev_co_ci_u32_e64 v69, null, 0, v10, vcc_lo
	v_lshlrev_b64 v[9:10], 7, v[66:67]
	v_cmp_lt_i64_e64 s0, v[66:67], v[68:69]
	v_add_co_u32 v70, vcc_lo, s14, v9
	v_add_co_ci_u32_e64 v71, null, s15, v10, vcc_lo
	s_cbranch_scc1 .LBB142_23
; %bb.12:
	v_mov_b32_e32 v57, 0
	v_mov_b32_e32 v72, 0
	;; [unrolled: 1-line block ×16, first 2 shown]
	s_and_saveexec_b32 s3, s0
	s_cbranch_execz .LBB142_22
; %bb.13:
	v_or_b32_e32 v9, 16, v0
	v_not_b32_e32 v13, v84
	v_not_b32_e32 v11, v85
	v_mov_b32_e32 v59, 0
	v_mov_b32_e32 v76, 0
	v_sub_co_u32 v9, s1, v9, s2
	v_sub_co_ci_u32_e64 v10, null, 0, 0, s1
	v_sub_co_u32 v14, s1, s2, v0
	v_add_co_u32 v9, vcc_lo, v9, v84
	v_add_co_ci_u32_e64 v10, null, v10, v85, vcc_lo
	v_sub_co_ci_u32_e64 v15, null, 0, 0, s1
	v_add_co_u32 v13, s1, v14, v13
	v_cmp_gt_i64_e32 vcc_lo, v[9:10], v[68:69]
	v_add_co_ci_u32_e64 v11, null, v15, v11, s1
	v_mov_b32_e32 v78, 0
	v_mov_b32_e32 v80, 0
	;; [unrolled: 1-line block ×3, first 2 shown]
	v_cndmask_b32_e32 v9, v68, v9, vcc_lo
	v_cndmask_b32_e32 v10, v69, v10, vcc_lo
	v_mov_b32_e32 v74, 0
	v_mov_b32_e32 v72, 0
	;; [unrolled: 1-line block ×3, first 2 shown]
	v_add_co_u32 v9, vcc_lo, v13, v9
	v_mov_b32_e32 v89, v71
	v_mov_b32_e32 v87, v67
	;; [unrolled: 1-line block ×7, first 2 shown]
	v_add_co_ci_u32_e64 v10, null, v11, v10, vcc_lo
	v_and_b32_e32 v11, 48, v9
	v_mov_b32_e32 v83, 0
	v_mov_b32_e32 v75, 0
	v_mov_b32_e32 v73, 0
	v_mov_b32_e32 v58, 0
	v_mov_b32_e32 v88, v70
	v_mov_b32_e32 v86, v66
	s_mov_b32 s8, exec_lo
	v_cmpx_ne_u64_e32 48, v[11:12]
	s_cbranch_execz .LBB142_17
; %bb.14:
	v_lshrrev_b32_e32 v13, 4, v9
	v_lshlrev_b64 v[11:12], 2, v[66:67]
	v_mov_b32_e32 v57, 0
	v_mov_b32_e32 v87, v67
	;; [unrolled: 1-line block ×3, first 2 shown]
	v_add_nc_u32_e32 v13, 1, v13
	v_mov_b32_e32 v74, 0
	v_add_co_u32 v11, vcc_lo, s12, v11
	v_mov_b32_e32 v82, 0
	v_and_b32_e32 v13, 3, v13
	v_mov_b32_e32 v80, 0
	v_mov_b32_e32 v78, 0
	;; [unrolled: 1-line block ×4, first 2 shown]
	v_sub_co_u32 v13, s1, 0, v13
	v_mov_b32_e32 v89, v71
	v_mov_b32_e32 v58, 0
	;; [unrolled: 1-line block ×5, first 2 shown]
	v_add_co_ci_u32_e64 v12, null, s13, v12, vcc_lo
	v_sub_co_ci_u32_e64 v14, null, 0, 0, s1
	v_mov_b32_e32 v83, 0
	v_mov_b32_e32 v81, 0
	;; [unrolled: 1-line block ×6, first 2 shown]
	s_mov_b32 s9, 0
.LBB142_15:                             ; =>This Inner Loop Header: Depth=1
	global_load_dword v43, v[11:12], off
	s_clause 0x6
	global_load_dwordx4 v[15:18], v[88:89], off offset:48
	global_load_dwordx4 v[19:22], v[88:89], off offset:32
	;; [unrolled: 1-line block ×3, first 2 shown]
	global_load_dwordx4 v[27:30], v[88:89], off
	global_load_dwordx4 v[31:34], v[88:89], off offset:112
	global_load_dwordx4 v[35:38], v[88:89], off offset:96
	;; [unrolled: 1-line block ×3, first 2 shown]
	v_add_co_u32 v11, s1, v11, 64
	v_add_co_ci_u32_e64 v12, null, 0, v12, s1
	s_waitcnt vmcnt(7)
	v_subrev_nc_u32_e32 v43, s2, v43
	v_lshlrev_b32_e32 v43, 2, v43
	v_ashrrev_i32_e32 v44, 31, v43
	v_lshlrev_b64 v[43:44], 4, v[43:44]
	v_add_co_u32 v55, vcc_lo, s6, v43
	v_add_co_ci_u32_e64 v56, null, s7, v44, vcc_lo
	s_clause 0x1
	global_load_dwordx4 v[43:46], v[55:56], off
	global_load_dwordx4 v[47:50], v[55:56], off offset:16
	global_load_dwordx4 v[51:54], v[88:89], off offset:80
	s_clause 0x1
	global_load_dwordx4 v[61:64], v[55:56], off offset:32
	global_load_dwordx4 v[90:93], v[55:56], off offset:48
	v_add_co_u32 v88, vcc_lo, 0x800, v88
	v_add_co_ci_u32_e64 v89, null, 0, v89, vcc_lo
	v_add_co_u32 v13, vcc_lo, v13, 1
	v_add_co_ci_u32_e64 v14, null, 0, v14, vcc_lo
	;; [unrolled: 2-line block ×3, first 2 shown]
	v_cmp_eq_u64_e32 vcc_lo, 0, v[13:14]
	s_or_b32 s9, vcc_lo, s9
	s_waitcnt vmcnt(4)
	v_fma_f64 v[55:56], v[27:28], v[43:44], v[72:73]
	v_fma_f64 v[57:58], v[43:44], 0, v[57:58]
	v_fma_f64 v[72:73], v[19:20], v[43:44], v[82:83]
	v_fma_f64 v[74:75], v[43:44], 0, v[74:75]
	v_fma_f64 v[78:79], v[39:40], v[43:44], v[78:79]
	v_fma_f64 v[80:81], v[43:44], 0, v[80:81]
	v_fma_f64 v[59:60], v[35:36], v[43:44], v[59:60]
	v_fma_f64 v[43:44], v[43:44], 0, v[76:77]
	v_fma_f64 v[55:56], 0x80000000, v[45:46], v[55:56]
	v_fma_f64 v[27:28], v[27:28], v[45:46], v[57:58]
	v_fma_f64 v[57:58], 0x80000000, v[45:46], v[72:73]
	v_fma_f64 v[19:20], v[19:20], v[45:46], v[74:75]
	v_fma_f64 v[72:73], 0x80000000, v[45:46], v[78:79]
	v_fma_f64 v[39:40], v[39:40], v[45:46], v[80:81]
	v_fma_f64 v[59:60], 0x80000000, v[45:46], v[59:60]
	v_fma_f64 v[35:36], v[35:36], v[45:46], v[43:44]
	s_waitcnt vmcnt(3)
	v_fma_f64 v[43:44], v[29:30], v[47:48], v[55:56]
	v_fma_f64 v[27:28], v[47:48], 0, v[27:28]
	v_fma_f64 v[45:46], v[21:22], v[47:48], v[57:58]
	v_fma_f64 v[19:20], v[47:48], 0, v[19:20]
	v_fma_f64 v[55:56], v[41:42], v[47:48], v[72:73]
	v_fma_f64 v[39:40], v[47:48], 0, v[39:40]
	v_fma_f64 v[57:58], v[37:38], v[47:48], v[59:60]
	v_fma_f64 v[35:36], v[47:48], 0, v[35:36]
	v_fma_f64 v[43:44], 0x80000000, v[49:50], v[43:44]
	v_fma_f64 v[27:28], v[29:30], v[49:50], v[27:28]
	v_fma_f64 v[29:30], 0x80000000, v[49:50], v[45:46]
	v_fma_f64 v[19:20], v[21:22], v[49:50], v[19:20]
	v_fma_f64 v[21:22], 0x80000000, v[49:50], v[55:56]
	v_fma_f64 v[39:40], v[41:42], v[49:50], v[39:40]
	v_fma_f64 v[41:42], 0x80000000, v[49:50], v[57:58]
	v_fma_f64 v[35:36], v[37:38], v[49:50], v[35:36]
	;; [unrolled: 17-line block ×4, first 2 shown]
	s_andn2_b32 exec_lo, exec_lo, s9
	s_cbranch_execnz .LBB142_15
; %bb.16:
	s_or_b32 exec_lo, exec_lo, s9
.LBB142_17:
	s_or_b32 exec_lo, exec_lo, s8
	s_mov_b32 s8, exec_lo
	v_cmpx_lt_u64_e32 47, v[9:10]
	s_cbranch_execz .LBB142_21
; %bb.18:
	v_lshlrev_b64 v[9:10], 2, v[86:87]
	s_mov_b32 s9, 0
	v_add_co_u32 v9, vcc_lo, s12, v9
	v_add_co_ci_u32_e64 v10, null, s13, v10, vcc_lo
	v_add_co_u32 v90, vcc_lo, 0x80, v9
	v_add_co_ci_u32_e64 v91, null, 0, v10, vcc_lo
.LBB142_19:                             ; =>This Inner Loop Header: Depth=1
	s_clause 0x1
	global_load_dword v92, v[90:91], off offset:-128
	global_load_dword v141, v[90:91], off offset:-64
	s_clause 0x7
	global_load_dwordx4 v[21:24], v[88:89], off offset:48
	global_load_dwordx4 v[93:96], v[88:89], off offset:32
	;; [unrolled: 1-line block ×3, first 2 shown]
	global_load_dwordx4 v[97:100], v[88:89], off
	global_load_dwordx4 v[9:12], v[88:89], off offset:112
	global_load_dwordx4 v[101:104], v[88:89], off offset:96
	;; [unrolled: 1-line block ×4, first 2 shown]
	s_clause 0x1
	global_load_dword v157, v[90:91], off
	global_load_dword v158, v[90:91], off offset:64
	v_add_co_u32 v13, vcc_lo, 0x800, v88
	v_add_co_ci_u32_e64 v14, null, 0, v89, vcc_lo
	v_add_co_u32 v15, vcc_lo, v88, 0x1000
	v_add_co_ci_u32_e64 v16, null, 0, v89, vcc_lo
	;; [unrolled: 2-line block ×4, first 2 shown]
	s_clause 0x10
	global_load_dwordx4 v[109:112], v[13:14], off offset:32
	global_load_dwordx4 v[33:36], v[13:14], off offset:16
	;; [unrolled: 1-line block ×7, first 2 shown]
	global_load_dwordx4 v[121:124], v[15:16], off offset:-2048
	global_load_dwordx4 v[45:48], v[15:16], off
	global_load_dwordx4 v[53:56], v[61:62], off offset:32
	global_load_dwordx4 v[13:16], v[61:62], off offset:16
	;; [unrolled: 1-line block ×7, first 2 shown]
	global_load_dwordx4 v[61:64], v[149:150], off
	v_add_co_u32 v88, s1, 0x2000, v88
	v_add_co_ci_u32_e64 v89, null, 0, v89, s1
	s_waitcnt vmcnt(28)
	v_subrev_nc_u32_e32 v92, s2, v92
	s_waitcnt vmcnt(27)
	v_subrev_nc_u32_e32 v142, s2, v141
	v_lshlrev_b32_e32 v141, 2, v92
	v_lshlrev_b32_e32 v143, 2, v142
	v_ashrrev_i32_e32 v142, 31, v141
	v_ashrrev_i32_e32 v144, 31, v143
	v_lshlrev_b64 v[141:142], 4, v[141:142]
	v_lshlrev_b64 v[143:144], 4, v[143:144]
	v_add_co_u32 v151, vcc_lo, s6, v141
	v_add_co_ci_u32_e64 v152, null, s7, v142, vcc_lo
	v_add_co_u32 v153, vcc_lo, s6, v143
	v_add_co_ci_u32_e64 v154, null, s7, v144, vcc_lo
	s_clause 0x1
	global_load_dwordx4 v[141:144], v[151:152], off
	global_load_dwordx4 v[145:148], v[151:152], off offset:16
	s_waitcnt vmcnt(1)
	v_fma_f64 v[57:58], v[141:142], 0, v[57:58]
	v_fma_f64 v[72:73], v[97:98], v[141:142], v[72:73]
	;; [unrolled: 1-line block ×16, first 2 shown]
	global_load_dwordx4 v[57:60], v[149:150], off offset:48
	s_waitcnt vmcnt(1)
	v_fma_f64 v[74:75], v[145:146], 0, v[97:98]
	v_fma_f64 v[97:98], v[99:100], v[145:146], v[72:73]
	;; [unrolled: 1-line block ×8, first 2 shown]
	global_load_dwordx4 v[72:75], v[151:152], off offset:32
	v_fma_f64 v[155:156], v[95:96], v[147:148], v[76:77]
	global_load_dwordx4 v[76:79], v[151:152], off offset:48
	v_fma_f64 v[99:100], v[95:96], v[145:146], v[82:83]
	v_fma_f64 v[107:108], v[107:108], v[147:148], v[80:81]
	global_load_dwordx4 v[80:83], v[153:154], off
	v_fma_f64 v[103:104], v[103:104], v[147:148], v[92:93]
	global_load_dwordx4 v[92:95], v[153:154], off offset:16
	v_fma_f64 v[105:106], 0x80000000, v[147:148], v[97:98]
	v_fma_f64 v[141:142], 0x80000000, v[147:148], v[141:142]
	;; [unrolled: 1-line block ×4, first 2 shown]
	global_load_dwordx4 v[96:99], v[153:154], off offset:32
	s_waitcnt vmcnt(4)
	v_fma_f64 v[143:144], v[72:73], 0, v[143:144]
	v_fma_f64 v[105:106], v[37:38], v[72:73], v[105:106]
	;; [unrolled: 1-line block ×10, first 2 shown]
	v_subrev_nc_u32_e32 v106, s2, v157
	v_fma_f64 v[21:22], v[21:22], v[74:75], v[147:148]
	v_fma_f64 v[104:105], 0x80000000, v[74:75], v[145:146]
	;; [unrolled: 1-line block ×4, first 2 shown]
	v_lshlrev_b32_e32 v106, 2, v106
	v_fma_f64 v[9:10], v[9:10], v[74:75], v[72:73]
	v_fma_f64 v[100:101], 0x80000000, v[74:75], v[100:101]
	global_load_dwordx4 v[72:75], v[149:150], off offset:32
	v_ashrrev_i32_e32 v107, 31, v106
	v_lshlrev_b64 v[106:107], 4, v[106:107]
	s_waitcnt vmcnt(4)
	v_fma_f64 v[37:38], v[76:77], 0, v[37:38]
	v_fma_f64 v[102:103], v[39:40], v[76:77], v[102:103]
	v_add_co_u32 v106, vcc_lo, s6, v106
	v_fma_f64 v[21:22], v[76:77], 0, v[21:22]
	v_add_co_ci_u32_e64 v107, null, s7, v107, vcc_lo
	v_fma_f64 v[104:105], v[23:24], v[76:77], v[104:105]
	v_fma_f64 v[9:10], v[76:77], 0, v[9:10]
	;; [unrolled: 1-line block ×6, first 2 shown]
	global_load_dwordx4 v[37:40], v[153:154], off offset:48
	v_fma_f64 v[102:103], 0x80000000, v[78:79], v[102:103]
	v_fma_f64 v[145:146], v[23:24], v[78:79], v[21:22]
	global_load_dwordx4 v[21:24], v[106:107], off
	v_fma_f64 v[104:105], 0x80000000, v[78:79], v[104:105]
	v_fma_f64 v[100:101], v[11:12], v[78:79], v[9:10]
	global_load_dwordx4 v[9:12], v[106:107], off offset:16
	v_fma_f64 v[147:148], v[19:20], v[78:79], v[17:18]
	v_fma_f64 v[141:142], 0x80000000, v[78:79], v[141:142]
	v_fma_f64 v[151:152], 0x80000000, v[78:79], v[76:77]
	global_load_dwordx4 v[76:79], v[106:107], off offset:32
	global_load_dwordx4 v[17:20], v[149:150], off offset:112
	s_waitcnt vmcnt(8)
	v_fma_f64 v[143:144], v[80:81], 0, v[143:144]
	v_fma_f64 v[102:103], v[121:122], v[80:81], v[102:103]
	;; [unrolled: 1-line block ×8, first 2 shown]
	v_subrev_nc_u32_e32 v100, s2, v158
	v_lshlrev_b32_e32 v100, 2, v100
	v_fma_f64 v[121:122], v[121:122], v[82:83], v[143:144]
	v_ashrrev_i32_e32 v101, 31, v100
	v_fma_f64 v[153:154], 0x80000000, v[82:83], v[102:103]
	v_fma_f64 v[108:109], v[109:110], v[82:83], v[145:146]
	v_lshlrev_b64 v[100:101], 4, v[100:101]
	v_fma_f64 v[143:144], 0x80000000, v[82:83], v[104:105]
	v_fma_f64 v[117:118], v[117:118], v[82:83], v[147:148]
	;; [unrolled: 1-line block ×4, first 2 shown]
	v_add_co_u32 v147, vcc_lo, s6, v100
	v_add_co_ci_u32_e64 v148, null, s7, v101, vcc_lo
	global_load_dwordx4 v[100:103], v[106:107], off offset:48
	v_fma_f64 v[113:114], v[113:114], v[82:83], v[80:81]
	global_load_dwordx4 v[80:83], v[149:150], off offset:96
	v_add_co_u32 v86, vcc_lo, v86, 64
	s_waitcnt vmcnt(9)
	v_fma_f64 v[104:105], v[92:93], 0, v[121:122]
	v_add_co_ci_u32_e64 v87, null, 0, v87, vcc_lo
	v_fma_f64 v[121:122], v[123:124], v[92:93], v[153:154]
	v_fma_f64 v[108:109], v[92:93], 0, v[108:109]
	v_add_co_u32 v90, vcc_lo, 0x100, v90
	v_add_co_ci_u32_e64 v91, null, 0, v91, vcc_lo
	v_fma_f64 v[143:144], v[111:112], v[92:93], v[143:144]
	v_fma_f64 v[117:118], v[92:93], 0, v[117:118]
	;; [unrolled: 1-line block ×4, first 2 shown]
	v_cmp_ge_i64_e32 vcc_lo, v[86:87], v[68:69]
	v_fma_f64 v[92:93], v[92:93], 0, v[113:114]
	s_or_b32 s9, vcc_lo, s9
	v_fma_f64 v[123:124], v[123:124], v[94:95], v[104:105]
	global_load_dwordx4 v[104:107], v[149:150], off offset:64
	v_fma_f64 v[151:152], v[111:112], v[94:95], v[108:109]
	global_load_dwordx4 v[108:111], v[147:148], off
	v_fma_f64 v[112:113], 0x80000000, v[94:95], v[121:122]
	v_fma_f64 v[121:122], 0x80000000, v[94:95], v[143:144]
	;; [unrolled: 1-line block ×6, first 2 shown]
	global_load_dwordx4 v[92:95], v[147:148], off offset:16
	s_waitcnt vmcnt(11)
	v_fma_f64 v[123:124], v[96:97], 0, v[123:124]
	v_fma_f64 v[143:144], v[96:97], 0, v[151:152]
	;; [unrolled: 1-line block ×16, first 2 shown]
	s_clause 0x1
	global_load_dwordx4 v[96:99], v[149:150], off offset:80
	global_load_dwordx4 v[112:115], v[149:150], off offset:16
	;; [unrolled: 1-line block ×3, first 2 shown]
	s_waitcnt vmcnt(12)
	v_fma_f64 v[143:144], v[35:36], v[37:38], v[145:146]
	v_fma_f64 v[33:34], v[37:38], 0, v[33:34]
	;; [unrolled: 1-line block ×16, first 2 shown]
	global_load_dwordx4 v[25:28], v[147:148], off offset:48
	s_waitcnt vmcnt(12)
	v_fma_f64 v[37:38], v[45:46], v[21:22], v[37:38]
	v_fma_f64 v[33:34], v[21:22], 0, v[33:34]
	v_fma_f64 v[35:36], v[53:54], v[21:22], v[35:36]
	v_fma_f64 v[41:42], v[21:22], 0, v[41:42]
	v_fma_f64 v[43:44], v[137:138], v[21:22], v[43:44]
	v_fma_f64 v[29:30], v[21:22], 0, v[29:30]
	v_fma_f64 v[31:32], v[125:126], v[21:22], v[31:32]
	v_fma_f64 v[21:22], v[21:22], 0, v[39:40]
	v_fma_f64 v[37:38], 0x80000000, v[23:24], v[37:38]
	v_fma_f64 v[33:34], v[45:46], v[23:24], v[33:34]
	v_fma_f64 v[35:36], 0x80000000, v[23:24], v[35:36]
	v_fma_f64 v[39:40], v[53:54], v[23:24], v[41:42]
	v_fma_f64 v[41:42], 0x80000000, v[23:24], v[43:44]
	v_fma_f64 v[29:30], v[137:138], v[23:24], v[29:30]
	v_fma_f64 v[31:32], 0x80000000, v[23:24], v[31:32]
	v_fma_f64 v[21:22], v[125:126], v[23:24], v[21:22]
	s_waitcnt vmcnt(11)
	v_fma_f64 v[23:24], v[47:48], v[9:10], v[37:38]
	v_fma_f64 v[33:34], v[9:10], 0, v[33:34]
	v_fma_f64 v[35:36], v[55:56], v[9:10], v[35:36]
	v_fma_f64 v[37:38], v[9:10], 0, v[39:40]
	v_fma_f64 v[39:40], v[139:140], v[9:10], v[41:42]
	v_fma_f64 v[29:30], v[9:10], 0, v[29:30]
	v_fma_f64 v[31:32], v[127:128], v[9:10], v[31:32]
	v_fma_f64 v[9:10], v[9:10], 0, v[21:22]
	v_fma_f64 v[21:22], 0x80000000, v[11:12], v[23:24]
	v_fma_f64 v[23:24], v[47:48], v[11:12], v[33:34]
	v_fma_f64 v[33:34], 0x80000000, v[11:12], v[35:36]
	v_fma_f64 v[35:36], v[55:56], v[11:12], v[37:38]
	v_fma_f64 v[37:38], 0x80000000, v[11:12], v[39:40]
	v_fma_f64 v[29:30], v[139:140], v[11:12], v[29:30]
	v_fma_f64 v[31:32], 0x80000000, v[11:12], v[31:32]
	v_fma_f64 v[9:10], v[127:128], v[11:12], v[9:10]
	;; [unrolled: 17-line block ×8, first 2 shown]
	s_andn2_b32 exec_lo, exec_lo, s9
	s_cbranch_execnz .LBB142_19
; %bb.20:
	s_or_b32 exec_lo, exec_lo, s9
.LBB142_21:
	s_or_b32 exec_lo, exec_lo, s8
.LBB142_22:
	s_or_b32 exec_lo, exec_lo, s3
	s_cbranch_execz .LBB142_24
	s_branch .LBB142_35
.LBB142_23:
                                        ; implicit-def: $vgpr57_vgpr58
                                        ; implicit-def: $vgpr72_vgpr73
                                        ; implicit-def: $vgpr74_vgpr75
                                        ; implicit-def: $vgpr82_vgpr83
                                        ; implicit-def: $vgpr80_vgpr81
                                        ; implicit-def: $vgpr78_vgpr79
                                        ; implicit-def: $vgpr76_vgpr77
                                        ; implicit-def: $vgpr59_vgpr60
.LBB142_24:
	v_mov_b32_e32 v57, 0
	v_mov_b32_e32 v72, 0
	;; [unrolled: 1-line block ×16, first 2 shown]
	s_and_saveexec_b32 s1, s0
	s_cbranch_execz .LBB142_34
; %bb.25:
	v_or_b32_e32 v9, 16, v0
	v_not_b32_e32 v13, v84
	v_not_b32_e32 v11, v85
	v_mov_b32_e32 v59, 0
	v_mov_b32_e32 v76, 0
	v_sub_co_u32 v9, s0, v9, s2
	v_sub_co_ci_u32_e64 v10, null, 0, 0, s0
	v_sub_co_u32 v14, s0, s2, v0
	v_add_co_u32 v9, vcc_lo, v9, v84
	v_add_co_ci_u32_e64 v10, null, v10, v85, vcc_lo
	v_sub_co_ci_u32_e64 v15, null, 0, 0, s0
	v_add_co_u32 v13, s0, v14, v13
	v_cmp_gt_i64_e32 vcc_lo, v[9:10], v[68:69]
	v_add_co_ci_u32_e64 v11, null, v15, v11, s0
	v_mov_b32_e32 v78, 0
	v_mov_b32_e32 v80, 0
	v_mov_b32_e32 v82, 0
	v_cndmask_b32_e32 v9, v68, v9, vcc_lo
	v_cndmask_b32_e32 v10, v69, v10, vcc_lo
	v_mov_b32_e32 v74, 0
	v_mov_b32_e32 v72, 0
	;; [unrolled: 1-line block ×3, first 2 shown]
	v_add_co_u32 v9, vcc_lo, v13, v9
	v_mov_b32_e32 v12, 0
	v_mov_b32_e32 v60, 0
	;; [unrolled: 1-line block ×4, first 2 shown]
	v_add_co_ci_u32_e64 v10, null, v11, v10, vcc_lo
	v_and_b32_e32 v11, 48, v9
	v_mov_b32_e32 v81, 0
	v_mov_b32_e32 v83, 0
	;; [unrolled: 1-line block ×5, first 2 shown]
	s_mov_b32 s3, exec_lo
	v_cmpx_ne_u64_e32 48, v[11:12]
	s_cbranch_execz .LBB142_29
; %bb.26:
	v_lshrrev_b32_e32 v13, 4, v9
	v_lshlrev_b64 v[11:12], 2, v[66:67]
	v_mov_b32_e32 v57, 0
	v_mov_b32_e32 v72, 0
	;; [unrolled: 1-line block ×3, first 2 shown]
	v_add_nc_u32_e32 v13, 1, v13
	v_mov_b32_e32 v82, 0
	v_add_co_u32 v11, vcc_lo, s12, v11
	v_mov_b32_e32 v80, 0
	v_and_b32_e32 v13, 3, v13
	v_mov_b32_e32 v78, 0
	v_mov_b32_e32 v76, 0
	v_mov_b32_e32 v59, 0
	v_mov_b32_e32 v58, 0
	v_sub_co_u32 v13, s0, 0, v13
	v_mov_b32_e32 v73, 0
	v_mov_b32_e32 v75, 0
	v_add_co_ci_u32_e64 v12, null, s13, v12, vcc_lo
	v_mov_b32_e32 v83, 0
	v_mov_b32_e32 v81, 0
	;; [unrolled: 1-line block ×5, first 2 shown]
	v_sub_co_ci_u32_e64 v14, null, 0, 0, s0
	s_mov_b32 s8, 0
.LBB142_27:                             ; =>This Inner Loop Header: Depth=1
	global_load_dword v23, v[11:12], off
	s_clause 0x1
	global_load_dwordx4 v[15:18], v[70:71], off offset:16
	global_load_dwordx4 v[19:22], v[70:71], off
	v_add_co_u32 v11, s0, v11, 64
	v_add_co_ci_u32_e64 v12, null, 0, v12, s0
	s_waitcnt vmcnt(2)
	v_subrev_nc_u32_e32 v23, s2, v23
	v_lshlrev_b32_e32 v23, 2, v23
	v_ashrrev_i32_e32 v24, 31, v23
	v_lshlrev_b64 v[23:24], 4, v[23:24]
	v_add_co_u32 v51, vcc_lo, s6, v23
	v_add_co_ci_u32_e64 v52, null, s7, v24, vcc_lo
	s_clause 0x1
	global_load_dwordx4 v[23:26], v[51:52], off
	global_load_dwordx4 v[27:30], v[51:52], off offset:16
	s_clause 0x3
	global_load_dwordx4 v[31:34], v[70:71], off offset:32
	global_load_dwordx4 v[35:38], v[70:71], off offset:48
	;; [unrolled: 1-line block ×4, first 2 shown]
	s_clause 0x1
	global_load_dwordx4 v[47:50], v[51:52], off offset:32
	global_load_dwordx4 v[51:54], v[51:52], off offset:48
	s_clause 0x1
	global_load_dwordx4 v[61:64], v[70:71], off offset:96
	global_load_dwordx4 v[84:87], v[70:71], off offset:112
	v_add_co_u32 v70, vcc_lo, 0x800, v70
	v_add_co_ci_u32_e64 v71, null, 0, v71, vcc_lo
	v_add_co_u32 v13, vcc_lo, v13, 1
	v_add_co_ci_u32_e64 v14, null, 0, v14, vcc_lo
	;; [unrolled: 2-line block ×3, first 2 shown]
	v_cmp_eq_u64_e32 vcc_lo, 0, v[13:14]
	s_or_b32 s8, vcc_lo, s8
	s_waitcnt vmcnt(9)
	v_fma_f64 v[55:56], v[19:20], v[23:24], v[72:73]
	v_fma_f64 v[57:58], v[23:24], 0, v[57:58]
	;; [unrolled: 1-line block ×16, first 2 shown]
	s_waitcnt vmcnt(7)
	v_fma_f64 v[23:24], v[31:32], v[27:28], v[55:56]
	v_fma_f64 v[19:20], v[27:28], 0, v[19:20]
	;; [unrolled: 1-line block ×4, first 2 shown]
	s_waitcnt vmcnt(6)
	v_fma_f64 v[55:56], v[35:36], v[27:28], v[72:73]
	v_fma_f64 v[15:16], v[27:28], 0, v[15:16]
	;; [unrolled: 1-line block ×12, first 2 shown]
	s_waitcnt vmcnt(3)
	v_fma_f64 v[23:24], v[43:44], v[47:48], v[23:24]
	v_fma_f64 v[19:20], v[47:48], 0, v[19:20]
	;; [unrolled: 1-line block ×16, first 2 shown]
	s_waitcnt vmcnt(1)
	v_fma_f64 v[23:24], v[61:62], v[51:52], v[23:24]
	v_fma_f64 v[19:20], v[51:52], 0, v[19:20]
	;; [unrolled: 1-line block ×4, first 2 shown]
	s_waitcnt vmcnt(0)
	v_fma_f64 v[27:28], v[84:85], v[51:52], v[27:28]
	v_fma_f64 v[15:16], v[51:52], 0, v[15:16]
	v_fma_f64 v[29:30], v[86:87], v[51:52], v[29:30]
	v_fma_f64 v[17:18], v[51:52], 0, v[17:18]
	v_fma_f64 v[72:73], 0x80000000, v[53:54], v[23:24]
	v_fma_f64 v[57:58], v[61:62], v[53:54], v[19:20]
	v_fma_f64 v[82:83], 0x80000000, v[53:54], v[25:26]
	v_fma_f64 v[74:75], v[63:64], v[53:54], v[21:22]
	v_fma_f64 v[78:79], 0x80000000, v[53:54], v[27:28]
	v_fma_f64 v[80:81], v[84:85], v[53:54], v[15:16]
	v_fma_f64 v[59:60], 0x80000000, v[53:54], v[29:30]
	v_fma_f64 v[76:77], v[86:87], v[53:54], v[17:18]
	s_andn2_b32 exec_lo, exec_lo, s8
	s_cbranch_execnz .LBB142_27
; %bb.28:
	s_or_b32 exec_lo, exec_lo, s8
.LBB142_29:
	s_or_b32 exec_lo, exec_lo, s3
	s_mov_b32 s3, exec_lo
	v_cmpx_lt_u64_e32 47, v[9:10]
	s_cbranch_execz .LBB142_33
; %bb.30:
	v_lshlrev_b64 v[9:10], 2, v[66:67]
	s_mov_b32 s8, 0
	v_add_co_u32 v9, vcc_lo, s12, v9
	v_add_co_ci_u32_e64 v10, null, s13, v10, vcc_lo
	v_add_co_u32 v9, vcc_lo, 0x80, v9
	v_add_co_ci_u32_e64 v10, null, 0, v10, vcc_lo
.LBB142_31:                             ; =>This Inner Loop Header: Depth=1
	s_clause 0x1
	global_load_dword v61, v[9:10], off offset:-128
	global_load_dword v62, v[9:10], off offset:-64
	s_clause 0x5
	global_load_dwordx4 v[11:14], v[70:71], off offset:48
	global_load_dwordx4 v[15:18], v[70:71], off offset:32
	;; [unrolled: 1-line block ×3, first 2 shown]
	global_load_dwordx4 v[23:26], v[70:71], off
	global_load_dwordx4 v[27:30], v[70:71], off offset:112
	global_load_dwordx4 v[31:34], v[70:71], off offset:96
	v_add_co_u32 v55, vcc_lo, 0x800, v70
	v_add_co_ci_u32_e64 v56, null, 0, v71, vcc_lo
	v_add_co_u32 v120, vcc_lo, v70, 0x1000
	v_add_co_ci_u32_e64 v121, null, 0, v71, vcc_lo
	s_clause 0x1
	global_load_dwordx4 v[35:38], v[70:71], off offset:80
	global_load_dwordx4 v[39:42], v[70:71], off offset:64
	s_clause 0x1
	global_load_dword v136, v[9:10], off
	global_load_dword v137, v[9:10], off offset:64
	s_clause 0x2
	global_load_dwordx4 v[43:46], v[120:121], off offset:-2048
	global_load_dwordx4 v[47:50], v[55:56], off offset:32
	global_load_dwordx4 v[51:54], v[55:56], off offset:16
	s_waitcnt vmcnt(14)
	v_subrev_nc_u32_e32 v61, s2, v61
	s_waitcnt vmcnt(13)
	v_subrev_nc_u32_e32 v62, s2, v62
	v_lshlrev_b32_e32 v61, 2, v61
	v_lshlrev_b32_e32 v96, 2, v62
	v_ashrrev_i32_e32 v62, 31, v61
	v_ashrrev_i32_e32 v97, 31, v96
	s_waitcnt vmcnt(4)
	v_subrev_nc_u32_e32 v136, s2, v136
	v_lshlrev_b64 v[61:62], 4, v[61:62]
	v_lshlrev_b64 v[96:97], 4, v[96:97]
	v_add_co_u32 v92, vcc_lo, s6, v61
	v_add_co_ci_u32_e64 v93, null, s7, v62, vcc_lo
	v_add_co_u32 v128, vcc_lo, s6, v96
	v_add_co_ci_u32_e64 v129, null, s7, v97, vcc_lo
	s_clause 0x3
	global_load_dwordx4 v[61:64], v[92:93], off
	global_load_dwordx4 v[84:87], v[92:93], off offset:16
	global_load_dwordx4 v[88:91], v[92:93], off offset:32
	;; [unrolled: 1-line block ×3, first 2 shown]
	v_add_co_u32 v130, vcc_lo, 0x1000, v70
	global_load_dwordx4 v[96:99], v[128:129], off
	s_clause 0x5
	global_load_dwordx4 v[100:103], v[55:56], off offset:112
	global_load_dwordx4 v[104:107], v[55:56], off offset:96
	;; [unrolled: 1-line block ×5, first 2 shown]
	global_load_dwordx4 v[120:123], v[120:121], off
	global_load_dwordx4 v[124:127], v[128:129], off offset:16
	v_add_co_ci_u32_e64 v131, null, 0, v71, vcc_lo
	v_add_co_u32 v132, vcc_lo, 0x1800, v70
	v_add_co_ci_u32_e64 v133, null, 0, v71, vcc_lo
	v_add_co_u32 v70, s0, 0x2000, v70
	v_add_co_ci_u32_e64 v71, null, 0, v71, s0
	s_waitcnt vmcnt(11)
	v_fma_f64 v[55:56], v[61:62], 0, v[57:58]
	v_fma_f64 v[57:58], v[61:62], 0, v[74:75]
	;; [unrolled: 1-line block ×13, first 2 shown]
	global_load_dwordx4 v[23:26], v[130:131], off offset:48
	s_waitcnt vmcnt(11)
	v_fma_f64 v[80:81], v[84:85], 0, v[134:135]
	v_fma_f64 v[61:62], v[19:20], v[63:64], v[55:56]
	;; [unrolled: 1-line block ×3, first 2 shown]
	global_load_dwordx4 v[55:58], v[128:129], off offset:32
	v_fma_f64 v[76:77], 0x80000000, v[63:64], v[76:77]
	v_fma_f64 v[63:64], v[84:85], 0, v[82:83]
	v_fma_f64 v[72:73], v[15:16], v[84:85], v[72:73]
	v_fma_f64 v[74:75], v[17:18], v[84:85], v[74:75]
	v_fma_f64 v[59:60], v[13:14], v[84:85], v[59:60]
	global_load_dwordx4 v[19:22], v[130:131], off offset:32
	v_fma_f64 v[80:81], v[17:18], v[86:87], v[80:81]
	v_fma_f64 v[61:62], v[84:85], 0, v[61:62]
	;; [unrolled: 1-line block ×5, first 2 shown]
	v_lshlrev_b32_e32 v15, 2, v136
	v_fma_f64 v[72:73], 0x80000000, v[86:87], v[72:73]
	v_fma_f64 v[74:75], 0x80000000, v[86:87], v[74:75]
	v_ashrrev_i32_e32 v16, 31, v15
	v_lshlrev_b64 v[15:16], 4, v[15:16]
	v_add_co_u32 v82, vcc_lo, s6, v15
	v_add_co_ci_u32_e64 v83, null, s7, v16, vcc_lo
	global_load_dwordx4 v[15:18], v[128:129], off offset:48
	v_fma_f64 v[84:85], v[11:12], v[86:87], v[61:62]
	v_fma_f64 v[78:79], v[13:14], v[86:87], v[78:79]
	global_load_dwordx4 v[11:14], v[130:131], off offset:16
	v_fma_f64 v[76:77], 0x80000000, v[86:87], v[76:77]
	v_fma_f64 v[86:87], 0x80000000, v[86:87], v[59:60]
	global_load_dwordx4 v[59:62], v[82:83], off
	s_waitcnt vmcnt(15)
	v_fma_f64 v[80:81], v[88:89], 0, v[80:81]
	v_fma_f64 v[63:64], v[88:89], 0, v[63:64]
	;; [unrolled: 1-line block ×12, first 2 shown]
	global_load_dwordx4 v[72:75], v[82:83], off offset:16
	global_load_dwordx4 v[39:42], v[130:131], off offset:96
	v_fma_f64 v[84:85], v[35:36], v[90:91], v[84:85]
	v_fma_f64 v[78:79], v[37:38], v[90:91], v[78:79]
	global_load_dwordx4 v[35:38], v[130:131], off offset:80
	v_fma_f64 v[76:77], 0x80000000, v[90:91], v[76:77]
	v_fma_f64 v[86:87], 0x80000000, v[90:91], v[86:87]
	s_waitcnt vmcnt(17)
	v_fma_f64 v[80:81], v[92:93], 0, v[80:81]
	v_fma_f64 v[63:64], v[92:93], 0, v[63:64]
	;; [unrolled: 1-line block ×10, first 2 shown]
	global_load_dwordx4 v[31:34], v[130:131], off offset:64
	v_fma_f64 v[88:89], 0x80000000, v[94:95], v[88:89]
	v_fma_f64 v[90:91], 0x80000000, v[94:95], v[90:91]
	;; [unrolled: 1-line block ×4, first 2 shown]
	global_load_dwordx4 v[76:79], v[130:131], off offset:112
	v_fma_f64 v[86:87], v[27:28], v[94:95], v[80:81]
	global_load_dwordx4 v[27:30], v[82:83], off offset:32
	v_fma_f64 v[84:85], 0x80000000, v[94:95], v[84:85]
	s_waitcnt vmcnt(19)
	v_fma_f64 v[63:64], v[96:97], 0, v[63:64]
	v_fma_f64 v[94:95], v[96:97], 0, v[128:129]
	v_subrev_nc_u32_e32 v80, s2, v137
	v_fma_f64 v[88:89], v[43:44], v[96:97], v[88:89]
	v_fma_f64 v[90:91], v[45:46], v[96:97], v[90:91]
	v_lshlrev_b32_e32 v80, 2, v80
	v_ashrrev_i32_e32 v81, 31, v80
	v_fma_f64 v[92:93], v[96:97], 0, v[92:93]
	v_fma_f64 v[128:129], v[51:52], v[96:97], v[134:135]
	v_lshlrev_b64 v[80:81], 4, v[80:81]
	v_fma_f64 v[86:87], v[96:97], 0, v[86:87]
	v_fma_f64 v[84:85], v[53:54], v[96:97], v[84:85]
	;; [unrolled: 1-line block ×4, first 2 shown]
	global_load_dwordx4 v[43:46], v[132:133], off
	v_add_co_u32 v130, vcc_lo, s6, v80
	v_add_co_ci_u32_e64 v131, null, s7, v81, vcc_lo
	v_fma_f64 v[88:89], 0x80000000, v[98:99], v[88:89]
	v_fma_f64 v[90:91], 0x80000000, v[98:99], v[90:91]
	v_add_co_u32 v66, vcc_lo, v66, 64
	v_add_co_ci_u32_e64 v67, null, 0, v67, vcc_lo
	v_fma_f64 v[92:93], v[53:54], v[98:99], v[92:93]
	v_add_co_u32 v9, vcc_lo, 0x100, v9
	v_fma_f64 v[128:129], 0x80000000, v[98:99], v[128:129]
	v_add_co_ci_u32_e64 v10, null, 0, v10, vcc_lo
	v_fma_f64 v[96:97], v[51:52], v[98:99], v[86:87]
	global_load_dwordx4 v[51:54], v[132:133], off offset:16
	v_fma_f64 v[98:99], 0x80000000, v[98:99], v[84:85]
	s_clause 0x1
	global_load_dwordx4 v[84:87], v[130:131], off
	global_load_dwordx4 v[80:83], v[82:83], off offset:48
	s_waitcnt vmcnt(16)
	v_fma_f64 v[94:95], v[124:125], 0, v[94:95]
	v_fma_f64 v[63:64], v[124:125], 0, v[63:64]
	v_cmp_ge_i64_e32 vcc_lo, v[66:67], v[68:69]
	v_fma_f64 v[88:89], v[47:48], v[124:125], v[88:89]
	v_fma_f64 v[90:91], v[49:50], v[124:125], v[90:91]
	s_or_b32 s8, vcc_lo, s8
	v_fma_f64 v[92:93], v[124:125], 0, v[92:93]
	v_fma_f64 v[96:97], v[124:125], 0, v[96:97]
	;; [unrolled: 1-line block ×6, first 2 shown]
	global_load_dwordx4 v[47:50], v[130:131], off offset:16
	v_fma_f64 v[124:125], 0x80000000, v[126:127], v[88:89]
	v_fma_f64 v[128:129], 0x80000000, v[126:127], v[90:91]
	;; [unrolled: 1-line block ×6, first 2 shown]
	s_clause 0x1
	global_load_dwordx4 v[88:91], v[132:133], off offset:32
	global_load_dwordx4 v[92:95], v[132:133], off offset:48
	s_waitcnt vmcnt(17)
	v_fma_f64 v[114:115], v[116:117], v[55:56], v[124:125]
	v_fma_f64 v[63:64], v[55:56], 0, v[63:64]
	;; [unrolled: 1-line block ×16, first 2 shown]
	s_clause 0x1
	global_load_dwordx4 v[55:58], v[132:133], off offset:80
	global_load_dwordx4 v[96:99], v[132:133], off offset:64
	;; [unrolled: 1-line block ×3, first 2 shown]
	s_waitcnt vmcnt(18)
	v_fma_f64 v[112:113], v[104:105], v[15:16], v[112:113]
	v_fma_f64 v[63:64], v[15:16], 0, v[63:64]
	;; [unrolled: 1-line block ×16, first 2 shown]
	s_clause 0x1
	global_load_dwordx4 v[15:18], v[132:133], off offset:96
	global_load_dwordx4 v[100:103], v[132:133], off offset:112
	;; [unrolled: 1-line block ×3, first 2 shown]
	s_waitcnt vmcnt(19)
	v_fma_f64 v[112:113], v[120:121], v[59:60], v[112:113]
	v_fma_f64 v[63:64], v[59:60], 0, v[63:64]
	v_fma_f64 v[114:115], v[122:123], v[59:60], v[114:115]
	v_fma_f64 v[116:117], v[59:60], 0, v[116:117]
	v_fma_f64 v[118:119], v[11:12], v[59:60], v[118:119]
	v_fma_f64 v[124:125], v[59:60], 0, v[124:125]
	v_fma_f64 v[126:127], v[13:14], v[59:60], v[126:127]
	v_fma_f64 v[59:60], v[59:60], 0, v[128:129]
	v_fma_f64 v[112:113], 0x80000000, v[61:62], v[112:113]
	v_fma_f64 v[63:64], v[120:121], v[61:62], v[63:64]
	v_fma_f64 v[114:115], 0x80000000, v[61:62], v[114:115]
	v_fma_f64 v[116:117], v[122:123], v[61:62], v[116:117]
	v_fma_f64 v[118:119], 0x80000000, v[61:62], v[118:119]
	v_fma_f64 v[11:12], v[11:12], v[61:62], v[124:125]
	v_fma_f64 v[120:121], 0x80000000, v[61:62], v[126:127]
	v_fma_f64 v[13:14], v[13:14], v[61:62], v[59:60]
	s_waitcnt vmcnt(18)
	v_fma_f64 v[59:60], v[19:20], v[72:73], v[112:113]
	v_fma_f64 v[61:62], v[72:73], 0, v[63:64]
	v_fma_f64 v[63:64], v[21:22], v[72:73], v[114:115]
	v_fma_f64 v[112:113], v[72:73], 0, v[116:117]
	v_fma_f64 v[114:115], v[23:24], v[72:73], v[118:119]
	v_fma_f64 v[11:12], v[72:73], 0, v[11:12]
	v_fma_f64 v[116:117], v[25:26], v[72:73], v[120:121]
	v_fma_f64 v[13:14], v[72:73], 0, v[13:14]
	v_fma_f64 v[59:60], 0x80000000, v[74:75], v[59:60]
	v_fma_f64 v[19:20], v[19:20], v[74:75], v[61:62]
	v_fma_f64 v[61:62], 0x80000000, v[74:75], v[63:64]
	v_fma_f64 v[21:22], v[21:22], v[74:75], v[112:113]
	v_fma_f64 v[63:64], 0x80000000, v[74:75], v[114:115]
	v_fma_f64 v[11:12], v[23:24], v[74:75], v[11:12]
	v_fma_f64 v[23:24], 0x80000000, v[74:75], v[116:117]
	v_fma_f64 v[13:14], v[25:26], v[74:75], v[13:14]
	;; [unrolled: 17-line block ×4, first 2 shown]
	v_fma_f64 v[25:26], v[43:44], v[84:85], v[25:26]
	v_fma_f64 v[19:20], v[84:85], 0, v[19:20]
	;; [unrolled: 1-line block ×16, first 2 shown]
	s_waitcnt vmcnt(7)
	v_fma_f64 v[25:26], v[88:89], v[47:48], v[25:26]
	v_fma_f64 v[19:20], v[47:48], 0, v[19:20]
	;; [unrolled: 1-line block ×4, first 2 shown]
	s_waitcnt vmcnt(6)
	v_fma_f64 v[29:30], v[92:93], v[47:48], v[29:30]
	v_fma_f64 v[11:12], v[47:48], 0, v[11:12]
	;; [unrolled: 1-line block ×12, first 2 shown]
	s_waitcnt vmcnt(3)
	v_fma_f64 v[25:26], v[96:97], v[108:109], v[25:26]
	v_fma_f64 v[19:20], v[108:109], 0, v[19:20]
	;; [unrolled: 1-line block ×16, first 2 shown]
	s_waitcnt vmcnt(0)
	v_fma_f64 v[25:26], v[15:16], v[104:105], v[25:26]
	v_fma_f64 v[19:20], v[104:105], 0, v[19:20]
	;; [unrolled: 1-line block ×16, first 2 shown]
	s_andn2_b32 exec_lo, exec_lo, s8
	s_cbranch_execnz .LBB142_31
; %bb.32:
	s_or_b32 exec_lo, exec_lo, s8
.LBB142_33:
	s_or_b32 exec_lo, exec_lo, s3
.LBB142_34:
	s_or_b32 exec_lo, exec_lo, s1
.LBB142_35:
	v_mbcnt_lo_u32_b32 v41, -1, 0
	v_xor_b32_e32 v9, 8, v41
	v_xor_b32_e32 v25, 4, v41
	v_cmp_gt_i32_e32 vcc_lo, 32, v9
	v_cndmask_b32_e32 v9, v41, v9, vcc_lo
	v_cmp_gt_i32_e32 vcc_lo, 32, v25
	v_lshlrev_b32_e32 v24, 2, v9
	v_cndmask_b32_e32 v25, v41, v25, vcc_lo
	ds_bpermute_b32 v9, v24, v72
	ds_bpermute_b32 v10, v24, v73
	;; [unrolled: 1-line block ×16, first 2 shown]
	v_lshlrev_b32_e32 v40, 2, v25
	s_waitcnt lgkmcnt(14)
	v_add_f64 v[9:10], v[72:73], v[9:10]
	s_waitcnt lgkmcnt(12)
	v_add_f64 v[11:12], v[57:58], v[11:12]
	s_waitcnt lgkmcnt(10)
	v_add_f64 v[13:14], v[82:83], v[13:14]
	s_waitcnt lgkmcnt(8)
	v_add_f64 v[15:16], v[74:75], v[15:16]
	s_waitcnt lgkmcnt(6)
	v_add_f64 v[17:18], v[78:79], v[17:18]
	s_waitcnt lgkmcnt(4)
	v_add_f64 v[19:20], v[80:81], v[19:20]
	s_waitcnt lgkmcnt(2)
	v_add_f64 v[21:22], v[59:60], v[21:22]
	s_waitcnt lgkmcnt(0)
	v_add_f64 v[23:24], v[76:77], v[23:24]
	ds_bpermute_b32 v25, v40, v9
	ds_bpermute_b32 v26, v40, v10
	;; [unrolled: 1-line block ×16, first 2 shown]
	s_waitcnt lgkmcnt(14)
	v_add_f64 v[9:10], v[9:10], v[25:26]
	v_xor_b32_e32 v25, 2, v41
	s_waitcnt lgkmcnt(12)
	v_add_f64 v[11:12], v[11:12], v[27:28]
	s_waitcnt lgkmcnt(10)
	v_add_f64 v[13:14], v[13:14], v[29:30]
	v_cmp_gt_i32_e32 vcc_lo, 32, v25
	s_waitcnt lgkmcnt(8)
	v_add_f64 v[15:16], v[15:16], v[31:32]
	s_waitcnt lgkmcnt(6)
	v_add_f64 v[17:18], v[17:18], v[33:34]
	;; [unrolled: 2-line block ×3, first 2 shown]
	v_cndmask_b32_e32 v27, v41, v25, vcc_lo
	s_waitcnt lgkmcnt(2)
	v_add_f64 v[21:22], v[21:22], v[37:38]
	s_waitcnt lgkmcnt(0)
	v_add_f64 v[25:26], v[23:24], v[39:40]
	v_lshlrev_b32_e32 v40, 2, v27
	ds_bpermute_b32 v23, v40, v9
	ds_bpermute_b32 v24, v40, v10
	;; [unrolled: 1-line block ×16, first 2 shown]
	s_waitcnt lgkmcnt(14)
	v_add_f64 v[9:10], v[9:10], v[23:24]
	s_waitcnt lgkmcnt(12)
	v_add_f64 v[27:28], v[11:12], v[27:28]
	;; [unrolled: 2-line block ×3, first 2 shown]
	v_xor_b32_e32 v29, 1, v41
	s_waitcnt lgkmcnt(8)
	v_add_f64 v[23:24], v[15:16], v[31:32]
	s_waitcnt lgkmcnt(6)
	v_add_f64 v[13:14], v[17:18], v[33:34]
	v_cmp_gt_i32_e32 vcc_lo, 32, v29
	s_waitcnt lgkmcnt(4)
	v_add_f64 v[17:18], v[19:20], v[35:36]
	s_waitcnt lgkmcnt(2)
	v_add_f64 v[15:16], v[21:22], v[37:38]
	s_waitcnt lgkmcnt(0)
	v_add_f64 v[19:20], v[25:26], v[39:40]
	v_cndmask_b32_e32 v29, v41, v29, vcc_lo
	v_cmp_eq_u32_e32 vcc_lo, 15, v0
	v_lshlrev_b32_e32 v34, 2, v29
	ds_bpermute_b32 v21, v34, v9
	ds_bpermute_b32 v22, v34, v10
	;; [unrolled: 1-line block ×16, first 2 shown]
	s_and_b32 exec_lo, exec_lo, vcc_lo
	s_cbranch_execz .LBB142_8
; %bb.36:
	s_waitcnt lgkmcnt(12)
	v_add_f64 v[27:28], v[27:28], v[39:40]
	s_waitcnt lgkmcnt(8)
	v_add_f64 v[23:24], v[23:24], v[37:38]
	;; [unrolled: 2-line block ×4, first 2 shown]
	v_add_f64 v[9:10], v[9:10], v[21:22]
	v_add_f64 v[11:12], v[11:12], v[25:26]
	;; [unrolled: 1-line block ×4, first 2 shown]
	v_cmp_eq_f64_e32 vcc_lo, 0, v[1:2]
	v_cmp_eq_f64_e64 s0, 0, v[3:4]
	s_load_dwordx2 s[2:3], s[4:5], 0x60
	v_mul_f64 v[13:14], v[27:28], -v[7:8]
	v_mul_f64 v[15:16], v[5:6], v[27:28]
	v_mul_f64 v[27:28], v[23:24], -v[7:8]
	v_mul_f64 v[23:24], v[5:6], v[23:24]
	;; [unrolled: 2-line block ×4, first 2 shown]
	s_and_b32 s0, vcc_lo, s0
	v_fma_f64 v[17:18], v[5:6], v[9:10], v[13:14]
	v_fma_f64 v[19:20], v[7:8], v[9:10], v[15:16]
	;; [unrolled: 1-line block ×8, first 2 shown]
	v_lshlrev_b32_e32 v21, 2, v65
	s_and_saveexec_b32 s1, s0
	s_xor_b32 s0, exec_lo, s1
	s_cbranch_execz .LBB142_38
; %bb.37:
	v_ashrrev_i32_e32 v22, 31, v21
	v_lshlrev_b64 v[0:1], 4, v[21:22]
                                        ; implicit-def: $vgpr21
	s_waitcnt lgkmcnt(0)
	v_add_co_u32 v0, vcc_lo, s2, v0
	v_add_co_ci_u32_e64 v1, null, s3, v1, vcc_lo
	global_store_dwordx4 v[0:1], v[17:20], off
	global_store_dwordx4 v[0:1], v[13:16], off offset:16
	global_store_dwordx4 v[0:1], v[9:12], off offset:32
	;; [unrolled: 1-line block ×3, first 2 shown]
                                        ; implicit-def: $vgpr3_vgpr4
                                        ; implicit-def: $vgpr17_vgpr18
                                        ; implicit-def: $vgpr13_vgpr14
                                        ; implicit-def: $vgpr9_vgpr10
                                        ; implicit-def: $vgpr5_vgpr6
.LBB142_38:
	s_andn2_saveexec_b32 s0, s0
	s_cbranch_execz .LBB142_8
; %bb.39:
	v_ashrrev_i32_e32 v22, 31, v21
	v_lshlrev_b64 v[21:22], 4, v[21:22]
	s_waitcnt lgkmcnt(0)
	v_add_co_u32 v37, vcc_lo, s2, v21
	v_add_co_ci_u32_e64 v38, null, s3, v22, vcc_lo
	s_clause 0x3
	global_load_dwordx4 v[21:24], v[37:38], off
	global_load_dwordx4 v[25:28], v[37:38], off offset:16
	global_load_dwordx4 v[29:32], v[37:38], off offset:32
	;; [unrolled: 1-line block ×3, first 2 shown]
	s_waitcnt vmcnt(3)
	v_fma_f64 v[17:18], v[1:2], v[21:22], v[17:18]
	v_fma_f64 v[19:20], v[3:4], v[21:22], v[19:20]
	s_waitcnt vmcnt(2)
	v_fma_f64 v[13:14], v[1:2], v[25:26], v[13:14]
	v_fma_f64 v[15:16], v[3:4], v[25:26], v[15:16]
	;; [unrolled: 3-line block ×4, first 2 shown]
	v_fma_f64 v[5:6], -v[3:4], v[23:24], v[17:18]
	v_fma_f64 v[7:8], v[1:2], v[23:24], v[19:20]
	v_fma_f64 v[9:10], -v[3:4], v[27:28], v[13:14]
	v_fma_f64 v[11:12], v[1:2], v[27:28], v[15:16]
	;; [unrolled: 2-line block ×4, first 2 shown]
	global_store_dwordx4 v[37:38], v[5:8], off
	global_store_dwordx4 v[37:38], v[9:12], off offset:16
	global_store_dwordx4 v[37:38], v[13:16], off offset:32
	;; [unrolled: 1-line block ×3, first 2 shown]
	s_endpgm
	.section	.rodata,"a",@progbits
	.p2align	6, 0x0
	.amdhsa_kernel _ZN9rocsparseL18bsrxmvn_4x4_kernelILj128ELj16E21rocsparse_complex_numIdElidS2_S2_EEvT3_20rocsparse_direction_NS_24const_host_device_scalarIT1_EES3_PKS3_PKT2_SC_S9_PKT4_PKT5_S7_PT6_21rocsparse_index_base_b
		.amdhsa_group_segment_fixed_size 0
		.amdhsa_private_segment_fixed_size 0
		.amdhsa_kernarg_size 112
		.amdhsa_user_sgpr_count 6
		.amdhsa_user_sgpr_private_segment_buffer 1
		.amdhsa_user_sgpr_dispatch_ptr 0
		.amdhsa_user_sgpr_queue_ptr 0
		.amdhsa_user_sgpr_kernarg_segment_ptr 1
		.amdhsa_user_sgpr_dispatch_id 0
		.amdhsa_user_sgpr_flat_scratch_init 0
		.amdhsa_user_sgpr_private_segment_size 0
		.amdhsa_wavefront_size32 1
		.amdhsa_uses_dynamic_stack 0
		.amdhsa_system_sgpr_private_segment_wavefront_offset 0
		.amdhsa_system_sgpr_workgroup_id_x 1
		.amdhsa_system_sgpr_workgroup_id_y 0
		.amdhsa_system_sgpr_workgroup_id_z 0
		.amdhsa_system_sgpr_workgroup_info 0
		.amdhsa_system_vgpr_workitem_id 0
		.amdhsa_next_free_vgpr 159
		.amdhsa_next_free_sgpr 16
		.amdhsa_reserve_vcc 1
		.amdhsa_reserve_flat_scratch 0
		.amdhsa_float_round_mode_32 0
		.amdhsa_float_round_mode_16_64 0
		.amdhsa_float_denorm_mode_32 3
		.amdhsa_float_denorm_mode_16_64 3
		.amdhsa_dx10_clamp 1
		.amdhsa_ieee_mode 1
		.amdhsa_fp16_overflow 0
		.amdhsa_workgroup_processor_mode 1
		.amdhsa_memory_ordered 1
		.amdhsa_forward_progress 1
		.amdhsa_shared_vgpr_count 0
		.amdhsa_exception_fp_ieee_invalid_op 0
		.amdhsa_exception_fp_denorm_src 0
		.amdhsa_exception_fp_ieee_div_zero 0
		.amdhsa_exception_fp_ieee_overflow 0
		.amdhsa_exception_fp_ieee_underflow 0
		.amdhsa_exception_fp_ieee_inexact 0
		.amdhsa_exception_int_div_zero 0
	.end_amdhsa_kernel
	.section	.text._ZN9rocsparseL18bsrxmvn_4x4_kernelILj128ELj16E21rocsparse_complex_numIdElidS2_S2_EEvT3_20rocsparse_direction_NS_24const_host_device_scalarIT1_EES3_PKS3_PKT2_SC_S9_PKT4_PKT5_S7_PT6_21rocsparse_index_base_b,"axG",@progbits,_ZN9rocsparseL18bsrxmvn_4x4_kernelILj128ELj16E21rocsparse_complex_numIdElidS2_S2_EEvT3_20rocsparse_direction_NS_24const_host_device_scalarIT1_EES3_PKS3_PKT2_SC_S9_PKT4_PKT5_S7_PT6_21rocsparse_index_base_b,comdat
.Lfunc_end142:
	.size	_ZN9rocsparseL18bsrxmvn_4x4_kernelILj128ELj16E21rocsparse_complex_numIdElidS2_S2_EEvT3_20rocsparse_direction_NS_24const_host_device_scalarIT1_EES3_PKS3_PKT2_SC_S9_PKT4_PKT5_S7_PT6_21rocsparse_index_base_b, .Lfunc_end142-_ZN9rocsparseL18bsrxmvn_4x4_kernelILj128ELj16E21rocsparse_complex_numIdElidS2_S2_EEvT3_20rocsparse_direction_NS_24const_host_device_scalarIT1_EES3_PKS3_PKT2_SC_S9_PKT4_PKT5_S7_PT6_21rocsparse_index_base_b
                                        ; -- End function
	.set _ZN9rocsparseL18bsrxmvn_4x4_kernelILj128ELj16E21rocsparse_complex_numIdElidS2_S2_EEvT3_20rocsparse_direction_NS_24const_host_device_scalarIT1_EES3_PKS3_PKT2_SC_S9_PKT4_PKT5_S7_PT6_21rocsparse_index_base_b.num_vgpr, 159
	.set _ZN9rocsparseL18bsrxmvn_4x4_kernelILj128ELj16E21rocsparse_complex_numIdElidS2_S2_EEvT3_20rocsparse_direction_NS_24const_host_device_scalarIT1_EES3_PKS3_PKT2_SC_S9_PKT4_PKT5_S7_PT6_21rocsparse_index_base_b.num_agpr, 0
	.set _ZN9rocsparseL18bsrxmvn_4x4_kernelILj128ELj16E21rocsparse_complex_numIdElidS2_S2_EEvT3_20rocsparse_direction_NS_24const_host_device_scalarIT1_EES3_PKS3_PKT2_SC_S9_PKT4_PKT5_S7_PT6_21rocsparse_index_base_b.numbered_sgpr, 16
	.set _ZN9rocsparseL18bsrxmvn_4x4_kernelILj128ELj16E21rocsparse_complex_numIdElidS2_S2_EEvT3_20rocsparse_direction_NS_24const_host_device_scalarIT1_EES3_PKS3_PKT2_SC_S9_PKT4_PKT5_S7_PT6_21rocsparse_index_base_b.num_named_barrier, 0
	.set _ZN9rocsparseL18bsrxmvn_4x4_kernelILj128ELj16E21rocsparse_complex_numIdElidS2_S2_EEvT3_20rocsparse_direction_NS_24const_host_device_scalarIT1_EES3_PKS3_PKT2_SC_S9_PKT4_PKT5_S7_PT6_21rocsparse_index_base_b.private_seg_size, 0
	.set _ZN9rocsparseL18bsrxmvn_4x4_kernelILj128ELj16E21rocsparse_complex_numIdElidS2_S2_EEvT3_20rocsparse_direction_NS_24const_host_device_scalarIT1_EES3_PKS3_PKT2_SC_S9_PKT4_PKT5_S7_PT6_21rocsparse_index_base_b.uses_vcc, 1
	.set _ZN9rocsparseL18bsrxmvn_4x4_kernelILj128ELj16E21rocsparse_complex_numIdElidS2_S2_EEvT3_20rocsparse_direction_NS_24const_host_device_scalarIT1_EES3_PKS3_PKT2_SC_S9_PKT4_PKT5_S7_PT6_21rocsparse_index_base_b.uses_flat_scratch, 0
	.set _ZN9rocsparseL18bsrxmvn_4x4_kernelILj128ELj16E21rocsparse_complex_numIdElidS2_S2_EEvT3_20rocsparse_direction_NS_24const_host_device_scalarIT1_EES3_PKS3_PKT2_SC_S9_PKT4_PKT5_S7_PT6_21rocsparse_index_base_b.has_dyn_sized_stack, 0
	.set _ZN9rocsparseL18bsrxmvn_4x4_kernelILj128ELj16E21rocsparse_complex_numIdElidS2_S2_EEvT3_20rocsparse_direction_NS_24const_host_device_scalarIT1_EES3_PKS3_PKT2_SC_S9_PKT4_PKT5_S7_PT6_21rocsparse_index_base_b.has_recursion, 0
	.set _ZN9rocsparseL18bsrxmvn_4x4_kernelILj128ELj16E21rocsparse_complex_numIdElidS2_S2_EEvT3_20rocsparse_direction_NS_24const_host_device_scalarIT1_EES3_PKS3_PKT2_SC_S9_PKT4_PKT5_S7_PT6_21rocsparse_index_base_b.has_indirect_call, 0
	.section	.AMDGPU.csdata,"",@progbits
; Kernel info:
; codeLenInByte = 10912
; TotalNumSgprs: 18
; NumVgprs: 159
; ScratchSize: 0
; MemoryBound: 0
; FloatMode: 240
; IeeeMode: 1
; LDSByteSize: 0 bytes/workgroup (compile time only)
; SGPRBlocks: 0
; VGPRBlocks: 19
; NumSGPRsForWavesPerEU: 18
; NumVGPRsForWavesPerEU: 159
; Occupancy: 6
; WaveLimiterHint : 1
; COMPUTE_PGM_RSRC2:SCRATCH_EN: 0
; COMPUTE_PGM_RSRC2:USER_SGPR: 6
; COMPUTE_PGM_RSRC2:TRAP_HANDLER: 0
; COMPUTE_PGM_RSRC2:TGID_X_EN: 1
; COMPUTE_PGM_RSRC2:TGID_Y_EN: 0
; COMPUTE_PGM_RSRC2:TGID_Z_EN: 0
; COMPUTE_PGM_RSRC2:TIDIG_COMP_CNT: 0
	.section	.text._ZN9rocsparseL18bsrxmvn_4x4_kernelILj128ELj32E21rocsparse_complex_numIdElidS2_S2_EEvT3_20rocsparse_direction_NS_24const_host_device_scalarIT1_EES3_PKS3_PKT2_SC_S9_PKT4_PKT5_S7_PT6_21rocsparse_index_base_b,"axG",@progbits,_ZN9rocsparseL18bsrxmvn_4x4_kernelILj128ELj32E21rocsparse_complex_numIdElidS2_S2_EEvT3_20rocsparse_direction_NS_24const_host_device_scalarIT1_EES3_PKS3_PKT2_SC_S9_PKT4_PKT5_S7_PT6_21rocsparse_index_base_b,comdat
	.globl	_ZN9rocsparseL18bsrxmvn_4x4_kernelILj128ELj32E21rocsparse_complex_numIdElidS2_S2_EEvT3_20rocsparse_direction_NS_24const_host_device_scalarIT1_EES3_PKS3_PKT2_SC_S9_PKT4_PKT5_S7_PT6_21rocsparse_index_base_b ; -- Begin function _ZN9rocsparseL18bsrxmvn_4x4_kernelILj128ELj32E21rocsparse_complex_numIdElidS2_S2_EEvT3_20rocsparse_direction_NS_24const_host_device_scalarIT1_EES3_PKS3_PKT2_SC_S9_PKT4_PKT5_S7_PT6_21rocsparse_index_base_b
	.p2align	8
	.type	_ZN9rocsparseL18bsrxmvn_4x4_kernelILj128ELj32E21rocsparse_complex_numIdElidS2_S2_EEvT3_20rocsparse_direction_NS_24const_host_device_scalarIT1_EES3_PKS3_PKT2_SC_S9_PKT4_PKT5_S7_PT6_21rocsparse_index_base_b,@function
_ZN9rocsparseL18bsrxmvn_4x4_kernelILj128ELj32E21rocsparse_complex_numIdElidS2_S2_EEvT3_20rocsparse_direction_NS_24const_host_device_scalarIT1_EES3_PKS3_PKT2_SC_S9_PKT4_PKT5_S7_PT6_21rocsparse_index_base_b: ; @_ZN9rocsparseL18bsrxmvn_4x4_kernelILj128ELj32E21rocsparse_complex_numIdElidS2_S2_EEvT3_20rocsparse_direction_NS_24const_host_device_scalarIT1_EES3_PKS3_PKT2_SC_S9_PKT4_PKT5_S7_PT6_21rocsparse_index_base_b
; %bb.0:
	s_clause 0x1
	s_load_dwordx2 s[2:3], s[4:5], 0x68
	s_load_dwordx2 s[0:1], s[4:5], 0x8
	s_add_u32 s7, s4, 8
	s_addc_u32 s10, s5, 0
	s_add_u32 s11, s4, 0x50
	s_addc_u32 s12, s5, 0
	s_load_dwordx2 s[8:9], s[4:5], 0x50
	s_waitcnt lgkmcnt(0)
	s_bitcmp1_b32 s3, 0
	s_cselect_b32 s0, s7, s0
	s_cselect_b32 s1, s10, s1
	v_mov_b32_e32 v1, s0
	v_mov_b32_e32 v2, s1
	s_cselect_b32 s0, s11, s8
	s_cselect_b32 s1, s12, s9
	flat_load_dwordx4 v[5:8], v[1:2]
	v_mov_b32_e32 v1, s0
	v_mov_b32_e32 v2, s1
	flat_load_dwordx4 v[1:4], v[1:2]
	s_waitcnt vmcnt(1) lgkmcnt(1)
	v_cmp_eq_f64_e32 vcc_lo, 0, v[5:6]
	v_cmp_eq_f64_e64 s0, 0, v[7:8]
	s_and_b32 s3, vcc_lo, s0
	s_mov_b32 s0, -1
	s_and_saveexec_b32 s1, s3
	s_cbranch_execz .LBB143_2
; %bb.1:
	s_waitcnt vmcnt(0) lgkmcnt(0)
	v_cmp_neq_f64_e32 vcc_lo, 1.0, v[1:2]
	v_cmp_neq_f64_e64 s0, 0, v[3:4]
	s_or_b32 s0, vcc_lo, s0
	s_orn2_b32 s0, s0, exec_lo
.LBB143_2:
	s_or_b32 exec_lo, exec_lo, s1
	s_and_saveexec_b32 s1, s0
	s_cbranch_execz .LBB143_8
; %bb.3:
	s_clause 0x1
	s_load_dwordx2 s[8:9], s[4:5], 0x20
	s_load_dwordx2 s[0:1], s[4:5], 0x0
	v_lshrrev_b32_e32 v9, 5, v0
	v_lshl_or_b32 v69, s6, 2, v9
	s_waitcnt lgkmcnt(0)
	s_cmp_lg_u64 s[8:9], 0
	s_cbranch_scc0 .LBB143_9
; %bb.4:
	s_load_dword s3, s[4:5], 0x18
	s_mov_b32 s6, 0
                                        ; implicit-def: $vgpr9
	s_waitcnt lgkmcnt(0)
	v_cmp_gt_i32_e32 vcc_lo, s3, v69
	s_mov_b32 s3, 0
	s_and_saveexec_b32 s7, vcc_lo
	s_xor_b32 s7, exec_lo, s7
	s_cbranch_execz .LBB143_6
; %bb.5:
	v_ashrrev_i32_e32 v70, 31, v69
	s_mov_b32 s3, exec_lo
	v_lshlrev_b64 v[9:10], 2, v[69:70]
	v_add_co_u32 v9, vcc_lo, s8, v9
	v_add_co_ci_u32_e64 v10, null, s9, v10, vcc_lo
	global_load_dword v9, v[9:10], off
	s_waitcnt vmcnt(0)
	v_subrev_nc_u32_e32 v9, s2, v9
.LBB143_6:
	s_or_b32 exec_lo, exec_lo, s7
	s_and_b32 vcc_lo, exec_lo, s6
	s_cbranch_vccz .LBB143_10
.LBB143_7:
	v_cmp_gt_i32_e32 vcc_lo, s0, v69
	s_andn2_b32 s0, s3, exec_lo
	s_and_b32 s3, vcc_lo, exec_lo
	s_or_b32 s3, s0, s3
	s_and_b32 exec_lo, exec_lo, s3
	s_cbranch_execnz .LBB143_11
.LBB143_8:
	s_endpgm
.LBB143_9:
	s_mov_b32 s3, 0
                                        ; implicit-def: $vgpr9
	s_cbranch_execnz .LBB143_7
.LBB143_10:
	v_mov_b32_e32 v69, v9
	s_and_b32 exec_lo, exec_lo, s3
	s_cbranch_execz .LBB143_8
.LBB143_11:
	s_load_dwordx8 s[8:15], s[4:5], 0x28
	v_ashrrev_i32_e32 v70, 31, v69
	v_and_b32_e32 v0, 31, v0
	s_load_dwordx2 s[6:7], s[4:5], 0x48
	v_lshlrev_b64 v[9:10], 3, v[69:70]
	s_waitcnt lgkmcnt(0)
	v_add_co_u32 v11, vcc_lo, s8, v9
	v_add_co_ci_u32_e64 v12, null, s9, v10, vcc_lo
	v_add_co_u32 v9, vcc_lo, s10, v9
	v_add_co_ci_u32_e64 v10, null, s11, v10, vcc_lo
	;; [unrolled: 2-line block ×3, first 2 shown]
	global_load_dwordx2 v[88:89], v[11:12], off
	s_cmp_eq_u64 s[10:11], 0
	s_cselect_b32 vcc_lo, -1, 0
	s_cmp_eq_u32 s1, 1
	v_cndmask_b32_e32 v10, v10, v14, vcc_lo
	v_cndmask_b32_e32 v9, v9, v13, vcc_lo
	global_load_dwordx2 v[9:10], v[9:10], off
	s_waitcnt vmcnt(1)
	v_sub_co_u32 v11, vcc_lo, v88, s2
	v_subrev_co_ci_u32_e64 v12, null, 0, v89, vcc_lo
	v_add_co_u32 v70, vcc_lo, v11, v0
	v_add_co_ci_u32_e64 v71, null, 0, v12, vcc_lo
	s_waitcnt vmcnt(0)
	v_sub_co_u32 v72, vcc_lo, v9, s2
	v_subrev_co_ci_u32_e64 v73, null, 0, v10, vcc_lo
	v_lshlrev_b64 v[9:10], 7, v[70:71]
	v_cmp_lt_i64_e64 s0, v[70:71], v[72:73]
	v_add_co_u32 v74, vcc_lo, s14, v9
	v_add_co_ci_u32_e64 v75, null, s15, v10, vcc_lo
	s_cbranch_scc1 .LBB143_23
; %bb.12:
	v_mov_b32_e32 v57, 0
	v_mov_b32_e32 v76, 0
	;; [unrolled: 1-line block ×16, first 2 shown]
	s_and_saveexec_b32 s3, s0
	s_cbranch_execz .LBB143_22
; %bb.13:
	v_or_b32_e32 v9, 32, v0
	v_not_b32_e32 v13, v88
	v_not_b32_e32 v11, v89
	v_mov_b32_e32 v59, 0
	v_mov_b32_e32 v80, 0
	v_sub_co_u32 v9, s1, v9, s2
	v_sub_co_ci_u32_e64 v10, null, 0, 0, s1
	v_sub_co_u32 v14, s1, s2, v0
	v_add_co_u32 v9, vcc_lo, v9, v88
	v_add_co_ci_u32_e64 v10, null, v10, v89, vcc_lo
	v_sub_co_ci_u32_e64 v15, null, 0, 0, s1
	v_add_co_u32 v13, s1, v14, v13
	v_cmp_gt_i64_e32 vcc_lo, v[9:10], v[72:73]
	v_add_co_ci_u32_e64 v11, null, v15, v11, s1
	v_mov_b32_e32 v82, 0
	v_mov_b32_e32 v84, 0
	;; [unrolled: 1-line block ×3, first 2 shown]
	v_cndmask_b32_e32 v9, v72, v9, vcc_lo
	v_cndmask_b32_e32 v10, v73, v10, vcc_lo
	v_mov_b32_e32 v78, 0
	v_mov_b32_e32 v76, 0
	;; [unrolled: 1-line block ×3, first 2 shown]
	v_add_co_u32 v9, vcc_lo, v13, v9
	v_mov_b32_e32 v93, v75
	v_mov_b32_e32 v91, v71
	;; [unrolled: 1-line block ×7, first 2 shown]
	v_add_co_ci_u32_e64 v10, null, v11, v10, vcc_lo
	v_and_b32_e32 v11, 0x60, v9
	v_mov_b32_e32 v87, 0
	v_mov_b32_e32 v79, 0
	;; [unrolled: 1-line block ×6, first 2 shown]
	s_mov_b32 s8, exec_lo
	v_cmpx_ne_u64_e32 0x60, v[11:12]
	s_cbranch_execz .LBB143_17
; %bb.14:
	v_lshrrev_b32_e32 v13, 5, v9
	v_lshlrev_b64 v[11:12], 2, v[70:71]
	v_mov_b32_e32 v57, 0
	v_mov_b32_e32 v91, v71
	;; [unrolled: 1-line block ×3, first 2 shown]
	v_add_nc_u32_e32 v13, 1, v13
	v_mov_b32_e32 v78, 0
	v_add_co_u32 v11, vcc_lo, s12, v11
	v_mov_b32_e32 v86, 0
	v_and_b32_e32 v13, 3, v13
	v_mov_b32_e32 v84, 0
	v_mov_b32_e32 v82, 0
	;; [unrolled: 1-line block ×4, first 2 shown]
	v_sub_co_u32 v13, s1, 0, v13
	v_mov_b32_e32 v93, v75
	v_mov_b32_e32 v58, 0
	;; [unrolled: 1-line block ×5, first 2 shown]
	v_add_co_ci_u32_e64 v12, null, s13, v12, vcc_lo
	v_sub_co_ci_u32_e64 v14, null, 0, 0, s1
	v_mov_b32_e32 v87, 0
	v_mov_b32_e32 v85, 0
	;; [unrolled: 1-line block ×6, first 2 shown]
	s_mov_b32 s9, 0
.LBB143_15:                             ; =>This Inner Loop Header: Depth=1
	global_load_dword v43, v[11:12], off
	s_clause 0x6
	global_load_dwordx4 v[15:18], v[92:93], off offset:48
	global_load_dwordx4 v[19:22], v[92:93], off offset:32
	;; [unrolled: 1-line block ×3, first 2 shown]
	global_load_dwordx4 v[27:30], v[92:93], off
	global_load_dwordx4 v[31:34], v[92:93], off offset:112
	global_load_dwordx4 v[35:38], v[92:93], off offset:96
	;; [unrolled: 1-line block ×3, first 2 shown]
	v_add_co_u32 v11, s1, 0x80, v11
	v_add_co_ci_u32_e64 v12, null, 0, v12, s1
	s_waitcnt vmcnt(7)
	v_subrev_nc_u32_e32 v43, s2, v43
	v_lshlrev_b32_e32 v43, 2, v43
	v_ashrrev_i32_e32 v44, 31, v43
	v_lshlrev_b64 v[43:44], 4, v[43:44]
	v_add_co_u32 v55, vcc_lo, s6, v43
	v_add_co_ci_u32_e64 v56, null, s7, v44, vcc_lo
	s_clause 0x1
	global_load_dwordx4 v[43:46], v[55:56], off
	global_load_dwordx4 v[47:50], v[55:56], off offset:16
	global_load_dwordx4 v[51:54], v[92:93], off offset:80
	s_clause 0x1
	global_load_dwordx4 v[61:64], v[55:56], off offset:32
	global_load_dwordx4 v[65:68], v[55:56], off offset:48
	v_add_co_u32 v92, vcc_lo, 0x1000, v92
	v_add_co_ci_u32_e64 v93, null, 0, v93, vcc_lo
	v_add_co_u32 v13, vcc_lo, v13, 1
	v_add_co_ci_u32_e64 v14, null, 0, v14, vcc_lo
	v_add_co_u32 v90, vcc_lo, v90, 32
	v_add_co_ci_u32_e64 v91, null, 0, v91, vcc_lo
	v_cmp_eq_u64_e32 vcc_lo, 0, v[13:14]
	s_or_b32 s9, vcc_lo, s9
	s_waitcnt vmcnt(4)
	v_fma_f64 v[55:56], v[27:28], v[43:44], v[76:77]
	v_fma_f64 v[57:58], v[43:44], 0, v[57:58]
	v_fma_f64 v[76:77], v[19:20], v[43:44], v[86:87]
	v_fma_f64 v[78:79], v[43:44], 0, v[78:79]
	v_fma_f64 v[82:83], v[39:40], v[43:44], v[82:83]
	v_fma_f64 v[84:85], v[43:44], 0, v[84:85]
	v_fma_f64 v[59:60], v[35:36], v[43:44], v[59:60]
	v_fma_f64 v[43:44], v[43:44], 0, v[80:81]
	v_fma_f64 v[55:56], 0x80000000, v[45:46], v[55:56]
	v_fma_f64 v[27:28], v[27:28], v[45:46], v[57:58]
	v_fma_f64 v[57:58], 0x80000000, v[45:46], v[76:77]
	v_fma_f64 v[19:20], v[19:20], v[45:46], v[78:79]
	v_fma_f64 v[76:77], 0x80000000, v[45:46], v[82:83]
	v_fma_f64 v[39:40], v[39:40], v[45:46], v[84:85]
	v_fma_f64 v[59:60], 0x80000000, v[45:46], v[59:60]
	v_fma_f64 v[35:36], v[35:36], v[45:46], v[43:44]
	s_waitcnt vmcnt(3)
	v_fma_f64 v[43:44], v[29:30], v[47:48], v[55:56]
	v_fma_f64 v[27:28], v[47:48], 0, v[27:28]
	v_fma_f64 v[45:46], v[21:22], v[47:48], v[57:58]
	v_fma_f64 v[19:20], v[47:48], 0, v[19:20]
	v_fma_f64 v[55:56], v[41:42], v[47:48], v[76:77]
	v_fma_f64 v[39:40], v[47:48], 0, v[39:40]
	v_fma_f64 v[57:58], v[37:38], v[47:48], v[59:60]
	v_fma_f64 v[35:36], v[47:48], 0, v[35:36]
	v_fma_f64 v[43:44], 0x80000000, v[49:50], v[43:44]
	v_fma_f64 v[27:28], v[29:30], v[49:50], v[27:28]
	v_fma_f64 v[29:30], 0x80000000, v[49:50], v[45:46]
	v_fma_f64 v[19:20], v[21:22], v[49:50], v[19:20]
	v_fma_f64 v[21:22], 0x80000000, v[49:50], v[55:56]
	v_fma_f64 v[39:40], v[41:42], v[49:50], v[39:40]
	v_fma_f64 v[41:42], 0x80000000, v[49:50], v[57:58]
	v_fma_f64 v[35:36], v[37:38], v[49:50], v[35:36]
	;; [unrolled: 17-line block ×4, first 2 shown]
	s_andn2_b32 exec_lo, exec_lo, s9
	s_cbranch_execnz .LBB143_15
; %bb.16:
	s_or_b32 exec_lo, exec_lo, s9
.LBB143_17:
	s_or_b32 exec_lo, exec_lo, s8
	s_mov_b32 s8, exec_lo
	v_cmpx_lt_u64_e32 0x5f, v[9:10]
	s_cbranch_execz .LBB143_21
; %bb.18:
	v_lshlrev_b64 v[9:10], 2, v[90:91]
	s_mov_b32 s9, 0
	v_add_co_u32 v9, vcc_lo, s12, v9
	v_add_co_ci_u32_e64 v10, null, s13, v10, vcc_lo
	v_add_co_u32 v94, vcc_lo, 0x100, v9
	v_add_co_ci_u32_e64 v95, null, 0, v10, vcc_lo
.LBB143_19:                             ; =>This Inner Loop Header: Depth=1
	s_clause 0x1
	global_load_dword v96, v[94:95], off offset:-256
	global_load_dword v141, v[94:95], off offset:-128
	s_clause 0x7
	global_load_dwordx4 v[25:28], v[92:93], off offset:48
	global_load_dwordx4 v[97:100], v[92:93], off offset:32
	;; [unrolled: 1-line block ×3, first 2 shown]
	global_load_dwordx4 v[101:104], v[92:93], off
	global_load_dwordx4 v[13:16], v[92:93], off offset:112
	global_load_dwordx4 v[105:108], v[92:93], off offset:96
	;; [unrolled: 1-line block ×4, first 2 shown]
	s_clause 0x1
	global_load_dword v157, v[94:95], off
	global_load_dword v158, v[94:95], off offset:128
	v_add_co_u32 v9, vcc_lo, 0x1000, v92
	v_add_co_ci_u32_e64 v10, null, 0, v93, vcc_lo
	v_add_co_u32 v61, vcc_lo, 0x2000, v92
	v_add_co_ci_u32_e64 v62, null, 0, v93, vcc_lo
	;; [unrolled: 2-line block ×3, first 2 shown]
	s_clause 0x10
	global_load_dwordx4 v[29:32], v[9:10], off offset:48
	global_load_dwordx4 v[113:116], v[9:10], off offset:32
	global_load_dwordx4 v[117:120], v[9:10], off
	global_load_dwordx4 v[41:44], v[9:10], off offset:16
	global_load_dwordx4 v[33:36], v[9:10], off offset:112
	;; [unrolled: 1-line block ×7, first 2 shown]
	global_load_dwordx4 v[65:68], v[61:62], off
	global_load_dwordx4 v[17:20], v[61:62], off offset:16
	global_load_dwordx4 v[49:52], v[61:62], off offset:112
	;; [unrolled: 1-line block ×5, first 2 shown]
	global_load_dwordx4 v[61:64], v[149:150], off
	v_add_co_u32 v92, s1, 0x4000, v92
	v_add_co_ci_u32_e64 v93, null, 0, v93, s1
	s_waitcnt vmcnt(28)
	v_subrev_nc_u32_e32 v96, s2, v96
	s_waitcnt vmcnt(27)
	v_subrev_nc_u32_e32 v142, s2, v141
	v_lshlrev_b32_e32 v141, 2, v96
	v_lshlrev_b32_e32 v143, 2, v142
	v_ashrrev_i32_e32 v142, 31, v141
	v_ashrrev_i32_e32 v144, 31, v143
	v_lshlrev_b64 v[141:142], 4, v[141:142]
	v_lshlrev_b64 v[143:144], 4, v[143:144]
	v_add_co_u32 v151, vcc_lo, s6, v141
	v_add_co_ci_u32_e64 v152, null, s7, v142, vcc_lo
	v_add_co_u32 v153, vcc_lo, s6, v143
	v_add_co_ci_u32_e64 v154, null, s7, v144, vcc_lo
	s_clause 0x1
	global_load_dwordx4 v[141:144], v[151:152], off
	global_load_dwordx4 v[145:148], v[151:152], off offset:16
	s_waitcnt vmcnt(1)
	v_fma_f64 v[57:58], v[141:142], 0, v[57:58]
	v_fma_f64 v[76:77], v[101:102], v[141:142], v[76:77]
	;; [unrolled: 1-line block ×16, first 2 shown]
	global_load_dwordx4 v[57:60], v[149:150], off offset:48
	s_waitcnt vmcnt(1)
	v_fma_f64 v[78:79], v[145:146], 0, v[101:102]
	v_fma_f64 v[101:102], v[103:104], v[145:146], v[76:77]
	;; [unrolled: 1-line block ×8, first 2 shown]
	global_load_dwordx4 v[76:79], v[151:152], off offset:32
	v_fma_f64 v[155:156], v[99:100], v[147:148], v[80:81]
	global_load_dwordx4 v[80:83], v[151:152], off offset:48
	v_fma_f64 v[103:104], v[99:100], v[145:146], v[86:87]
	v_fma_f64 v[111:112], v[111:112], v[147:148], v[84:85]
	global_load_dwordx4 v[84:87], v[153:154], off
	v_fma_f64 v[107:108], v[107:108], v[147:148], v[96:97]
	global_load_dwordx4 v[96:99], v[153:154], off offset:16
	v_fma_f64 v[109:110], 0x80000000, v[147:148], v[101:102]
	v_fma_f64 v[141:142], 0x80000000, v[147:148], v[141:142]
	;; [unrolled: 1-line block ×4, first 2 shown]
	global_load_dwordx4 v[100:103], v[153:154], off offset:32
	s_waitcnt vmcnt(4)
	v_fma_f64 v[143:144], v[76:77], 0, v[143:144]
	v_fma_f64 v[109:110], v[45:46], v[76:77], v[109:110]
	v_fma_f64 v[145:146], v[25:26], v[76:77], v[145:146]
	v_fma_f64 v[147:148], v[76:77], 0, v[155:156]
	v_fma_f64 v[141:142], v[21:22], v[76:77], v[141:142]
	v_fma_f64 v[111:112], v[76:77], 0, v[111:112]
	v_fma_f64 v[104:105], v[13:14], v[76:77], v[104:105]
	v_fma_f64 v[76:77], v[76:77], 0, v[107:108]
	v_fma_f64 v[45:46], v[45:46], v[78:79], v[143:144]
	v_fma_f64 v[106:107], 0x80000000, v[78:79], v[109:110]
	v_subrev_nc_u32_e32 v110, s2, v157
	v_fma_f64 v[25:26], v[25:26], v[78:79], v[147:148]
	v_fma_f64 v[108:109], 0x80000000, v[78:79], v[145:146]
	;; [unrolled: 1-line block ×4, first 2 shown]
	v_lshlrev_b32_e32 v110, 2, v110
	v_fma_f64 v[13:14], v[13:14], v[78:79], v[76:77]
	v_fma_f64 v[104:105], 0x80000000, v[78:79], v[104:105]
	global_load_dwordx4 v[76:79], v[149:150], off offset:32
	v_ashrrev_i32_e32 v111, 31, v110
	v_lshlrev_b64 v[110:111], 4, v[110:111]
	s_waitcnt vmcnt(4)
	v_fma_f64 v[45:46], v[80:81], 0, v[45:46]
	v_fma_f64 v[106:107], v[47:48], v[80:81], v[106:107]
	v_add_co_u32 v110, vcc_lo, s6, v110
	v_fma_f64 v[25:26], v[80:81], 0, v[25:26]
	v_add_co_ci_u32_e64 v111, null, s7, v111, vcc_lo
	v_fma_f64 v[108:109], v[27:28], v[80:81], v[108:109]
	v_fma_f64 v[13:14], v[80:81], 0, v[13:14]
	;; [unrolled: 1-line block ×6, first 2 shown]
	global_load_dwordx4 v[45:48], v[153:154], off offset:48
	v_fma_f64 v[106:107], 0x80000000, v[82:83], v[106:107]
	v_fma_f64 v[145:146], v[27:28], v[82:83], v[25:26]
	global_load_dwordx4 v[25:28], v[110:111], off
	v_fma_f64 v[108:109], 0x80000000, v[82:83], v[108:109]
	v_fma_f64 v[104:105], v[15:16], v[82:83], v[13:14]
	global_load_dwordx4 v[13:16], v[110:111], off offset:16
	v_fma_f64 v[147:148], v[23:24], v[82:83], v[21:22]
	v_fma_f64 v[141:142], 0x80000000, v[82:83], v[141:142]
	;; [unrolled: 1-line block ×3, first 2 shown]
	global_load_dwordx4 v[80:83], v[110:111], off offset:32
	global_load_dwordx4 v[21:24], v[149:150], off offset:112
	s_waitcnt vmcnt(8)
	v_fma_f64 v[143:144], v[84:85], 0, v[143:144]
	v_fma_f64 v[106:107], v[117:118], v[84:85], v[106:107]
	;; [unrolled: 1-line block ×8, first 2 shown]
	v_subrev_nc_u32_e32 v104, s2, v158
	v_lshlrev_b32_e32 v104, 2, v104
	v_fma_f64 v[117:118], v[117:118], v[86:87], v[143:144]
	v_ashrrev_i32_e32 v105, 31, v104
	v_fma_f64 v[153:154], 0x80000000, v[86:87], v[106:107]
	v_fma_f64 v[112:113], v[113:114], v[86:87], v[145:146]
	v_lshlrev_b64 v[104:105], 4, v[104:105]
	v_fma_f64 v[143:144], 0x80000000, v[86:87], v[108:109]
	v_fma_f64 v[125:126], v[125:126], v[86:87], v[147:148]
	v_fma_f64 v[141:142], 0x80000000, v[86:87], v[141:142]
	v_fma_f64 v[145:146], 0x80000000, v[86:87], v[151:152]
	v_add_co_u32 v147, vcc_lo, s6, v104
	v_add_co_ci_u32_e64 v148, null, s7, v105, vcc_lo
	global_load_dwordx4 v[104:107], v[110:111], off offset:48
	v_fma_f64 v[121:122], v[121:122], v[86:87], v[84:85]
	global_load_dwordx4 v[84:87], v[149:150], off offset:96
	v_add_co_u32 v90, vcc_lo, 0x80, v90
	s_waitcnt vmcnt(9)
	v_fma_f64 v[108:109], v[96:97], 0, v[117:118]
	v_add_co_ci_u32_e64 v91, null, 0, v91, vcc_lo
	v_fma_f64 v[117:118], v[119:120], v[96:97], v[153:154]
	v_fma_f64 v[112:113], v[96:97], 0, v[112:113]
	v_add_co_u32 v94, vcc_lo, 0x200, v94
	v_add_co_ci_u32_e64 v95, null, 0, v95, vcc_lo
	v_fma_f64 v[143:144], v[115:116], v[96:97], v[143:144]
	v_fma_f64 v[125:126], v[96:97], 0, v[125:126]
	;; [unrolled: 1-line block ×4, first 2 shown]
	v_cmp_ge_i64_e32 vcc_lo, v[90:91], v[72:73]
	v_fma_f64 v[96:97], v[96:97], 0, v[121:122]
	s_or_b32 s9, vcc_lo, s9
	v_fma_f64 v[119:120], v[119:120], v[98:99], v[108:109]
	global_load_dwordx4 v[108:111], v[149:150], off offset:64
	v_fma_f64 v[151:152], v[115:116], v[98:99], v[112:113]
	global_load_dwordx4 v[112:115], v[147:148], off
	v_fma_f64 v[116:117], 0x80000000, v[98:99], v[117:118]
	v_fma_f64 v[121:122], 0x80000000, v[98:99], v[143:144]
	;; [unrolled: 1-line block ×6, first 2 shown]
	global_load_dwordx4 v[96:99], v[147:148], off offset:16
	s_waitcnt vmcnt(11)
	v_fma_f64 v[118:119], v[100:101], 0, v[119:120]
	v_fma_f64 v[143:144], v[100:101], 0, v[151:152]
	;; [unrolled: 1-line block ×16, first 2 shown]
	s_clause 0x1
	global_load_dwordx4 v[100:103], v[149:150], off offset:80
	global_load_dwordx4 v[116:119], v[149:150], off offset:16
	;; [unrolled: 1-line block ×3, first 2 shown]
	s_waitcnt vmcnt(12)
	v_fma_f64 v[126:127], v[43:44], v[45:46], v[145:146]
	v_fma_f64 v[41:42], v[45:46], 0, v[41:42]
	;; [unrolled: 1-line block ×16, first 2 shown]
	global_load_dwordx4 v[29:32], v[147:148], off offset:48
	s_waitcnt vmcnt(12)
	v_fma_f64 v[35:36], v[65:66], v[25:26], v[45:46]
	v_fma_f64 v[41:42], v[25:26], 0, v[41:42]
	v_fma_f64 v[43:44], v[53:54], v[25:26], v[43:44]
	v_fma_f64 v[45:46], v[25:26], 0, v[126:127]
	v_fma_f64 v[47:48], v[137:138], v[25:26], v[141:142]
	v_fma_f64 v[37:38], v[25:26], 0, v[37:38]
	v_fma_f64 v[39:40], v[129:130], v[25:26], v[39:40]
	v_fma_f64 v[25:26], v[25:26], 0, v[33:34]
	v_fma_f64 v[33:34], 0x80000000, v[27:28], v[35:36]
	v_fma_f64 v[35:36], v[65:66], v[27:28], v[41:42]
	v_fma_f64 v[41:42], 0x80000000, v[27:28], v[43:44]
	v_fma_f64 v[43:44], v[53:54], v[27:28], v[45:46]
	v_fma_f64 v[45:46], 0x80000000, v[27:28], v[47:48]
	v_fma_f64 v[37:38], v[137:138], v[27:28], v[37:38]
	v_fma_f64 v[39:40], 0x80000000, v[27:28], v[39:40]
	v_fma_f64 v[25:26], v[129:130], v[27:28], v[25:26]
	s_waitcnt vmcnt(11)
	v_fma_f64 v[27:28], v[67:68], v[13:14], v[33:34]
	v_fma_f64 v[33:34], v[13:14], 0, v[35:36]
	v_fma_f64 v[35:36], v[55:56], v[13:14], v[41:42]
	v_fma_f64 v[41:42], v[13:14], 0, v[43:44]
	v_fma_f64 v[43:44], v[139:140], v[13:14], v[45:46]
	v_fma_f64 v[37:38], v[13:14], 0, v[37:38]
	v_fma_f64 v[39:40], v[131:132], v[13:14], v[39:40]
	v_fma_f64 v[13:14], v[13:14], 0, v[25:26]
	v_fma_f64 v[25:26], 0x80000000, v[15:16], v[27:28]
	v_fma_f64 v[27:28], v[67:68], v[15:16], v[33:34]
	v_fma_f64 v[33:34], 0x80000000, v[15:16], v[35:36]
	v_fma_f64 v[35:36], v[55:56], v[15:16], v[41:42]
	v_fma_f64 v[41:42], 0x80000000, v[15:16], v[43:44]
	v_fma_f64 v[37:38], v[139:140], v[15:16], v[37:38]
	v_fma_f64 v[39:40], 0x80000000, v[15:16], v[39:40]
	v_fma_f64 v[13:14], v[131:132], v[15:16], v[13:14]
	;; [unrolled: 17-line block ×8, first 2 shown]
	s_andn2_b32 exec_lo, exec_lo, s9
	s_cbranch_execnz .LBB143_19
; %bb.20:
	s_or_b32 exec_lo, exec_lo, s9
.LBB143_21:
	s_or_b32 exec_lo, exec_lo, s8
.LBB143_22:
	s_or_b32 exec_lo, exec_lo, s3
	s_cbranch_execz .LBB143_24
	s_branch .LBB143_35
.LBB143_23:
                                        ; implicit-def: $vgpr57_vgpr58
                                        ; implicit-def: $vgpr76_vgpr77
                                        ; implicit-def: $vgpr78_vgpr79
                                        ; implicit-def: $vgpr86_vgpr87
                                        ; implicit-def: $vgpr84_vgpr85
                                        ; implicit-def: $vgpr82_vgpr83
                                        ; implicit-def: $vgpr80_vgpr81
                                        ; implicit-def: $vgpr59_vgpr60
.LBB143_24:
	v_mov_b32_e32 v57, 0
	v_mov_b32_e32 v76, 0
	;; [unrolled: 1-line block ×16, first 2 shown]
	s_and_saveexec_b32 s1, s0
	s_cbranch_execz .LBB143_34
; %bb.25:
	v_or_b32_e32 v9, 32, v0
	v_not_b32_e32 v13, v88
	v_not_b32_e32 v11, v89
	v_mov_b32_e32 v59, 0
	v_mov_b32_e32 v80, 0
	v_sub_co_u32 v9, s0, v9, s2
	v_sub_co_ci_u32_e64 v10, null, 0, 0, s0
	v_sub_co_u32 v14, s0, s2, v0
	v_add_co_u32 v9, vcc_lo, v9, v88
	v_add_co_ci_u32_e64 v10, null, v10, v89, vcc_lo
	v_sub_co_ci_u32_e64 v15, null, 0, 0, s0
	v_add_co_u32 v13, s0, v14, v13
	v_cmp_gt_i64_e32 vcc_lo, v[9:10], v[72:73]
	v_add_co_ci_u32_e64 v11, null, v15, v11, s0
	v_mov_b32_e32 v82, 0
	v_mov_b32_e32 v84, 0
	;; [unrolled: 1-line block ×3, first 2 shown]
	v_cndmask_b32_e32 v9, v72, v9, vcc_lo
	v_cndmask_b32_e32 v10, v73, v10, vcc_lo
	v_mov_b32_e32 v78, 0
	v_mov_b32_e32 v76, 0
	;; [unrolled: 1-line block ×3, first 2 shown]
	v_add_co_u32 v9, vcc_lo, v13, v9
	v_mov_b32_e32 v12, 0
	v_mov_b32_e32 v60, 0
	;; [unrolled: 1-line block ×4, first 2 shown]
	v_add_co_ci_u32_e64 v10, null, v11, v10, vcc_lo
	v_and_b32_e32 v11, 0x60, v9
	v_mov_b32_e32 v85, 0
	v_mov_b32_e32 v87, 0
	;; [unrolled: 1-line block ×5, first 2 shown]
	s_mov_b32 s3, exec_lo
	v_cmpx_ne_u64_e32 0x60, v[11:12]
	s_cbranch_execz .LBB143_29
; %bb.26:
	v_lshrrev_b32_e32 v13, 5, v9
	v_lshlrev_b64 v[11:12], 2, v[70:71]
	v_mov_b32_e32 v57, 0
	v_mov_b32_e32 v76, 0
	;; [unrolled: 1-line block ×3, first 2 shown]
	v_add_nc_u32_e32 v13, 1, v13
	v_mov_b32_e32 v86, 0
	v_add_co_u32 v11, vcc_lo, s12, v11
	v_mov_b32_e32 v84, 0
	v_and_b32_e32 v13, 3, v13
	v_mov_b32_e32 v82, 0
	v_mov_b32_e32 v80, 0
	;; [unrolled: 1-line block ×4, first 2 shown]
	v_sub_co_u32 v13, s0, 0, v13
	v_mov_b32_e32 v77, 0
	v_mov_b32_e32 v79, 0
	v_add_co_ci_u32_e64 v12, null, s13, v12, vcc_lo
	v_mov_b32_e32 v87, 0
	v_mov_b32_e32 v85, 0
	;; [unrolled: 1-line block ×5, first 2 shown]
	v_sub_co_ci_u32_e64 v14, null, 0, 0, s0
	s_mov_b32 s8, 0
.LBB143_27:                             ; =>This Inner Loop Header: Depth=1
	global_load_dword v23, v[11:12], off
	s_clause 0x1
	global_load_dwordx4 v[15:18], v[74:75], off offset:16
	global_load_dwordx4 v[19:22], v[74:75], off
	v_add_co_u32 v11, s0, 0x80, v11
	v_add_co_ci_u32_e64 v12, null, 0, v12, s0
	s_waitcnt vmcnt(2)
	v_subrev_nc_u32_e32 v23, s2, v23
	v_lshlrev_b32_e32 v23, 2, v23
	v_ashrrev_i32_e32 v24, 31, v23
	v_lshlrev_b64 v[23:24], 4, v[23:24]
	v_add_co_u32 v51, vcc_lo, s6, v23
	v_add_co_ci_u32_e64 v52, null, s7, v24, vcc_lo
	s_clause 0x1
	global_load_dwordx4 v[23:26], v[51:52], off
	global_load_dwordx4 v[27:30], v[51:52], off offset:16
	s_clause 0x3
	global_load_dwordx4 v[31:34], v[74:75], off offset:32
	global_load_dwordx4 v[35:38], v[74:75], off offset:48
	;; [unrolled: 1-line block ×4, first 2 shown]
	s_clause 0x1
	global_load_dwordx4 v[47:50], v[51:52], off offset:32
	global_load_dwordx4 v[51:54], v[51:52], off offset:48
	s_clause 0x1
	global_load_dwordx4 v[61:64], v[74:75], off offset:96
	global_load_dwordx4 v[65:68], v[74:75], off offset:112
	v_add_co_u32 v74, vcc_lo, 0x1000, v74
	v_add_co_ci_u32_e64 v75, null, 0, v75, vcc_lo
	v_add_co_u32 v13, vcc_lo, v13, 1
	v_add_co_ci_u32_e64 v14, null, 0, v14, vcc_lo
	;; [unrolled: 2-line block ×3, first 2 shown]
	v_cmp_eq_u64_e32 vcc_lo, 0, v[13:14]
	s_or_b32 s8, vcc_lo, s8
	s_waitcnt vmcnt(9)
	v_fma_f64 v[55:56], v[19:20], v[23:24], v[76:77]
	v_fma_f64 v[57:58], v[23:24], 0, v[57:58]
	;; [unrolled: 1-line block ×16, first 2 shown]
	s_waitcnt vmcnt(7)
	v_fma_f64 v[23:24], v[31:32], v[27:28], v[55:56]
	v_fma_f64 v[19:20], v[27:28], 0, v[19:20]
	;; [unrolled: 1-line block ×4, first 2 shown]
	s_waitcnt vmcnt(6)
	v_fma_f64 v[55:56], v[35:36], v[27:28], v[76:77]
	v_fma_f64 v[15:16], v[27:28], 0, v[15:16]
	;; [unrolled: 1-line block ×12, first 2 shown]
	s_waitcnt vmcnt(3)
	v_fma_f64 v[23:24], v[43:44], v[47:48], v[23:24]
	v_fma_f64 v[19:20], v[47:48], 0, v[19:20]
	;; [unrolled: 1-line block ×16, first 2 shown]
	s_waitcnt vmcnt(1)
	v_fma_f64 v[23:24], v[61:62], v[51:52], v[23:24]
	v_fma_f64 v[19:20], v[51:52], 0, v[19:20]
	;; [unrolled: 1-line block ×4, first 2 shown]
	s_waitcnt vmcnt(0)
	v_fma_f64 v[27:28], v[65:66], v[51:52], v[27:28]
	v_fma_f64 v[15:16], v[51:52], 0, v[15:16]
	;; [unrolled: 1-line block ×12, first 2 shown]
	s_andn2_b32 exec_lo, exec_lo, s8
	s_cbranch_execnz .LBB143_27
; %bb.28:
	s_or_b32 exec_lo, exec_lo, s8
.LBB143_29:
	s_or_b32 exec_lo, exec_lo, s3
	s_mov_b32 s3, exec_lo
	v_cmpx_lt_u64_e32 0x5f, v[9:10]
	s_cbranch_execz .LBB143_33
; %bb.30:
	v_lshlrev_b64 v[9:10], 2, v[70:71]
	s_mov_b32 s8, 0
	v_add_co_u32 v9, vcc_lo, s12, v9
	v_add_co_ci_u32_e64 v10, null, s13, v10, vcc_lo
	v_add_co_u32 v9, vcc_lo, 0x100, v9
	v_add_co_ci_u32_e64 v10, null, 0, v10, vcc_lo
.LBB143_31:                             ; =>This Inner Loop Header: Depth=1
	s_clause 0x1
	global_load_dword v51, v[9:10], off offset:-256
	global_load_dword v52, v[9:10], off offset:-128
	s_clause 0x5
	global_load_dwordx4 v[11:14], v[74:75], off offset:48
	global_load_dwordx4 v[15:18], v[74:75], off offset:32
	;; [unrolled: 1-line block ×3, first 2 shown]
	global_load_dwordx4 v[23:26], v[74:75], off
	global_load_dwordx4 v[27:30], v[74:75], off offset:112
	global_load_dwordx4 v[31:34], v[74:75], off offset:96
	v_add_co_u32 v55, vcc_lo, 0x1000, v74
	v_add_co_ci_u32_e64 v56, null, 0, v75, vcc_lo
	s_clause 0x1
	global_load_dwordx4 v[35:38], v[74:75], off offset:80
	global_load_dwordx4 v[39:42], v[74:75], off offset:64
	s_clause 0x1
	global_load_dword v134, v[9:10], off
	global_load_dword v138, v[9:10], off offset:128
	s_clause 0x1
	global_load_dwordx4 v[43:46], v[55:56], off
	global_load_dwordx4 v[47:50], v[55:56], off offset:16
	s_waitcnt vmcnt(13)
	v_subrev_nc_u32_e32 v51, s2, v51
	s_waitcnt vmcnt(12)
	v_subrev_nc_u32_e32 v52, s2, v52
	v_lshlrev_b32_e32 v51, 2, v51
	v_lshlrev_b32_e32 v92, 2, v52
	s_waitcnt vmcnt(3)
	v_subrev_nc_u32_e32 v136, s2, v134
	v_ashrrev_i32_e32 v52, 31, v51
	v_ashrrev_i32_e32 v93, 31, v92
	v_lshlrev_b64 v[51:52], 4, v[51:52]
	v_lshlrev_b64 v[92:93], 4, v[92:93]
	v_add_co_u32 v88, vcc_lo, s6, v51
	v_add_co_ci_u32_e64 v89, null, s7, v52, vcc_lo
	v_add_co_u32 v128, vcc_lo, s6, v92
	v_add_co_ci_u32_e64 v129, null, s7, v93, vcc_lo
	s_clause 0x3
	global_load_dwordx4 v[51:54], v[88:89], off
	global_load_dwordx4 v[61:64], v[88:89], off offset:16
	global_load_dwordx4 v[65:68], v[88:89], off offset:32
	;; [unrolled: 1-line block ×3, first 2 shown]
	v_add_co_u32 v130, vcc_lo, 0x2000, v74
	global_load_dwordx4 v[92:95], v[128:129], off
	v_add_co_ci_u32_e64 v131, null, 0, v75, vcc_lo
	s_clause 0x6
	global_load_dwordx4 v[96:99], v[55:56], off offset:48
	global_load_dwordx4 v[100:103], v[55:56], off offset:32
	;; [unrolled: 1-line block ×6, first 2 shown]
	global_load_dwordx4 v[120:123], v[130:131], off
	global_load_dwordx4 v[124:127], v[128:129], off offset:16
	v_add_co_u32 v132, vcc_lo, 0x3000, v74
	v_add_co_ci_u32_e64 v133, null, 0, v75, vcc_lo
	v_add_co_u32 v74, s0, 0x4000, v74
	v_add_co_ci_u32_e64 v75, null, 0, v75, s0
	s_waitcnt vmcnt(12)
	v_fma_f64 v[55:56], v[51:52], 0, v[57:58]
	v_fma_f64 v[57:58], v[51:52], 0, v[78:79]
	;; [unrolled: 1-line block ×16, first 2 shown]
	global_load_dwordx4 v[51:54], v[128:129], off offset:32
	s_clause 0x1
	global_load_dwordx4 v[19:22], v[130:131], off offset:32
	global_load_dwordx4 v[23:26], v[130:131], off offset:48
	s_waitcnt vmcnt(14)
	v_fma_f64 v[55:56], v[61:62], 0, v[55:56]
	v_fma_f64 v[57:58], v[61:62], 0, v[57:58]
	v_fma_f64 v[76:77], v[15:16], v[61:62], v[76:77]
	v_fma_f64 v[78:79], v[17:18], v[61:62], v[78:79]
	v_fma_f64 v[86:87], v[15:16], v[63:64], v[55:56]
	v_lshlrev_b32_e32 v15, 2, v136
	v_fma_f64 v[134:135], v[17:18], v[63:64], v[57:58]
	v_fma_f64 v[55:56], v[61:62], 0, v[59:60]
	;; [unrolled: 1-line block ×4, first 2 shown]
	v_ashrrev_i32_e32 v16, 31, v15
	v_fma_f64 v[61:62], v[13:14], v[61:62], v[84:85]
	v_fma_f64 v[76:77], 0x80000000, v[63:64], v[76:77]
	v_fma_f64 v[78:79], 0x80000000, v[63:64], v[78:79]
	v_lshlrev_b64 v[15:16], 4, v[15:16]
	v_add_co_u32 v136, vcc_lo, s6, v15
	v_add_co_ci_u32_e64 v137, null, s7, v16, vcc_lo
	global_load_dwordx4 v[15:18], v[128:129], off offset:48
	s_waitcnt vmcnt(14)
	v_fma_f64 v[84:85], v[65:66], 0, v[134:135]
	v_fma_f64 v[80:81], v[11:12], v[63:64], v[55:56]
	;; [unrolled: 1-line block ×3, first 2 shown]
	global_load_dwordx4 v[11:14], v[130:131], off offset:16
	v_fma_f64 v[59:60], 0x80000000, v[63:64], v[59:60]
	v_fma_f64 v[61:62], 0x80000000, v[63:64], v[61:62]
	global_load_dwordx4 v[55:58], v[136:137], off
	v_fma_f64 v[63:64], v[65:66], 0, v[86:87]
	v_fma_f64 v[76:77], v[39:40], v[65:66], v[76:77]
	;; [unrolled: 1-line block ×11, first 2 shown]
	global_load_dwordx4 v[39:42], v[130:131], off offset:112
	s_waitcnt vmcnt(16)
	v_fma_f64 v[84:85], v[88:89], 0, v[84:85]
	v_fma_f64 v[65:66], v[35:36], v[67:68], v[80:81]
	;; [unrolled: 1-line block ×3, first 2 shown]
	global_load_dwordx4 v[35:38], v[130:131], off offset:80
	v_fma_f64 v[82:83], 0x80000000, v[67:68], v[59:60]
	v_fma_f64 v[67:68], 0x80000000, v[67:68], v[61:62]
	global_load_dwordx4 v[59:62], v[136:137], off offset:16
	v_fma_f64 v[63:64], v[88:89], 0, v[63:64]
	v_fma_f64 v[76:77], v[31:32], v[88:89], v[76:77]
	;; [unrolled: 1-line block ×8, first 2 shown]
	global_load_dwordx4 v[31:34], v[130:131], off offset:64
	v_fma_f64 v[80:81], v[27:28], v[88:89], v[82:83]
	v_fma_f64 v[128:129], 0x80000000, v[90:91], v[76:77]
	;; [unrolled: 1-line block ×3, first 2 shown]
	v_subrev_nc_u32_e32 v76, s2, v138
	v_lshlrev_b32_e32 v76, 2, v76
	s_waitcnt vmcnt(18)
	v_fma_f64 v[84:85], v[92:93], 0, v[84:85]
	v_ashrrev_i32_e32 v77, 31, v76
	v_fma_f64 v[67:68], 0x80000000, v[90:91], v[67:68]
	v_fma_f64 v[86:87], v[92:93], 0, v[86:87]
	;; [unrolled: 1-line block ×4, first 2 shown]
	global_load_dwordx4 v[27:30], v[136:137], off offset:32
	v_fma_f64 v[80:81], 0x80000000, v[90:91], v[80:81]
	v_lshlrev_b64 v[76:77], 4, v[76:77]
	global_load_dwordx4 v[63:66], v[130:131], off offset:96
	v_fma_f64 v[90:91], v[43:44], v[92:93], v[128:129]
	v_fma_f64 v[128:129], v[45:46], v[92:93], v[134:135]
	;; [unrolled: 1-line block ×5, first 2 shown]
	global_load_dwordx4 v[43:46], v[132:133], off
	v_add_co_u32 v130, vcc_lo, s6, v76
	v_add_co_ci_u32_e64 v131, null, s7, v77, vcc_lo
	global_load_dwordx4 v[76:79], v[136:137], off offset:48
	v_fma_f64 v[82:83], v[92:93], 0, v[82:83]
	v_fma_f64 v[88:89], v[92:93], 0, v[88:89]
	v_fma_f64 v[80:81], v[47:48], v[92:93], v[80:81]
	v_fma_f64 v[90:91], 0x80000000, v[94:95], v[90:91]
	v_fma_f64 v[128:129], 0x80000000, v[94:95], v[128:129]
	v_add_co_u32 v70, vcc_lo, 0x80, v70
	v_add_co_ci_u32_e64 v71, null, 0, v71, vcc_lo
	s_waitcnt vmcnt(14)
	v_fma_f64 v[84:85], v[124:125], 0, v[84:85]
	v_add_co_u32 v9, vcc_lo, 0x200, v9
	v_add_co_ci_u32_e64 v10, null, 0, v10, vcc_lo
	v_fma_f64 v[67:68], 0x80000000, v[94:95], v[67:68]
	v_fma_f64 v[86:87], v[124:125], 0, v[86:87]
	v_cmp_ge_i64_e32 vcc_lo, v[70:71], v[72:73]
	v_fma_f64 v[92:93], v[47:48], v[94:95], v[82:83]
	v_fma_f64 v[88:89], v[49:50], v[94:95], v[88:89]
	;; [unrolled: 1-line block ×3, first 2 shown]
	global_load_dwordx4 v[47:50], v[132:133], off offset:16
	global_load_dwordx4 v[80:83], v[130:131], off
	v_fma_f64 v[90:91], v[100:101], v[124:125], v[90:91]
	v_fma_f64 v[94:95], v[102:103], v[124:125], v[128:129]
	s_or_b32 s8, vcc_lo, s8
	v_fma_f64 v[102:103], v[102:103], v[126:127], v[84:85]
	v_fma_f64 v[67:68], v[98:99], v[124:125], v[67:68]
	;; [unrolled: 1-line block ×3, first 2 shown]
	global_load_dwordx4 v[84:87], v[130:131], off offset:16
	v_fma_f64 v[92:93], v[124:125], 0, v[92:93]
	v_fma_f64 v[88:89], v[124:125], 0, v[88:89]
	;; [unrolled: 1-line block ×9, first 2 shown]
	s_clause 0x1
	global_load_dwordx4 v[88:91], v[132:133], off offset:32
	global_load_dwordx4 v[92:95], v[132:133], off offset:48
	s_waitcnt vmcnt(18)
	v_fma_f64 v[124:125], v[116:117], v[51:52], v[124:125]
	v_fma_f64 v[100:101], v[51:52], 0, v[100:101]
	;; [unrolled: 1-line block ×16, first 2 shown]
	s_clause 0x1
	global_load_dwordx4 v[51:54], v[132:133], off offset:80
	global_load_dwordx4 v[96:99], v[132:133], off offset:64
	;; [unrolled: 1-line block ×3, first 2 shown]
	s_waitcnt vmcnt(18)
	v_fma_f64 v[124:125], v[108:109], v[15:16], v[124:125]
	v_fma_f64 v[116:117], v[15:16], 0, v[116:117]
	v_fma_f64 v[126:127], v[110:111], v[15:16], v[126:127]
	v_fma_f64 v[118:119], v[15:16], 0, v[118:119]
	v_fma_f64 v[128:129], v[104:105], v[15:16], v[128:129]
	v_fma_f64 v[112:113], v[15:16], 0, v[112:113]
	v_fma_f64 v[67:68], v[106:107], v[15:16], v[67:68]
	v_fma_f64 v[15:16], v[15:16], 0, v[114:115]
	v_fma_f64 v[114:115], 0x80000000, v[17:18], v[124:125]
	v_fma_f64 v[116:117], v[108:109], v[17:18], v[116:117]
	v_fma_f64 v[124:125], 0x80000000, v[17:18], v[126:127]
	v_fma_f64 v[118:119], v[110:111], v[17:18], v[118:119]
	v_fma_f64 v[126:127], 0x80000000, v[17:18], v[128:129]
	v_fma_f64 v[112:113], v[104:105], v[17:18], v[112:113]
	v_fma_f64 v[67:68], 0x80000000, v[17:18], v[67:68]
	v_fma_f64 v[128:129], v[106:107], v[17:18], v[15:16]
	s_clause 0x1
	global_load_dwordx4 v[15:18], v[132:133], off offset:96
	global_load_dwordx4 v[104:107], v[132:133], off offset:112
	;; [unrolled: 1-line block ×3, first 2 shown]
	s_waitcnt vmcnt(19)
	v_fma_f64 v[114:115], v[120:121], v[55:56], v[114:115]
	v_fma_f64 v[116:117], v[55:56], 0, v[116:117]
	v_fma_f64 v[124:125], v[122:123], v[55:56], v[124:125]
	v_fma_f64 v[118:119], v[55:56], 0, v[118:119]
	v_fma_f64 v[126:127], v[11:12], v[55:56], v[126:127]
	v_fma_f64 v[112:113], v[55:56], 0, v[112:113]
	v_fma_f64 v[67:68], v[13:14], v[55:56], v[67:68]
	v_fma_f64 v[55:56], v[55:56], 0, v[128:129]
	v_fma_f64 v[114:115], 0x80000000, v[57:58], v[114:115]
	v_fma_f64 v[116:117], v[120:121], v[57:58], v[116:117]
	v_fma_f64 v[120:121], 0x80000000, v[57:58], v[124:125]
	v_fma_f64 v[118:119], v[122:123], v[57:58], v[118:119]
	v_fma_f64 v[122:123], 0x80000000, v[57:58], v[126:127]
	v_fma_f64 v[11:12], v[11:12], v[57:58], v[112:113]
	v_fma_f64 v[67:68], 0x80000000, v[57:58], v[67:68]
	v_fma_f64 v[13:14], v[13:14], v[57:58], v[55:56]
	s_waitcnt vmcnt(16)
	v_fma_f64 v[55:56], v[19:20], v[59:60], v[114:115]
	v_fma_f64 v[57:58], v[59:60], 0, v[116:117]
	v_fma_f64 v[112:113], v[21:22], v[59:60], v[120:121]
	v_fma_f64 v[114:115], v[59:60], 0, v[118:119]
	v_fma_f64 v[116:117], v[23:24], v[59:60], v[122:123]
	v_fma_f64 v[11:12], v[59:60], 0, v[11:12]
	v_fma_f64 v[67:68], v[25:26], v[59:60], v[67:68]
	v_fma_f64 v[13:14], v[59:60], 0, v[13:14]
	v_fma_f64 v[55:56], 0x80000000, v[61:62], v[55:56]
	v_fma_f64 v[19:20], v[19:20], v[61:62], v[57:58]
	v_fma_f64 v[57:58], 0x80000000, v[61:62], v[112:113]
	v_fma_f64 v[21:22], v[21:22], v[61:62], v[114:115]
	v_fma_f64 v[59:60], 0x80000000, v[61:62], v[116:117]
	v_fma_f64 v[11:12], v[23:24], v[61:62], v[11:12]
	v_fma_f64 v[23:24], 0x80000000, v[61:62], v[67:68]
	v_fma_f64 v[13:14], v[25:26], v[61:62], v[13:14]
	;; [unrolled: 17-line block ×5, first 2 shown]
	s_waitcnt vmcnt(7)
	v_fma_f64 v[25:26], v[88:89], v[84:85], v[25:26]
	v_fma_f64 v[19:20], v[84:85], 0, v[19:20]
	;; [unrolled: 1-line block ×4, first 2 shown]
	s_waitcnt vmcnt(6)
	v_fma_f64 v[29:30], v[92:93], v[84:85], v[29:30]
	v_fma_f64 v[11:12], v[84:85], 0, v[11:12]
	;; [unrolled: 1-line block ×12, first 2 shown]
	s_waitcnt vmcnt(3)
	v_fma_f64 v[25:26], v[96:97], v[100:101], v[25:26]
	v_fma_f64 v[19:20], v[100:101], 0, v[19:20]
	;; [unrolled: 1-line block ×16, first 2 shown]
	s_waitcnt vmcnt(0)
	v_fma_f64 v[25:26], v[15:16], v[108:109], v[25:26]
	v_fma_f64 v[19:20], v[108:109], 0, v[19:20]
	;; [unrolled: 1-line block ×16, first 2 shown]
	s_andn2_b32 exec_lo, exec_lo, s8
	s_cbranch_execnz .LBB143_31
; %bb.32:
	s_or_b32 exec_lo, exec_lo, s8
.LBB143_33:
	s_or_b32 exec_lo, exec_lo, s3
.LBB143_34:
	s_or_b32 exec_lo, exec_lo, s1
.LBB143_35:
	v_mbcnt_lo_u32_b32 v41, -1, 0
	v_xor_b32_e32 v9, 16, v41
	v_xor_b32_e32 v25, 8, v41
	v_cmp_gt_i32_e32 vcc_lo, 32, v9
	v_cndmask_b32_e32 v9, v41, v9, vcc_lo
	v_cmp_gt_i32_e32 vcc_lo, 32, v25
	v_lshlrev_b32_e32 v24, 2, v9
	v_cndmask_b32_e32 v25, v41, v25, vcc_lo
	ds_bpermute_b32 v9, v24, v76
	ds_bpermute_b32 v10, v24, v77
	;; [unrolled: 1-line block ×16, first 2 shown]
	v_lshlrev_b32_e32 v40, 2, v25
	s_waitcnt lgkmcnt(14)
	v_add_f64 v[9:10], v[76:77], v[9:10]
	s_waitcnt lgkmcnt(12)
	v_add_f64 v[11:12], v[57:58], v[11:12]
	;; [unrolled: 2-line block ×8, first 2 shown]
	ds_bpermute_b32 v25, v40, v9
	ds_bpermute_b32 v26, v40, v10
	;; [unrolled: 1-line block ×16, first 2 shown]
	s_waitcnt lgkmcnt(14)
	v_add_f64 v[9:10], v[9:10], v[25:26]
	v_xor_b32_e32 v25, 4, v41
	s_waitcnt lgkmcnt(12)
	v_add_f64 v[11:12], v[11:12], v[27:28]
	s_waitcnt lgkmcnt(10)
	v_add_f64 v[13:14], v[13:14], v[29:30]
	v_cmp_gt_i32_e32 vcc_lo, 32, v25
	s_waitcnt lgkmcnt(8)
	v_add_f64 v[15:16], v[15:16], v[31:32]
	s_waitcnt lgkmcnt(6)
	v_add_f64 v[17:18], v[17:18], v[33:34]
	;; [unrolled: 2-line block ×3, first 2 shown]
	v_cndmask_b32_e32 v25, v41, v25, vcc_lo
	s_waitcnt lgkmcnt(2)
	v_add_f64 v[21:22], v[21:22], v[37:38]
	s_waitcnt lgkmcnt(0)
	v_add_f64 v[23:24], v[23:24], v[39:40]
	v_lshlrev_b32_e32 v40, 2, v25
	ds_bpermute_b32 v25, v40, v9
	ds_bpermute_b32 v26, v40, v10
	;; [unrolled: 1-line block ×16, first 2 shown]
	s_waitcnt lgkmcnt(14)
	v_add_f64 v[9:10], v[9:10], v[25:26]
	v_xor_b32_e32 v25, 2, v41
	s_waitcnt lgkmcnt(12)
	v_add_f64 v[11:12], v[11:12], v[27:28]
	s_waitcnt lgkmcnt(10)
	v_add_f64 v[13:14], v[13:14], v[29:30]
	v_cmp_gt_i32_e32 vcc_lo, 32, v25
	s_waitcnt lgkmcnt(8)
	v_add_f64 v[15:16], v[15:16], v[31:32]
	s_waitcnt lgkmcnt(6)
	v_add_f64 v[17:18], v[17:18], v[33:34]
	;; [unrolled: 2-line block ×3, first 2 shown]
	v_cndmask_b32_e32 v27, v41, v25, vcc_lo
	s_waitcnt lgkmcnt(2)
	v_add_f64 v[21:22], v[21:22], v[37:38]
	s_waitcnt lgkmcnt(0)
	v_add_f64 v[25:26], v[23:24], v[39:40]
	v_lshlrev_b32_e32 v40, 2, v27
	ds_bpermute_b32 v23, v40, v9
	ds_bpermute_b32 v24, v40, v10
	;; [unrolled: 1-line block ×16, first 2 shown]
	s_waitcnt lgkmcnt(14)
	v_add_f64 v[9:10], v[9:10], v[23:24]
	s_waitcnt lgkmcnt(12)
	v_add_f64 v[27:28], v[11:12], v[27:28]
	;; [unrolled: 2-line block ×3, first 2 shown]
	v_xor_b32_e32 v29, 1, v41
	s_waitcnt lgkmcnt(8)
	v_add_f64 v[23:24], v[15:16], v[31:32]
	s_waitcnt lgkmcnt(6)
	v_add_f64 v[13:14], v[17:18], v[33:34]
	v_cmp_gt_i32_e32 vcc_lo, 32, v29
	s_waitcnt lgkmcnt(4)
	v_add_f64 v[17:18], v[19:20], v[35:36]
	s_waitcnt lgkmcnt(2)
	v_add_f64 v[15:16], v[21:22], v[37:38]
	;; [unrolled: 2-line block ×3, first 2 shown]
	v_cndmask_b32_e32 v29, v41, v29, vcc_lo
	v_cmp_eq_u32_e32 vcc_lo, 31, v0
	v_lshlrev_b32_e32 v34, 2, v29
	ds_bpermute_b32 v21, v34, v9
	ds_bpermute_b32 v22, v34, v10
	;; [unrolled: 1-line block ×16, first 2 shown]
	s_and_b32 exec_lo, exec_lo, vcc_lo
	s_cbranch_execz .LBB143_8
; %bb.36:
	s_waitcnt lgkmcnt(12)
	v_add_f64 v[27:28], v[27:28], v[39:40]
	s_waitcnt lgkmcnt(8)
	v_add_f64 v[23:24], v[23:24], v[37:38]
	;; [unrolled: 2-line block ×4, first 2 shown]
	v_add_f64 v[9:10], v[9:10], v[21:22]
	v_add_f64 v[11:12], v[11:12], v[25:26]
	;; [unrolled: 1-line block ×4, first 2 shown]
	v_cmp_eq_f64_e32 vcc_lo, 0, v[1:2]
	v_cmp_eq_f64_e64 s0, 0, v[3:4]
	s_load_dwordx2 s[2:3], s[4:5], 0x60
	v_mul_f64 v[13:14], v[27:28], -v[7:8]
	v_mul_f64 v[15:16], v[5:6], v[27:28]
	v_mul_f64 v[27:28], v[23:24], -v[7:8]
	v_mul_f64 v[23:24], v[5:6], v[23:24]
	;; [unrolled: 2-line block ×4, first 2 shown]
	s_and_b32 s0, vcc_lo, s0
	v_fma_f64 v[17:18], v[5:6], v[9:10], v[13:14]
	v_fma_f64 v[19:20], v[7:8], v[9:10], v[15:16]
	v_fma_f64 v[13:14], v[5:6], v[11:12], v[27:28]
	v_fma_f64 v[15:16], v[7:8], v[11:12], v[23:24]
	v_fma_f64 v[9:10], v[5:6], v[21:22], v[29:30]
	v_fma_f64 v[11:12], v[7:8], v[21:22], v[31:32]
	v_fma_f64 v[5:6], v[5:6], v[25:26], v[33:34]
	v_fma_f64 v[7:8], v[7:8], v[25:26], v[35:36]
	v_lshlrev_b32_e32 v21, 2, v69
	s_and_saveexec_b32 s1, s0
	s_xor_b32 s0, exec_lo, s1
	s_cbranch_execz .LBB143_38
; %bb.37:
	v_ashrrev_i32_e32 v22, 31, v21
	v_lshlrev_b64 v[0:1], 4, v[21:22]
                                        ; implicit-def: $vgpr21
	s_waitcnt lgkmcnt(0)
	v_add_co_u32 v0, vcc_lo, s2, v0
	v_add_co_ci_u32_e64 v1, null, s3, v1, vcc_lo
	global_store_dwordx4 v[0:1], v[17:20], off
	global_store_dwordx4 v[0:1], v[13:16], off offset:16
	global_store_dwordx4 v[0:1], v[9:12], off offset:32
	;; [unrolled: 1-line block ×3, first 2 shown]
                                        ; implicit-def: $vgpr3_vgpr4
                                        ; implicit-def: $vgpr17_vgpr18
                                        ; implicit-def: $vgpr13_vgpr14
                                        ; implicit-def: $vgpr9_vgpr10
                                        ; implicit-def: $vgpr5_vgpr6
.LBB143_38:
	s_andn2_saveexec_b32 s0, s0
	s_cbranch_execz .LBB143_8
; %bb.39:
	v_ashrrev_i32_e32 v22, 31, v21
	v_lshlrev_b64 v[21:22], 4, v[21:22]
	s_waitcnt lgkmcnt(0)
	v_add_co_u32 v37, vcc_lo, s2, v21
	v_add_co_ci_u32_e64 v38, null, s3, v22, vcc_lo
	s_clause 0x3
	global_load_dwordx4 v[21:24], v[37:38], off
	global_load_dwordx4 v[25:28], v[37:38], off offset:16
	global_load_dwordx4 v[29:32], v[37:38], off offset:32
	;; [unrolled: 1-line block ×3, first 2 shown]
	s_waitcnt vmcnt(3)
	v_fma_f64 v[17:18], v[1:2], v[21:22], v[17:18]
	v_fma_f64 v[19:20], v[3:4], v[21:22], v[19:20]
	s_waitcnt vmcnt(2)
	v_fma_f64 v[13:14], v[1:2], v[25:26], v[13:14]
	v_fma_f64 v[15:16], v[3:4], v[25:26], v[15:16]
	;; [unrolled: 3-line block ×4, first 2 shown]
	v_fma_f64 v[5:6], -v[3:4], v[23:24], v[17:18]
	v_fma_f64 v[7:8], v[1:2], v[23:24], v[19:20]
	v_fma_f64 v[9:10], -v[3:4], v[27:28], v[13:14]
	v_fma_f64 v[11:12], v[1:2], v[27:28], v[15:16]
	;; [unrolled: 2-line block ×4, first 2 shown]
	global_store_dwordx4 v[37:38], v[5:8], off
	global_store_dwordx4 v[37:38], v[9:12], off offset:16
	global_store_dwordx4 v[37:38], v[13:16], off offset:32
	;; [unrolled: 1-line block ×3, first 2 shown]
	s_endpgm
	.section	.rodata,"a",@progbits
	.p2align	6, 0x0
	.amdhsa_kernel _ZN9rocsparseL18bsrxmvn_4x4_kernelILj128ELj32E21rocsparse_complex_numIdElidS2_S2_EEvT3_20rocsparse_direction_NS_24const_host_device_scalarIT1_EES3_PKS3_PKT2_SC_S9_PKT4_PKT5_S7_PT6_21rocsparse_index_base_b
		.amdhsa_group_segment_fixed_size 0
		.amdhsa_private_segment_fixed_size 0
		.amdhsa_kernarg_size 112
		.amdhsa_user_sgpr_count 6
		.amdhsa_user_sgpr_private_segment_buffer 1
		.amdhsa_user_sgpr_dispatch_ptr 0
		.amdhsa_user_sgpr_queue_ptr 0
		.amdhsa_user_sgpr_kernarg_segment_ptr 1
		.amdhsa_user_sgpr_dispatch_id 0
		.amdhsa_user_sgpr_flat_scratch_init 0
		.amdhsa_user_sgpr_private_segment_size 0
		.amdhsa_wavefront_size32 1
		.amdhsa_uses_dynamic_stack 0
		.amdhsa_system_sgpr_private_segment_wavefront_offset 0
		.amdhsa_system_sgpr_workgroup_id_x 1
		.amdhsa_system_sgpr_workgroup_id_y 0
		.amdhsa_system_sgpr_workgroup_id_z 0
		.amdhsa_system_sgpr_workgroup_info 0
		.amdhsa_system_vgpr_workitem_id 0
		.amdhsa_next_free_vgpr 159
		.amdhsa_next_free_sgpr 16
		.amdhsa_reserve_vcc 1
		.amdhsa_reserve_flat_scratch 0
		.amdhsa_float_round_mode_32 0
		.amdhsa_float_round_mode_16_64 0
		.amdhsa_float_denorm_mode_32 3
		.amdhsa_float_denorm_mode_16_64 3
		.amdhsa_dx10_clamp 1
		.amdhsa_ieee_mode 1
		.amdhsa_fp16_overflow 0
		.amdhsa_workgroup_processor_mode 1
		.amdhsa_memory_ordered 1
		.amdhsa_forward_progress 1
		.amdhsa_shared_vgpr_count 0
		.amdhsa_exception_fp_ieee_invalid_op 0
		.amdhsa_exception_fp_denorm_src 0
		.amdhsa_exception_fp_ieee_div_zero 0
		.amdhsa_exception_fp_ieee_overflow 0
		.amdhsa_exception_fp_ieee_underflow 0
		.amdhsa_exception_fp_ieee_inexact 0
		.amdhsa_exception_int_div_zero 0
	.end_amdhsa_kernel
	.section	.text._ZN9rocsparseL18bsrxmvn_4x4_kernelILj128ELj32E21rocsparse_complex_numIdElidS2_S2_EEvT3_20rocsparse_direction_NS_24const_host_device_scalarIT1_EES3_PKS3_PKT2_SC_S9_PKT4_PKT5_S7_PT6_21rocsparse_index_base_b,"axG",@progbits,_ZN9rocsparseL18bsrxmvn_4x4_kernelILj128ELj32E21rocsparse_complex_numIdElidS2_S2_EEvT3_20rocsparse_direction_NS_24const_host_device_scalarIT1_EES3_PKS3_PKT2_SC_S9_PKT4_PKT5_S7_PT6_21rocsparse_index_base_b,comdat
.Lfunc_end143:
	.size	_ZN9rocsparseL18bsrxmvn_4x4_kernelILj128ELj32E21rocsparse_complex_numIdElidS2_S2_EEvT3_20rocsparse_direction_NS_24const_host_device_scalarIT1_EES3_PKS3_PKT2_SC_S9_PKT4_PKT5_S7_PT6_21rocsparse_index_base_b, .Lfunc_end143-_ZN9rocsparseL18bsrxmvn_4x4_kernelILj128ELj32E21rocsparse_complex_numIdElidS2_S2_EEvT3_20rocsparse_direction_NS_24const_host_device_scalarIT1_EES3_PKS3_PKT2_SC_S9_PKT4_PKT5_S7_PT6_21rocsparse_index_base_b
                                        ; -- End function
	.set _ZN9rocsparseL18bsrxmvn_4x4_kernelILj128ELj32E21rocsparse_complex_numIdElidS2_S2_EEvT3_20rocsparse_direction_NS_24const_host_device_scalarIT1_EES3_PKS3_PKT2_SC_S9_PKT4_PKT5_S7_PT6_21rocsparse_index_base_b.num_vgpr, 159
	.set _ZN9rocsparseL18bsrxmvn_4x4_kernelILj128ELj32E21rocsparse_complex_numIdElidS2_S2_EEvT3_20rocsparse_direction_NS_24const_host_device_scalarIT1_EES3_PKS3_PKT2_SC_S9_PKT4_PKT5_S7_PT6_21rocsparse_index_base_b.num_agpr, 0
	.set _ZN9rocsparseL18bsrxmvn_4x4_kernelILj128ELj32E21rocsparse_complex_numIdElidS2_S2_EEvT3_20rocsparse_direction_NS_24const_host_device_scalarIT1_EES3_PKS3_PKT2_SC_S9_PKT4_PKT5_S7_PT6_21rocsparse_index_base_b.numbered_sgpr, 16
	.set _ZN9rocsparseL18bsrxmvn_4x4_kernelILj128ELj32E21rocsparse_complex_numIdElidS2_S2_EEvT3_20rocsparse_direction_NS_24const_host_device_scalarIT1_EES3_PKS3_PKT2_SC_S9_PKT4_PKT5_S7_PT6_21rocsparse_index_base_b.num_named_barrier, 0
	.set _ZN9rocsparseL18bsrxmvn_4x4_kernelILj128ELj32E21rocsparse_complex_numIdElidS2_S2_EEvT3_20rocsparse_direction_NS_24const_host_device_scalarIT1_EES3_PKS3_PKT2_SC_S9_PKT4_PKT5_S7_PT6_21rocsparse_index_base_b.private_seg_size, 0
	.set _ZN9rocsparseL18bsrxmvn_4x4_kernelILj128ELj32E21rocsparse_complex_numIdElidS2_S2_EEvT3_20rocsparse_direction_NS_24const_host_device_scalarIT1_EES3_PKS3_PKT2_SC_S9_PKT4_PKT5_S7_PT6_21rocsparse_index_base_b.uses_vcc, 1
	.set _ZN9rocsparseL18bsrxmvn_4x4_kernelILj128ELj32E21rocsparse_complex_numIdElidS2_S2_EEvT3_20rocsparse_direction_NS_24const_host_device_scalarIT1_EES3_PKS3_PKT2_SC_S9_PKT4_PKT5_S7_PT6_21rocsparse_index_base_b.uses_flat_scratch, 0
	.set _ZN9rocsparseL18bsrxmvn_4x4_kernelILj128ELj32E21rocsparse_complex_numIdElidS2_S2_EEvT3_20rocsparse_direction_NS_24const_host_device_scalarIT1_EES3_PKS3_PKT2_SC_S9_PKT4_PKT5_S7_PT6_21rocsparse_index_base_b.has_dyn_sized_stack, 0
	.set _ZN9rocsparseL18bsrxmvn_4x4_kernelILj128ELj32E21rocsparse_complex_numIdElidS2_S2_EEvT3_20rocsparse_direction_NS_24const_host_device_scalarIT1_EES3_PKS3_PKT2_SC_S9_PKT4_PKT5_S7_PT6_21rocsparse_index_base_b.has_recursion, 0
	.set _ZN9rocsparseL18bsrxmvn_4x4_kernelILj128ELj32E21rocsparse_complex_numIdElidS2_S2_EEvT3_20rocsparse_direction_NS_24const_host_device_scalarIT1_EES3_PKS3_PKT2_SC_S9_PKT4_PKT5_S7_PT6_21rocsparse_index_base_b.has_indirect_call, 0
	.section	.AMDGPU.csdata,"",@progbits
; Kernel info:
; codeLenInByte = 11156
; TotalNumSgprs: 18
; NumVgprs: 159
; ScratchSize: 0
; MemoryBound: 0
; FloatMode: 240
; IeeeMode: 1
; LDSByteSize: 0 bytes/workgroup (compile time only)
; SGPRBlocks: 0
; VGPRBlocks: 19
; NumSGPRsForWavesPerEU: 18
; NumVGPRsForWavesPerEU: 159
; Occupancy: 6
; WaveLimiterHint : 1
; COMPUTE_PGM_RSRC2:SCRATCH_EN: 0
; COMPUTE_PGM_RSRC2:USER_SGPR: 6
; COMPUTE_PGM_RSRC2:TRAP_HANDLER: 0
; COMPUTE_PGM_RSRC2:TGID_X_EN: 1
; COMPUTE_PGM_RSRC2:TGID_Y_EN: 0
; COMPUTE_PGM_RSRC2:TGID_Z_EN: 0
; COMPUTE_PGM_RSRC2:TIDIG_COMP_CNT: 0
	.section	.text._ZN9rocsparseL18bsrxmvn_4x4_kernelILj128ELj64E21rocsparse_complex_numIdElidS2_S2_EEvT3_20rocsparse_direction_NS_24const_host_device_scalarIT1_EES3_PKS3_PKT2_SC_S9_PKT4_PKT5_S7_PT6_21rocsparse_index_base_b,"axG",@progbits,_ZN9rocsparseL18bsrxmvn_4x4_kernelILj128ELj64E21rocsparse_complex_numIdElidS2_S2_EEvT3_20rocsparse_direction_NS_24const_host_device_scalarIT1_EES3_PKS3_PKT2_SC_S9_PKT4_PKT5_S7_PT6_21rocsparse_index_base_b,comdat
	.globl	_ZN9rocsparseL18bsrxmvn_4x4_kernelILj128ELj64E21rocsparse_complex_numIdElidS2_S2_EEvT3_20rocsparse_direction_NS_24const_host_device_scalarIT1_EES3_PKS3_PKT2_SC_S9_PKT4_PKT5_S7_PT6_21rocsparse_index_base_b ; -- Begin function _ZN9rocsparseL18bsrxmvn_4x4_kernelILj128ELj64E21rocsparse_complex_numIdElidS2_S2_EEvT3_20rocsparse_direction_NS_24const_host_device_scalarIT1_EES3_PKS3_PKT2_SC_S9_PKT4_PKT5_S7_PT6_21rocsparse_index_base_b
	.p2align	8
	.type	_ZN9rocsparseL18bsrxmvn_4x4_kernelILj128ELj64E21rocsparse_complex_numIdElidS2_S2_EEvT3_20rocsparse_direction_NS_24const_host_device_scalarIT1_EES3_PKS3_PKT2_SC_S9_PKT4_PKT5_S7_PT6_21rocsparse_index_base_b,@function
_ZN9rocsparseL18bsrxmvn_4x4_kernelILj128ELj64E21rocsparse_complex_numIdElidS2_S2_EEvT3_20rocsparse_direction_NS_24const_host_device_scalarIT1_EES3_PKS3_PKT2_SC_S9_PKT4_PKT5_S7_PT6_21rocsparse_index_base_b: ; @_ZN9rocsparseL18bsrxmvn_4x4_kernelILj128ELj64E21rocsparse_complex_numIdElidS2_S2_EEvT3_20rocsparse_direction_NS_24const_host_device_scalarIT1_EES3_PKS3_PKT2_SC_S9_PKT4_PKT5_S7_PT6_21rocsparse_index_base_b
; %bb.0:
	s_clause 0x1
	s_load_dwordx2 s[2:3], s[4:5], 0x68
	s_load_dwordx2 s[0:1], s[4:5], 0x8
	s_add_u32 s7, s4, 8
	s_addc_u32 s10, s5, 0
	s_add_u32 s11, s4, 0x50
	s_addc_u32 s12, s5, 0
	s_load_dwordx2 s[8:9], s[4:5], 0x50
	s_waitcnt lgkmcnt(0)
	s_bitcmp1_b32 s3, 0
	s_cselect_b32 s0, s7, s0
	s_cselect_b32 s1, s10, s1
	v_mov_b32_e32 v1, s0
	v_mov_b32_e32 v2, s1
	s_cselect_b32 s0, s11, s8
	s_cselect_b32 s1, s12, s9
	flat_load_dwordx4 v[5:8], v[1:2]
	v_mov_b32_e32 v1, s0
	v_mov_b32_e32 v2, s1
	flat_load_dwordx4 v[1:4], v[1:2]
	s_waitcnt vmcnt(1) lgkmcnt(1)
	v_cmp_eq_f64_e32 vcc_lo, 0, v[5:6]
	v_cmp_eq_f64_e64 s0, 0, v[7:8]
	s_and_b32 s3, vcc_lo, s0
	s_mov_b32 s0, -1
	s_and_saveexec_b32 s1, s3
	s_cbranch_execz .LBB144_2
; %bb.1:
	s_waitcnt vmcnt(0) lgkmcnt(0)
	v_cmp_neq_f64_e32 vcc_lo, 1.0, v[1:2]
	v_cmp_neq_f64_e64 s0, 0, v[3:4]
	s_or_b32 s0, vcc_lo, s0
	s_orn2_b32 s0, s0, exec_lo
.LBB144_2:
	s_or_b32 exec_lo, exec_lo, s1
	s_and_saveexec_b32 s1, s0
	s_cbranch_execz .LBB144_8
; %bb.3:
	s_clause 0x1
	s_load_dwordx2 s[8:9], s[4:5], 0x20
	s_load_dwordx2 s[0:1], s[4:5], 0x0
	v_lshrrev_b32_e32 v9, 6, v0
	v_lshl_or_b32 v69, s6, 1, v9
	s_waitcnt lgkmcnt(0)
	s_cmp_lg_u64 s[8:9], 0
	s_cbranch_scc0 .LBB144_9
; %bb.4:
	s_load_dword s3, s[4:5], 0x18
	s_mov_b32 s6, 0
                                        ; implicit-def: $vgpr9
	s_waitcnt lgkmcnt(0)
	v_cmp_gt_i32_e32 vcc_lo, s3, v69
	s_mov_b32 s3, 0
	s_and_saveexec_b32 s7, vcc_lo
	s_xor_b32 s7, exec_lo, s7
	s_cbranch_execz .LBB144_6
; %bb.5:
	v_ashrrev_i32_e32 v70, 31, v69
	s_mov_b32 s3, exec_lo
	v_lshlrev_b64 v[9:10], 2, v[69:70]
	v_add_co_u32 v9, vcc_lo, s8, v9
	v_add_co_ci_u32_e64 v10, null, s9, v10, vcc_lo
	global_load_dword v9, v[9:10], off
	s_waitcnt vmcnt(0)
	v_subrev_nc_u32_e32 v9, s2, v9
.LBB144_6:
	s_or_b32 exec_lo, exec_lo, s7
	s_and_b32 vcc_lo, exec_lo, s6
	s_cbranch_vccz .LBB144_10
.LBB144_7:
	v_cmp_gt_i32_e32 vcc_lo, s0, v69
	s_andn2_b32 s0, s3, exec_lo
	s_and_b32 s3, vcc_lo, exec_lo
	s_or_b32 s3, s0, s3
	s_and_b32 exec_lo, exec_lo, s3
	s_cbranch_execnz .LBB144_11
.LBB144_8:
	s_endpgm
.LBB144_9:
	s_mov_b32 s3, 0
                                        ; implicit-def: $vgpr9
	s_cbranch_execnz .LBB144_7
.LBB144_10:
	v_mov_b32_e32 v69, v9
	s_and_b32 exec_lo, exec_lo, s3
	s_cbranch_execz .LBB144_8
.LBB144_11:
	s_load_dwordx8 s[8:15], s[4:5], 0x28
	v_ashrrev_i32_e32 v70, 31, v69
	v_and_b32_e32 v0, 63, v0
	s_load_dwordx2 s[6:7], s[4:5], 0x48
	v_lshlrev_b64 v[9:10], 3, v[69:70]
	s_waitcnt lgkmcnt(0)
	v_add_co_u32 v11, vcc_lo, s8, v9
	v_add_co_ci_u32_e64 v12, null, s9, v10, vcc_lo
	v_add_co_u32 v9, vcc_lo, s10, v9
	v_add_co_ci_u32_e64 v10, null, s11, v10, vcc_lo
	;; [unrolled: 2-line block ×3, first 2 shown]
	global_load_dwordx2 v[88:89], v[11:12], off
	s_cmp_eq_u64 s[10:11], 0
	s_cselect_b32 vcc_lo, -1, 0
	s_cmp_eq_u32 s1, 1
	v_cndmask_b32_e32 v10, v10, v14, vcc_lo
	v_cndmask_b32_e32 v9, v9, v13, vcc_lo
	global_load_dwordx2 v[9:10], v[9:10], off
	s_waitcnt vmcnt(1)
	v_sub_co_u32 v11, vcc_lo, v88, s2
	v_subrev_co_ci_u32_e64 v12, null, 0, v89, vcc_lo
	v_add_co_u32 v70, vcc_lo, v11, v0
	v_add_co_ci_u32_e64 v71, null, 0, v12, vcc_lo
	s_waitcnt vmcnt(0)
	v_sub_co_u32 v72, vcc_lo, v9, s2
	v_subrev_co_ci_u32_e64 v73, null, 0, v10, vcc_lo
	v_lshlrev_b64 v[9:10], 7, v[70:71]
	v_cmp_lt_i64_e64 s0, v[70:71], v[72:73]
	v_add_co_u32 v74, vcc_lo, s14, v9
	v_add_co_ci_u32_e64 v75, null, s15, v10, vcc_lo
	s_cbranch_scc1 .LBB144_23
; %bb.12:
	v_mov_b32_e32 v57, 0
	v_mov_b32_e32 v76, 0
	;; [unrolled: 1-line block ×16, first 2 shown]
	s_and_saveexec_b32 s3, s0
	s_cbranch_execz .LBB144_22
; %bb.13:
	v_or_b32_e32 v9, 64, v0
	v_not_b32_e32 v13, v88
	v_not_b32_e32 v11, v89
	v_mov_b32_e32 v59, 0
	v_mov_b32_e32 v80, 0
	v_sub_co_u32 v9, s1, v9, s2
	v_sub_co_ci_u32_e64 v10, null, 0, 0, s1
	v_sub_co_u32 v14, s1, s2, v0
	v_add_co_u32 v9, vcc_lo, v9, v88
	v_add_co_ci_u32_e64 v10, null, v10, v89, vcc_lo
	v_sub_co_ci_u32_e64 v15, null, 0, 0, s1
	v_add_co_u32 v13, s1, v14, v13
	v_cmp_gt_i64_e32 vcc_lo, v[9:10], v[72:73]
	v_add_co_ci_u32_e64 v11, null, v15, v11, s1
	v_mov_b32_e32 v82, 0
	v_mov_b32_e32 v84, 0
	;; [unrolled: 1-line block ×3, first 2 shown]
	v_cndmask_b32_e32 v9, v72, v9, vcc_lo
	v_cndmask_b32_e32 v10, v73, v10, vcc_lo
	v_mov_b32_e32 v78, 0
	v_mov_b32_e32 v76, 0
	v_mov_b32_e32 v57, 0
	v_add_co_u32 v9, vcc_lo, v13, v9
	v_mov_b32_e32 v93, v75
	v_mov_b32_e32 v91, v71
	;; [unrolled: 1-line block ×7, first 2 shown]
	v_add_co_ci_u32_e64 v10, null, v11, v10, vcc_lo
	v_and_b32_e32 v11, 0xc0, v9
	v_mov_b32_e32 v87, 0
	v_mov_b32_e32 v79, 0
	;; [unrolled: 1-line block ×6, first 2 shown]
	s_mov_b32 s8, exec_lo
	v_cmpx_ne_u64_e32 0xc0, v[11:12]
	s_cbranch_execz .LBB144_17
; %bb.14:
	v_lshrrev_b32_e32 v13, 6, v9
	v_lshlrev_b64 v[11:12], 2, v[70:71]
	v_mov_b32_e32 v57, 0
	v_mov_b32_e32 v91, v71
	;; [unrolled: 1-line block ×3, first 2 shown]
	v_add_nc_u32_e32 v13, 1, v13
	v_mov_b32_e32 v78, 0
	v_add_co_u32 v11, vcc_lo, s12, v11
	v_mov_b32_e32 v86, 0
	v_and_b32_e32 v13, 3, v13
	v_mov_b32_e32 v84, 0
	v_mov_b32_e32 v82, 0
	;; [unrolled: 1-line block ×4, first 2 shown]
	v_sub_co_u32 v13, s1, 0, v13
	v_mov_b32_e32 v93, v75
	v_mov_b32_e32 v58, 0
	;; [unrolled: 1-line block ×5, first 2 shown]
	v_add_co_ci_u32_e64 v12, null, s13, v12, vcc_lo
	v_sub_co_ci_u32_e64 v14, null, 0, 0, s1
	v_mov_b32_e32 v87, 0
	v_mov_b32_e32 v85, 0
	;; [unrolled: 1-line block ×6, first 2 shown]
	s_mov_b32 s9, 0
.LBB144_15:                             ; =>This Inner Loop Header: Depth=1
	global_load_dword v43, v[11:12], off
	s_clause 0x6
	global_load_dwordx4 v[15:18], v[92:93], off offset:48
	global_load_dwordx4 v[19:22], v[92:93], off offset:32
	global_load_dwordx4 v[23:26], v[92:93], off offset:16
	global_load_dwordx4 v[27:30], v[92:93], off
	global_load_dwordx4 v[31:34], v[92:93], off offset:112
	global_load_dwordx4 v[35:38], v[92:93], off offset:96
	global_load_dwordx4 v[39:42], v[92:93], off offset:64
	v_add_co_u32 v11, s1, 0x100, v11
	v_add_co_ci_u32_e64 v12, null, 0, v12, s1
	s_waitcnt vmcnt(7)
	v_subrev_nc_u32_e32 v43, s2, v43
	v_lshlrev_b32_e32 v43, 2, v43
	v_ashrrev_i32_e32 v44, 31, v43
	v_lshlrev_b64 v[43:44], 4, v[43:44]
	v_add_co_u32 v55, vcc_lo, s6, v43
	v_add_co_ci_u32_e64 v56, null, s7, v44, vcc_lo
	s_clause 0x1
	global_load_dwordx4 v[43:46], v[55:56], off
	global_load_dwordx4 v[47:50], v[55:56], off offset:16
	global_load_dwordx4 v[51:54], v[92:93], off offset:80
	s_clause 0x1
	global_load_dwordx4 v[61:64], v[55:56], off offset:32
	global_load_dwordx4 v[65:68], v[55:56], off offset:48
	v_add_co_u32 v92, vcc_lo, 0x2000, v92
	v_add_co_ci_u32_e64 v93, null, 0, v93, vcc_lo
	v_add_co_u32 v13, vcc_lo, v13, 1
	v_add_co_ci_u32_e64 v14, null, 0, v14, vcc_lo
	;; [unrolled: 2-line block ×3, first 2 shown]
	v_cmp_eq_u64_e32 vcc_lo, 0, v[13:14]
	s_or_b32 s9, vcc_lo, s9
	s_waitcnt vmcnt(4)
	v_fma_f64 v[55:56], v[27:28], v[43:44], v[76:77]
	v_fma_f64 v[57:58], v[43:44], 0, v[57:58]
	v_fma_f64 v[76:77], v[19:20], v[43:44], v[86:87]
	v_fma_f64 v[78:79], v[43:44], 0, v[78:79]
	v_fma_f64 v[82:83], v[39:40], v[43:44], v[82:83]
	v_fma_f64 v[84:85], v[43:44], 0, v[84:85]
	v_fma_f64 v[59:60], v[35:36], v[43:44], v[59:60]
	v_fma_f64 v[43:44], v[43:44], 0, v[80:81]
	v_fma_f64 v[55:56], 0x80000000, v[45:46], v[55:56]
	v_fma_f64 v[27:28], v[27:28], v[45:46], v[57:58]
	v_fma_f64 v[57:58], 0x80000000, v[45:46], v[76:77]
	v_fma_f64 v[19:20], v[19:20], v[45:46], v[78:79]
	v_fma_f64 v[76:77], 0x80000000, v[45:46], v[82:83]
	v_fma_f64 v[39:40], v[39:40], v[45:46], v[84:85]
	v_fma_f64 v[59:60], 0x80000000, v[45:46], v[59:60]
	v_fma_f64 v[35:36], v[35:36], v[45:46], v[43:44]
	s_waitcnt vmcnt(3)
	v_fma_f64 v[43:44], v[29:30], v[47:48], v[55:56]
	v_fma_f64 v[27:28], v[47:48], 0, v[27:28]
	v_fma_f64 v[45:46], v[21:22], v[47:48], v[57:58]
	v_fma_f64 v[19:20], v[47:48], 0, v[19:20]
	v_fma_f64 v[55:56], v[41:42], v[47:48], v[76:77]
	v_fma_f64 v[39:40], v[47:48], 0, v[39:40]
	v_fma_f64 v[57:58], v[37:38], v[47:48], v[59:60]
	v_fma_f64 v[35:36], v[47:48], 0, v[35:36]
	v_fma_f64 v[43:44], 0x80000000, v[49:50], v[43:44]
	v_fma_f64 v[27:28], v[29:30], v[49:50], v[27:28]
	v_fma_f64 v[29:30], 0x80000000, v[49:50], v[45:46]
	v_fma_f64 v[19:20], v[21:22], v[49:50], v[19:20]
	v_fma_f64 v[21:22], 0x80000000, v[49:50], v[55:56]
	v_fma_f64 v[39:40], v[41:42], v[49:50], v[39:40]
	v_fma_f64 v[41:42], 0x80000000, v[49:50], v[57:58]
	v_fma_f64 v[35:36], v[37:38], v[49:50], v[35:36]
	;; [unrolled: 17-line block ×4, first 2 shown]
	s_andn2_b32 exec_lo, exec_lo, s9
	s_cbranch_execnz .LBB144_15
; %bb.16:
	s_or_b32 exec_lo, exec_lo, s9
.LBB144_17:
	s_or_b32 exec_lo, exec_lo, s8
	s_mov_b32 s8, exec_lo
	v_cmpx_lt_u64_e32 0xbf, v[9:10]
	s_cbranch_execz .LBB144_21
; %bb.18:
	v_lshlrev_b64 v[9:10], 2, v[90:91]
	s_mov_b32 s9, 0
	v_add_co_u32 v9, vcc_lo, s12, v9
	v_add_co_ci_u32_e64 v10, null, s13, v10, vcc_lo
	v_add_co_u32 v94, vcc_lo, 0x200, v9
	v_add_co_ci_u32_e64 v95, null, 0, v10, vcc_lo
.LBB144_19:                             ; =>This Inner Loop Header: Depth=1
	s_clause 0x1
	global_load_dword v96, v[94:95], off offset:-512
	global_load_dword v141, v[94:95], off offset:-256
	s_clause 0x7
	global_load_dwordx4 v[25:28], v[92:93], off offset:48
	global_load_dwordx4 v[97:100], v[92:93], off offset:32
	;; [unrolled: 1-line block ×3, first 2 shown]
	global_load_dwordx4 v[101:104], v[92:93], off
	global_load_dwordx4 v[13:16], v[92:93], off offset:112
	global_load_dwordx4 v[105:108], v[92:93], off offset:96
	;; [unrolled: 1-line block ×4, first 2 shown]
	s_clause 0x1
	global_load_dword v157, v[94:95], off
	global_load_dword v158, v[94:95], off offset:256
	v_add_co_u32 v9, vcc_lo, 0x2000, v92
	v_add_co_ci_u32_e64 v10, null, 0, v93, vcc_lo
	v_add_co_u32 v61, vcc_lo, 0x4000, v92
	v_add_co_ci_u32_e64 v62, null, 0, v93, vcc_lo
	;; [unrolled: 2-line block ×3, first 2 shown]
	s_clause 0x10
	global_load_dwordx4 v[29:32], v[9:10], off offset:48
	global_load_dwordx4 v[113:116], v[9:10], off offset:32
	global_load_dwordx4 v[117:120], v[9:10], off
	global_load_dwordx4 v[41:44], v[9:10], off offset:16
	global_load_dwordx4 v[33:36], v[9:10], off offset:112
	;; [unrolled: 1-line block ×7, first 2 shown]
	global_load_dwordx4 v[65:68], v[61:62], off
	global_load_dwordx4 v[17:20], v[61:62], off offset:16
	global_load_dwordx4 v[49:52], v[61:62], off offset:112
	;; [unrolled: 1-line block ×5, first 2 shown]
	global_load_dwordx4 v[61:64], v[149:150], off
	v_add_co_u32 v92, s1, 0x8000, v92
	v_add_co_ci_u32_e64 v93, null, 0, v93, s1
	s_waitcnt vmcnt(28)
	v_subrev_nc_u32_e32 v96, s2, v96
	s_waitcnt vmcnt(27)
	v_subrev_nc_u32_e32 v142, s2, v141
	v_lshlrev_b32_e32 v141, 2, v96
	v_lshlrev_b32_e32 v143, 2, v142
	v_ashrrev_i32_e32 v142, 31, v141
	v_ashrrev_i32_e32 v144, 31, v143
	v_lshlrev_b64 v[141:142], 4, v[141:142]
	v_lshlrev_b64 v[143:144], 4, v[143:144]
	v_add_co_u32 v151, vcc_lo, s6, v141
	v_add_co_ci_u32_e64 v152, null, s7, v142, vcc_lo
	v_add_co_u32 v153, vcc_lo, s6, v143
	v_add_co_ci_u32_e64 v154, null, s7, v144, vcc_lo
	s_clause 0x1
	global_load_dwordx4 v[141:144], v[151:152], off
	global_load_dwordx4 v[145:148], v[151:152], off offset:16
	s_waitcnt vmcnt(1)
	v_fma_f64 v[57:58], v[141:142], 0, v[57:58]
	v_fma_f64 v[76:77], v[101:102], v[141:142], v[76:77]
	;; [unrolled: 1-line block ×16, first 2 shown]
	global_load_dwordx4 v[57:60], v[149:150], off offset:48
	s_waitcnt vmcnt(1)
	v_fma_f64 v[78:79], v[145:146], 0, v[101:102]
	v_fma_f64 v[101:102], v[103:104], v[145:146], v[76:77]
	;; [unrolled: 1-line block ×8, first 2 shown]
	global_load_dwordx4 v[76:79], v[151:152], off offset:32
	v_fma_f64 v[155:156], v[99:100], v[147:148], v[80:81]
	global_load_dwordx4 v[80:83], v[151:152], off offset:48
	v_fma_f64 v[103:104], v[99:100], v[145:146], v[86:87]
	v_fma_f64 v[111:112], v[111:112], v[147:148], v[84:85]
	global_load_dwordx4 v[84:87], v[153:154], off
	v_fma_f64 v[107:108], v[107:108], v[147:148], v[96:97]
	global_load_dwordx4 v[96:99], v[153:154], off offset:16
	v_fma_f64 v[109:110], 0x80000000, v[147:148], v[101:102]
	v_fma_f64 v[141:142], 0x80000000, v[147:148], v[141:142]
	;; [unrolled: 1-line block ×4, first 2 shown]
	global_load_dwordx4 v[100:103], v[153:154], off offset:32
	s_waitcnt vmcnt(4)
	v_fma_f64 v[143:144], v[76:77], 0, v[143:144]
	v_fma_f64 v[109:110], v[45:46], v[76:77], v[109:110]
	;; [unrolled: 1-line block ×10, first 2 shown]
	v_subrev_nc_u32_e32 v110, s2, v157
	v_fma_f64 v[25:26], v[25:26], v[78:79], v[147:148]
	v_fma_f64 v[108:109], 0x80000000, v[78:79], v[145:146]
	;; [unrolled: 1-line block ×4, first 2 shown]
	v_lshlrev_b32_e32 v110, 2, v110
	v_fma_f64 v[13:14], v[13:14], v[78:79], v[76:77]
	v_fma_f64 v[104:105], 0x80000000, v[78:79], v[104:105]
	global_load_dwordx4 v[76:79], v[149:150], off offset:32
	v_ashrrev_i32_e32 v111, 31, v110
	v_lshlrev_b64 v[110:111], 4, v[110:111]
	s_waitcnt vmcnt(4)
	v_fma_f64 v[45:46], v[80:81], 0, v[45:46]
	v_fma_f64 v[106:107], v[47:48], v[80:81], v[106:107]
	v_add_co_u32 v110, vcc_lo, s6, v110
	v_fma_f64 v[25:26], v[80:81], 0, v[25:26]
	v_add_co_ci_u32_e64 v111, null, s7, v111, vcc_lo
	v_fma_f64 v[108:109], v[27:28], v[80:81], v[108:109]
	v_fma_f64 v[13:14], v[80:81], 0, v[13:14]
	;; [unrolled: 1-line block ×6, first 2 shown]
	global_load_dwordx4 v[45:48], v[153:154], off offset:48
	v_fma_f64 v[106:107], 0x80000000, v[82:83], v[106:107]
	v_fma_f64 v[145:146], v[27:28], v[82:83], v[25:26]
	global_load_dwordx4 v[25:28], v[110:111], off
	v_fma_f64 v[108:109], 0x80000000, v[82:83], v[108:109]
	v_fma_f64 v[104:105], v[15:16], v[82:83], v[13:14]
	global_load_dwordx4 v[13:16], v[110:111], off offset:16
	v_fma_f64 v[147:148], v[23:24], v[82:83], v[21:22]
	v_fma_f64 v[141:142], 0x80000000, v[82:83], v[141:142]
	;; [unrolled: 1-line block ×3, first 2 shown]
	global_load_dwordx4 v[80:83], v[110:111], off offset:32
	global_load_dwordx4 v[21:24], v[149:150], off offset:112
	s_waitcnt vmcnt(8)
	v_fma_f64 v[143:144], v[84:85], 0, v[143:144]
	v_fma_f64 v[106:107], v[117:118], v[84:85], v[106:107]
	;; [unrolled: 1-line block ×8, first 2 shown]
	v_subrev_nc_u32_e32 v104, s2, v158
	v_lshlrev_b32_e32 v104, 2, v104
	v_fma_f64 v[117:118], v[117:118], v[86:87], v[143:144]
	v_ashrrev_i32_e32 v105, 31, v104
	v_fma_f64 v[153:154], 0x80000000, v[86:87], v[106:107]
	v_fma_f64 v[112:113], v[113:114], v[86:87], v[145:146]
	v_lshlrev_b64 v[104:105], 4, v[104:105]
	v_fma_f64 v[143:144], 0x80000000, v[86:87], v[108:109]
	v_fma_f64 v[125:126], v[125:126], v[86:87], v[147:148]
	;; [unrolled: 1-line block ×4, first 2 shown]
	v_add_co_u32 v147, vcc_lo, s6, v104
	v_add_co_ci_u32_e64 v148, null, s7, v105, vcc_lo
	global_load_dwordx4 v[104:107], v[110:111], off offset:48
	v_fma_f64 v[121:122], v[121:122], v[86:87], v[84:85]
	global_load_dwordx4 v[84:87], v[149:150], off offset:96
	v_add_co_u32 v90, vcc_lo, 0x100, v90
	s_waitcnt vmcnt(9)
	v_fma_f64 v[108:109], v[96:97], 0, v[117:118]
	v_add_co_ci_u32_e64 v91, null, 0, v91, vcc_lo
	v_fma_f64 v[117:118], v[119:120], v[96:97], v[153:154]
	v_fma_f64 v[112:113], v[96:97], 0, v[112:113]
	v_add_co_u32 v94, vcc_lo, 0x400, v94
	v_add_co_ci_u32_e64 v95, null, 0, v95, vcc_lo
	v_fma_f64 v[143:144], v[115:116], v[96:97], v[143:144]
	v_fma_f64 v[125:126], v[96:97], 0, v[125:126]
	;; [unrolled: 1-line block ×4, first 2 shown]
	v_cmp_ge_i64_e32 vcc_lo, v[90:91], v[72:73]
	v_fma_f64 v[96:97], v[96:97], 0, v[121:122]
	s_or_b32 s9, vcc_lo, s9
	v_fma_f64 v[119:120], v[119:120], v[98:99], v[108:109]
	global_load_dwordx4 v[108:111], v[149:150], off offset:64
	v_fma_f64 v[151:152], v[115:116], v[98:99], v[112:113]
	global_load_dwordx4 v[112:115], v[147:148], off
	v_fma_f64 v[116:117], 0x80000000, v[98:99], v[117:118]
	v_fma_f64 v[121:122], 0x80000000, v[98:99], v[143:144]
	;; [unrolled: 1-line block ×6, first 2 shown]
	global_load_dwordx4 v[96:99], v[147:148], off offset:16
	s_waitcnt vmcnt(11)
	v_fma_f64 v[118:119], v[100:101], 0, v[119:120]
	v_fma_f64 v[143:144], v[100:101], 0, v[151:152]
	;; [unrolled: 1-line block ×16, first 2 shown]
	s_clause 0x1
	global_load_dwordx4 v[100:103], v[149:150], off offset:80
	global_load_dwordx4 v[116:119], v[149:150], off offset:16
	;; [unrolled: 1-line block ×3, first 2 shown]
	s_waitcnt vmcnt(12)
	v_fma_f64 v[126:127], v[43:44], v[45:46], v[145:146]
	v_fma_f64 v[41:42], v[45:46], 0, v[41:42]
	;; [unrolled: 1-line block ×16, first 2 shown]
	global_load_dwordx4 v[29:32], v[147:148], off offset:48
	s_waitcnt vmcnt(12)
	v_fma_f64 v[35:36], v[65:66], v[25:26], v[45:46]
	v_fma_f64 v[41:42], v[25:26], 0, v[41:42]
	v_fma_f64 v[43:44], v[53:54], v[25:26], v[43:44]
	v_fma_f64 v[45:46], v[25:26], 0, v[126:127]
	v_fma_f64 v[47:48], v[137:138], v[25:26], v[141:142]
	v_fma_f64 v[37:38], v[25:26], 0, v[37:38]
	v_fma_f64 v[39:40], v[129:130], v[25:26], v[39:40]
	v_fma_f64 v[25:26], v[25:26], 0, v[33:34]
	v_fma_f64 v[33:34], 0x80000000, v[27:28], v[35:36]
	v_fma_f64 v[35:36], v[65:66], v[27:28], v[41:42]
	v_fma_f64 v[41:42], 0x80000000, v[27:28], v[43:44]
	v_fma_f64 v[43:44], v[53:54], v[27:28], v[45:46]
	v_fma_f64 v[45:46], 0x80000000, v[27:28], v[47:48]
	v_fma_f64 v[37:38], v[137:138], v[27:28], v[37:38]
	v_fma_f64 v[39:40], 0x80000000, v[27:28], v[39:40]
	v_fma_f64 v[25:26], v[129:130], v[27:28], v[25:26]
	s_waitcnt vmcnt(11)
	v_fma_f64 v[27:28], v[67:68], v[13:14], v[33:34]
	v_fma_f64 v[33:34], v[13:14], 0, v[35:36]
	v_fma_f64 v[35:36], v[55:56], v[13:14], v[41:42]
	v_fma_f64 v[41:42], v[13:14], 0, v[43:44]
	v_fma_f64 v[43:44], v[139:140], v[13:14], v[45:46]
	v_fma_f64 v[37:38], v[13:14], 0, v[37:38]
	v_fma_f64 v[39:40], v[131:132], v[13:14], v[39:40]
	v_fma_f64 v[13:14], v[13:14], 0, v[25:26]
	v_fma_f64 v[25:26], 0x80000000, v[15:16], v[27:28]
	v_fma_f64 v[27:28], v[67:68], v[15:16], v[33:34]
	v_fma_f64 v[33:34], 0x80000000, v[15:16], v[35:36]
	v_fma_f64 v[35:36], v[55:56], v[15:16], v[41:42]
	v_fma_f64 v[41:42], 0x80000000, v[15:16], v[43:44]
	v_fma_f64 v[37:38], v[139:140], v[15:16], v[37:38]
	v_fma_f64 v[39:40], 0x80000000, v[15:16], v[39:40]
	v_fma_f64 v[13:14], v[131:132], v[15:16], v[13:14]
	;; [unrolled: 17-line block ×8, first 2 shown]
	s_andn2_b32 exec_lo, exec_lo, s9
	s_cbranch_execnz .LBB144_19
; %bb.20:
	s_or_b32 exec_lo, exec_lo, s9
.LBB144_21:
	s_or_b32 exec_lo, exec_lo, s8
.LBB144_22:
	s_or_b32 exec_lo, exec_lo, s3
	s_cbranch_execz .LBB144_24
	s_branch .LBB144_35
.LBB144_23:
                                        ; implicit-def: $vgpr57_vgpr58
                                        ; implicit-def: $vgpr76_vgpr77
                                        ; implicit-def: $vgpr78_vgpr79
                                        ; implicit-def: $vgpr86_vgpr87
                                        ; implicit-def: $vgpr84_vgpr85
                                        ; implicit-def: $vgpr82_vgpr83
                                        ; implicit-def: $vgpr80_vgpr81
                                        ; implicit-def: $vgpr59_vgpr60
.LBB144_24:
	v_mov_b32_e32 v57, 0
	v_mov_b32_e32 v76, 0
	v_mov_b32_e32 v78, 0
	v_mov_b32_e32 v86, 0
	v_mov_b32_e32 v84, 0
	v_mov_b32_e32 v82, 0
	v_mov_b32_e32 v80, 0
	v_mov_b32_e32 v59, 0
	v_mov_b32_e32 v58, 0
	v_mov_b32_e32 v77, 0
	v_mov_b32_e32 v79, 0
	v_mov_b32_e32 v87, 0
	v_mov_b32_e32 v85, 0
	v_mov_b32_e32 v83, 0
	v_mov_b32_e32 v81, 0
	v_mov_b32_e32 v60, 0
	s_and_saveexec_b32 s1, s0
	s_cbranch_execz .LBB144_34
; %bb.25:
	v_or_b32_e32 v9, 64, v0
	v_not_b32_e32 v13, v88
	v_not_b32_e32 v11, v89
	v_mov_b32_e32 v59, 0
	v_mov_b32_e32 v80, 0
	v_sub_co_u32 v9, s0, v9, s2
	v_sub_co_ci_u32_e64 v10, null, 0, 0, s0
	v_sub_co_u32 v14, s0, s2, v0
	v_add_co_u32 v9, vcc_lo, v9, v88
	v_add_co_ci_u32_e64 v10, null, v10, v89, vcc_lo
	v_sub_co_ci_u32_e64 v15, null, 0, 0, s0
	v_add_co_u32 v13, s0, v14, v13
	v_cmp_gt_i64_e32 vcc_lo, v[9:10], v[72:73]
	v_add_co_ci_u32_e64 v11, null, v15, v11, s0
	v_mov_b32_e32 v82, 0
	v_mov_b32_e32 v84, 0
	;; [unrolled: 1-line block ×3, first 2 shown]
	v_cndmask_b32_e32 v9, v72, v9, vcc_lo
	v_cndmask_b32_e32 v10, v73, v10, vcc_lo
	v_mov_b32_e32 v78, 0
	v_mov_b32_e32 v76, 0
	;; [unrolled: 1-line block ×3, first 2 shown]
	v_add_co_u32 v9, vcc_lo, v13, v9
	v_mov_b32_e32 v12, 0
	v_mov_b32_e32 v60, 0
	;; [unrolled: 1-line block ×4, first 2 shown]
	v_add_co_ci_u32_e64 v10, null, v11, v10, vcc_lo
	v_and_b32_e32 v11, 0xc0, v9
	v_mov_b32_e32 v85, 0
	v_mov_b32_e32 v87, 0
	;; [unrolled: 1-line block ×5, first 2 shown]
	s_mov_b32 s3, exec_lo
	v_cmpx_ne_u64_e32 0xc0, v[11:12]
	s_cbranch_execz .LBB144_29
; %bb.26:
	v_lshrrev_b32_e32 v13, 6, v9
	v_lshlrev_b64 v[11:12], 2, v[70:71]
	v_mov_b32_e32 v57, 0
	v_mov_b32_e32 v76, 0
	;; [unrolled: 1-line block ×3, first 2 shown]
	v_add_nc_u32_e32 v13, 1, v13
	v_mov_b32_e32 v86, 0
	v_add_co_u32 v11, vcc_lo, s12, v11
	v_mov_b32_e32 v84, 0
	v_and_b32_e32 v13, 3, v13
	v_mov_b32_e32 v82, 0
	v_mov_b32_e32 v80, 0
	;; [unrolled: 1-line block ×4, first 2 shown]
	v_sub_co_u32 v13, s0, 0, v13
	v_mov_b32_e32 v77, 0
	v_mov_b32_e32 v79, 0
	v_add_co_ci_u32_e64 v12, null, s13, v12, vcc_lo
	v_mov_b32_e32 v87, 0
	v_mov_b32_e32 v85, 0
	;; [unrolled: 1-line block ×5, first 2 shown]
	v_sub_co_ci_u32_e64 v14, null, 0, 0, s0
	s_mov_b32 s8, 0
.LBB144_27:                             ; =>This Inner Loop Header: Depth=1
	global_load_dword v23, v[11:12], off
	s_clause 0x1
	global_load_dwordx4 v[15:18], v[74:75], off offset:16
	global_load_dwordx4 v[19:22], v[74:75], off
	v_add_co_u32 v11, s0, 0x100, v11
	v_add_co_ci_u32_e64 v12, null, 0, v12, s0
	s_waitcnt vmcnt(2)
	v_subrev_nc_u32_e32 v23, s2, v23
	v_lshlrev_b32_e32 v23, 2, v23
	v_ashrrev_i32_e32 v24, 31, v23
	v_lshlrev_b64 v[23:24], 4, v[23:24]
	v_add_co_u32 v51, vcc_lo, s6, v23
	v_add_co_ci_u32_e64 v52, null, s7, v24, vcc_lo
	s_clause 0x1
	global_load_dwordx4 v[23:26], v[51:52], off
	global_load_dwordx4 v[27:30], v[51:52], off offset:16
	s_clause 0x3
	global_load_dwordx4 v[31:34], v[74:75], off offset:32
	global_load_dwordx4 v[35:38], v[74:75], off offset:48
	;; [unrolled: 1-line block ×4, first 2 shown]
	s_clause 0x1
	global_load_dwordx4 v[47:50], v[51:52], off offset:32
	global_load_dwordx4 v[51:54], v[51:52], off offset:48
	s_clause 0x1
	global_load_dwordx4 v[61:64], v[74:75], off offset:96
	global_load_dwordx4 v[65:68], v[74:75], off offset:112
	v_add_co_u32 v74, vcc_lo, 0x2000, v74
	v_add_co_ci_u32_e64 v75, null, 0, v75, vcc_lo
	v_add_co_u32 v13, vcc_lo, v13, 1
	v_add_co_ci_u32_e64 v14, null, 0, v14, vcc_lo
	;; [unrolled: 2-line block ×3, first 2 shown]
	v_cmp_eq_u64_e32 vcc_lo, 0, v[13:14]
	s_or_b32 s8, vcc_lo, s8
	s_waitcnt vmcnt(9)
	v_fma_f64 v[55:56], v[19:20], v[23:24], v[76:77]
	v_fma_f64 v[57:58], v[23:24], 0, v[57:58]
	;; [unrolled: 1-line block ×16, first 2 shown]
	s_waitcnt vmcnt(7)
	v_fma_f64 v[23:24], v[31:32], v[27:28], v[55:56]
	v_fma_f64 v[19:20], v[27:28], 0, v[19:20]
	v_fma_f64 v[25:26], v[33:34], v[27:28], v[57:58]
	v_fma_f64 v[21:22], v[27:28], 0, v[21:22]
	s_waitcnt vmcnt(6)
	v_fma_f64 v[55:56], v[35:36], v[27:28], v[76:77]
	v_fma_f64 v[15:16], v[27:28], 0, v[15:16]
	;; [unrolled: 1-line block ×12, first 2 shown]
	s_waitcnt vmcnt(3)
	v_fma_f64 v[23:24], v[43:44], v[47:48], v[23:24]
	v_fma_f64 v[19:20], v[47:48], 0, v[19:20]
	;; [unrolled: 1-line block ×16, first 2 shown]
	s_waitcnt vmcnt(1)
	v_fma_f64 v[23:24], v[61:62], v[51:52], v[23:24]
	v_fma_f64 v[19:20], v[51:52], 0, v[19:20]
	;; [unrolled: 1-line block ×4, first 2 shown]
	s_waitcnt vmcnt(0)
	v_fma_f64 v[27:28], v[65:66], v[51:52], v[27:28]
	v_fma_f64 v[15:16], v[51:52], 0, v[15:16]
	;; [unrolled: 1-line block ×12, first 2 shown]
	s_andn2_b32 exec_lo, exec_lo, s8
	s_cbranch_execnz .LBB144_27
; %bb.28:
	s_or_b32 exec_lo, exec_lo, s8
.LBB144_29:
	s_or_b32 exec_lo, exec_lo, s3
	s_mov_b32 s3, exec_lo
	v_cmpx_lt_u64_e32 0xbf, v[9:10]
	s_cbranch_execz .LBB144_33
; %bb.30:
	v_lshlrev_b64 v[9:10], 2, v[70:71]
	s_mov_b32 s8, 0
	v_add_co_u32 v9, vcc_lo, s12, v9
	v_add_co_ci_u32_e64 v10, null, s13, v10, vcc_lo
	v_add_co_u32 v9, vcc_lo, 0x200, v9
	v_add_co_ci_u32_e64 v10, null, 0, v10, vcc_lo
.LBB144_31:                             ; =>This Inner Loop Header: Depth=1
	s_clause 0x1
	global_load_dword v51, v[9:10], off offset:-512
	global_load_dword v52, v[9:10], off offset:-256
	s_clause 0x5
	global_load_dwordx4 v[11:14], v[74:75], off offset:48
	global_load_dwordx4 v[15:18], v[74:75], off offset:32
	global_load_dwordx4 v[19:22], v[74:75], off offset:16
	global_load_dwordx4 v[23:26], v[74:75], off
	global_load_dwordx4 v[27:30], v[74:75], off offset:112
	global_load_dwordx4 v[31:34], v[74:75], off offset:96
	v_add_co_u32 v55, vcc_lo, 0x2000, v74
	v_add_co_ci_u32_e64 v56, null, 0, v75, vcc_lo
	s_clause 0x1
	global_load_dwordx4 v[35:38], v[74:75], off offset:80
	global_load_dwordx4 v[39:42], v[74:75], off offset:64
	s_clause 0x1
	global_load_dword v134, v[9:10], off
	global_load_dword v138, v[9:10], off offset:256
	s_clause 0x1
	global_load_dwordx4 v[43:46], v[55:56], off
	global_load_dwordx4 v[47:50], v[55:56], off offset:16
	s_waitcnt vmcnt(13)
	v_subrev_nc_u32_e32 v51, s2, v51
	s_waitcnt vmcnt(12)
	v_subrev_nc_u32_e32 v52, s2, v52
	v_lshlrev_b32_e32 v51, 2, v51
	v_lshlrev_b32_e32 v92, 2, v52
	s_waitcnt vmcnt(3)
	v_subrev_nc_u32_e32 v136, s2, v134
	v_ashrrev_i32_e32 v52, 31, v51
	v_ashrrev_i32_e32 v93, 31, v92
	v_lshlrev_b64 v[51:52], 4, v[51:52]
	v_lshlrev_b64 v[92:93], 4, v[92:93]
	v_add_co_u32 v88, vcc_lo, s6, v51
	v_add_co_ci_u32_e64 v89, null, s7, v52, vcc_lo
	v_add_co_u32 v128, vcc_lo, s6, v92
	v_add_co_ci_u32_e64 v129, null, s7, v93, vcc_lo
	s_clause 0x3
	global_load_dwordx4 v[51:54], v[88:89], off
	global_load_dwordx4 v[61:64], v[88:89], off offset:16
	global_load_dwordx4 v[65:68], v[88:89], off offset:32
	global_load_dwordx4 v[88:91], v[88:89], off offset:48
	v_add_co_u32 v130, vcc_lo, 0x4000, v74
	global_load_dwordx4 v[92:95], v[128:129], off
	v_add_co_ci_u32_e64 v131, null, 0, v75, vcc_lo
	s_clause 0x6
	global_load_dwordx4 v[96:99], v[55:56], off offset:48
	global_load_dwordx4 v[100:103], v[55:56], off offset:32
	;; [unrolled: 1-line block ×6, first 2 shown]
	global_load_dwordx4 v[120:123], v[130:131], off
	global_load_dwordx4 v[124:127], v[128:129], off offset:16
	v_add_co_u32 v132, vcc_lo, 0x6000, v74
	v_add_co_ci_u32_e64 v133, null, 0, v75, vcc_lo
	v_add_co_u32 v74, s0, 0x8000, v74
	v_add_co_ci_u32_e64 v75, null, 0, v75, s0
	s_waitcnt vmcnt(12)
	v_fma_f64 v[55:56], v[51:52], 0, v[57:58]
	v_fma_f64 v[57:58], v[51:52], 0, v[78:79]
	;; [unrolled: 1-line block ×16, first 2 shown]
	global_load_dwordx4 v[51:54], v[128:129], off offset:32
	s_clause 0x1
	global_load_dwordx4 v[19:22], v[130:131], off offset:32
	global_load_dwordx4 v[23:26], v[130:131], off offset:48
	s_waitcnt vmcnt(14)
	v_fma_f64 v[55:56], v[61:62], 0, v[55:56]
	v_fma_f64 v[57:58], v[61:62], 0, v[57:58]
	v_fma_f64 v[76:77], v[15:16], v[61:62], v[76:77]
	v_fma_f64 v[78:79], v[17:18], v[61:62], v[78:79]
	v_fma_f64 v[86:87], v[15:16], v[63:64], v[55:56]
	v_lshlrev_b32_e32 v15, 2, v136
	v_fma_f64 v[134:135], v[17:18], v[63:64], v[57:58]
	v_fma_f64 v[55:56], v[61:62], 0, v[59:60]
	;; [unrolled: 1-line block ×4, first 2 shown]
	v_ashrrev_i32_e32 v16, 31, v15
	v_fma_f64 v[61:62], v[13:14], v[61:62], v[84:85]
	v_fma_f64 v[76:77], 0x80000000, v[63:64], v[76:77]
	;; [unrolled: 1-line block ×3, first 2 shown]
	v_lshlrev_b64 v[15:16], 4, v[15:16]
	v_add_co_u32 v136, vcc_lo, s6, v15
	v_add_co_ci_u32_e64 v137, null, s7, v16, vcc_lo
	global_load_dwordx4 v[15:18], v[128:129], off offset:48
	s_waitcnt vmcnt(14)
	v_fma_f64 v[84:85], v[65:66], 0, v[134:135]
	v_fma_f64 v[80:81], v[11:12], v[63:64], v[55:56]
	;; [unrolled: 1-line block ×3, first 2 shown]
	global_load_dwordx4 v[11:14], v[130:131], off offset:16
	v_fma_f64 v[59:60], 0x80000000, v[63:64], v[59:60]
	v_fma_f64 v[61:62], 0x80000000, v[63:64], v[61:62]
	global_load_dwordx4 v[55:58], v[136:137], off
	v_fma_f64 v[63:64], v[65:66], 0, v[86:87]
	v_fma_f64 v[76:77], v[39:40], v[65:66], v[76:77]
	;; [unrolled: 1-line block ×11, first 2 shown]
	global_load_dwordx4 v[39:42], v[130:131], off offset:112
	s_waitcnt vmcnt(16)
	v_fma_f64 v[84:85], v[88:89], 0, v[84:85]
	v_fma_f64 v[65:66], v[35:36], v[67:68], v[80:81]
	;; [unrolled: 1-line block ×3, first 2 shown]
	global_load_dwordx4 v[35:38], v[130:131], off offset:80
	v_fma_f64 v[82:83], 0x80000000, v[67:68], v[59:60]
	v_fma_f64 v[67:68], 0x80000000, v[67:68], v[61:62]
	global_load_dwordx4 v[59:62], v[136:137], off offset:16
	v_fma_f64 v[63:64], v[88:89], 0, v[63:64]
	v_fma_f64 v[76:77], v[31:32], v[88:89], v[76:77]
	;; [unrolled: 1-line block ×8, first 2 shown]
	global_load_dwordx4 v[31:34], v[130:131], off offset:64
	v_fma_f64 v[80:81], v[27:28], v[88:89], v[82:83]
	v_fma_f64 v[128:129], 0x80000000, v[90:91], v[76:77]
	;; [unrolled: 1-line block ×3, first 2 shown]
	v_subrev_nc_u32_e32 v76, s2, v138
	v_lshlrev_b32_e32 v76, 2, v76
	s_waitcnt vmcnt(18)
	v_fma_f64 v[84:85], v[92:93], 0, v[84:85]
	v_ashrrev_i32_e32 v77, 31, v76
	v_fma_f64 v[67:68], 0x80000000, v[90:91], v[67:68]
	v_fma_f64 v[86:87], v[92:93], 0, v[86:87]
	;; [unrolled: 1-line block ×4, first 2 shown]
	global_load_dwordx4 v[27:30], v[136:137], off offset:32
	v_fma_f64 v[80:81], 0x80000000, v[90:91], v[80:81]
	v_lshlrev_b64 v[76:77], 4, v[76:77]
	global_load_dwordx4 v[63:66], v[130:131], off offset:96
	v_fma_f64 v[90:91], v[43:44], v[92:93], v[128:129]
	v_fma_f64 v[128:129], v[45:46], v[92:93], v[134:135]
	;; [unrolled: 1-line block ×5, first 2 shown]
	global_load_dwordx4 v[43:46], v[132:133], off
	v_add_co_u32 v130, vcc_lo, s6, v76
	v_add_co_ci_u32_e64 v131, null, s7, v77, vcc_lo
	global_load_dwordx4 v[76:79], v[136:137], off offset:48
	v_fma_f64 v[82:83], v[92:93], 0, v[82:83]
	v_fma_f64 v[88:89], v[92:93], 0, v[88:89]
	;; [unrolled: 1-line block ×5, first 2 shown]
	v_add_co_u32 v70, vcc_lo, 0x100, v70
	v_add_co_ci_u32_e64 v71, null, 0, v71, vcc_lo
	s_waitcnt vmcnt(14)
	v_fma_f64 v[84:85], v[124:125], 0, v[84:85]
	v_add_co_u32 v9, vcc_lo, 0x400, v9
	v_add_co_ci_u32_e64 v10, null, 0, v10, vcc_lo
	v_fma_f64 v[67:68], 0x80000000, v[94:95], v[67:68]
	v_fma_f64 v[86:87], v[124:125], 0, v[86:87]
	v_cmp_ge_i64_e32 vcc_lo, v[70:71], v[72:73]
	v_fma_f64 v[92:93], v[47:48], v[94:95], v[82:83]
	v_fma_f64 v[88:89], v[49:50], v[94:95], v[88:89]
	;; [unrolled: 1-line block ×3, first 2 shown]
	global_load_dwordx4 v[47:50], v[132:133], off offset:16
	global_load_dwordx4 v[80:83], v[130:131], off
	v_fma_f64 v[90:91], v[100:101], v[124:125], v[90:91]
	v_fma_f64 v[94:95], v[102:103], v[124:125], v[128:129]
	s_or_b32 s8, vcc_lo, s8
	v_fma_f64 v[102:103], v[102:103], v[126:127], v[84:85]
	v_fma_f64 v[67:68], v[98:99], v[124:125], v[67:68]
	;; [unrolled: 1-line block ×3, first 2 shown]
	global_load_dwordx4 v[84:87], v[130:131], off offset:16
	v_fma_f64 v[92:93], v[124:125], 0, v[92:93]
	v_fma_f64 v[88:89], v[124:125], 0, v[88:89]
	;; [unrolled: 1-line block ×9, first 2 shown]
	s_clause 0x1
	global_load_dwordx4 v[88:91], v[132:133], off offset:32
	global_load_dwordx4 v[92:95], v[132:133], off offset:48
	s_waitcnt vmcnt(18)
	v_fma_f64 v[124:125], v[116:117], v[51:52], v[124:125]
	v_fma_f64 v[100:101], v[51:52], 0, v[100:101]
	;; [unrolled: 1-line block ×16, first 2 shown]
	s_clause 0x1
	global_load_dwordx4 v[51:54], v[132:133], off offset:80
	global_load_dwordx4 v[96:99], v[132:133], off offset:64
	;; [unrolled: 1-line block ×3, first 2 shown]
	s_waitcnt vmcnt(18)
	v_fma_f64 v[124:125], v[108:109], v[15:16], v[124:125]
	v_fma_f64 v[116:117], v[15:16], 0, v[116:117]
	;; [unrolled: 1-line block ×16, first 2 shown]
	s_clause 0x1
	global_load_dwordx4 v[15:18], v[132:133], off offset:96
	global_load_dwordx4 v[104:107], v[132:133], off offset:112
	global_load_dwordx4 v[108:111], v[130:131], off offset:48
	s_waitcnt vmcnt(19)
	v_fma_f64 v[114:115], v[120:121], v[55:56], v[114:115]
	v_fma_f64 v[116:117], v[55:56], 0, v[116:117]
	v_fma_f64 v[124:125], v[122:123], v[55:56], v[124:125]
	v_fma_f64 v[118:119], v[55:56], 0, v[118:119]
	v_fma_f64 v[126:127], v[11:12], v[55:56], v[126:127]
	v_fma_f64 v[112:113], v[55:56], 0, v[112:113]
	v_fma_f64 v[67:68], v[13:14], v[55:56], v[67:68]
	v_fma_f64 v[55:56], v[55:56], 0, v[128:129]
	v_fma_f64 v[114:115], 0x80000000, v[57:58], v[114:115]
	v_fma_f64 v[116:117], v[120:121], v[57:58], v[116:117]
	v_fma_f64 v[120:121], 0x80000000, v[57:58], v[124:125]
	v_fma_f64 v[118:119], v[122:123], v[57:58], v[118:119]
	v_fma_f64 v[122:123], 0x80000000, v[57:58], v[126:127]
	v_fma_f64 v[11:12], v[11:12], v[57:58], v[112:113]
	v_fma_f64 v[67:68], 0x80000000, v[57:58], v[67:68]
	v_fma_f64 v[13:14], v[13:14], v[57:58], v[55:56]
	s_waitcnt vmcnt(16)
	v_fma_f64 v[55:56], v[19:20], v[59:60], v[114:115]
	v_fma_f64 v[57:58], v[59:60], 0, v[116:117]
	v_fma_f64 v[112:113], v[21:22], v[59:60], v[120:121]
	v_fma_f64 v[114:115], v[59:60], 0, v[118:119]
	v_fma_f64 v[116:117], v[23:24], v[59:60], v[122:123]
	v_fma_f64 v[11:12], v[59:60], 0, v[11:12]
	v_fma_f64 v[67:68], v[25:26], v[59:60], v[67:68]
	v_fma_f64 v[13:14], v[59:60], 0, v[13:14]
	v_fma_f64 v[55:56], 0x80000000, v[61:62], v[55:56]
	v_fma_f64 v[19:20], v[19:20], v[61:62], v[57:58]
	v_fma_f64 v[57:58], 0x80000000, v[61:62], v[112:113]
	v_fma_f64 v[21:22], v[21:22], v[61:62], v[114:115]
	v_fma_f64 v[59:60], 0x80000000, v[61:62], v[116:117]
	v_fma_f64 v[11:12], v[23:24], v[61:62], v[11:12]
	v_fma_f64 v[23:24], 0x80000000, v[61:62], v[67:68]
	v_fma_f64 v[13:14], v[25:26], v[61:62], v[13:14]
	;; [unrolled: 17-line block ×5, first 2 shown]
	s_waitcnt vmcnt(7)
	v_fma_f64 v[25:26], v[88:89], v[84:85], v[25:26]
	v_fma_f64 v[19:20], v[84:85], 0, v[19:20]
	;; [unrolled: 1-line block ×4, first 2 shown]
	s_waitcnt vmcnt(6)
	v_fma_f64 v[29:30], v[92:93], v[84:85], v[29:30]
	v_fma_f64 v[11:12], v[84:85], 0, v[11:12]
	;; [unrolled: 1-line block ×12, first 2 shown]
	s_waitcnt vmcnt(3)
	v_fma_f64 v[25:26], v[96:97], v[100:101], v[25:26]
	v_fma_f64 v[19:20], v[100:101], 0, v[19:20]
	;; [unrolled: 1-line block ×16, first 2 shown]
	s_waitcnt vmcnt(0)
	v_fma_f64 v[25:26], v[15:16], v[108:109], v[25:26]
	v_fma_f64 v[19:20], v[108:109], 0, v[19:20]
	;; [unrolled: 1-line block ×16, first 2 shown]
	s_andn2_b32 exec_lo, exec_lo, s8
	s_cbranch_execnz .LBB144_31
; %bb.32:
	s_or_b32 exec_lo, exec_lo, s8
.LBB144_33:
	s_or_b32 exec_lo, exec_lo, s3
.LBB144_34:
	s_or_b32 exec_lo, exec_lo, s1
.LBB144_35:
	v_mbcnt_lo_u32_b32 v41, -1, 0
	v_or_b32_e32 v9, 32, v41
	v_xor_b32_e32 v25, 16, v41
	v_cmp_gt_i32_e32 vcc_lo, 32, v9
	v_cndmask_b32_e32 v9, v41, v9, vcc_lo
	v_cmp_gt_i32_e32 vcc_lo, 32, v25
	v_lshlrev_b32_e32 v24, 2, v9
	v_cndmask_b32_e32 v25, v41, v25, vcc_lo
	ds_bpermute_b32 v9, v24, v76
	ds_bpermute_b32 v10, v24, v77
	ds_bpermute_b32 v11, v24, v57
	ds_bpermute_b32 v12, v24, v58
	ds_bpermute_b32 v13, v24, v86
	ds_bpermute_b32 v14, v24, v87
	ds_bpermute_b32 v15, v24, v78
	ds_bpermute_b32 v16, v24, v79
	ds_bpermute_b32 v17, v24, v82
	ds_bpermute_b32 v18, v24, v83
	ds_bpermute_b32 v19, v24, v84
	ds_bpermute_b32 v20, v24, v85
	ds_bpermute_b32 v21, v24, v59
	ds_bpermute_b32 v22, v24, v60
	ds_bpermute_b32 v23, v24, v80
	ds_bpermute_b32 v24, v24, v81
	v_lshlrev_b32_e32 v40, 2, v25
	s_waitcnt lgkmcnt(14)
	v_add_f64 v[9:10], v[76:77], v[9:10]
	s_waitcnt lgkmcnt(12)
	v_add_f64 v[11:12], v[57:58], v[11:12]
	;; [unrolled: 2-line block ×8, first 2 shown]
	ds_bpermute_b32 v25, v40, v9
	ds_bpermute_b32 v26, v40, v10
	ds_bpermute_b32 v27, v40, v11
	ds_bpermute_b32 v28, v40, v12
	ds_bpermute_b32 v29, v40, v13
	ds_bpermute_b32 v30, v40, v14
	ds_bpermute_b32 v31, v40, v15
	ds_bpermute_b32 v32, v40, v16
	ds_bpermute_b32 v33, v40, v17
	ds_bpermute_b32 v34, v40, v18
	ds_bpermute_b32 v35, v40, v19
	ds_bpermute_b32 v36, v40, v20
	ds_bpermute_b32 v37, v40, v21
	ds_bpermute_b32 v38, v40, v22
	ds_bpermute_b32 v39, v40, v23
	ds_bpermute_b32 v40, v40, v24
	s_waitcnt lgkmcnt(14)
	v_add_f64 v[9:10], v[9:10], v[25:26]
	v_xor_b32_e32 v25, 8, v41
	s_waitcnt lgkmcnt(12)
	v_add_f64 v[11:12], v[11:12], v[27:28]
	s_waitcnt lgkmcnt(10)
	v_add_f64 v[13:14], v[13:14], v[29:30]
	v_cmp_gt_i32_e32 vcc_lo, 32, v25
	s_waitcnt lgkmcnt(8)
	v_add_f64 v[15:16], v[15:16], v[31:32]
	s_waitcnt lgkmcnt(6)
	v_add_f64 v[17:18], v[17:18], v[33:34]
	s_waitcnt lgkmcnt(4)
	v_add_f64 v[19:20], v[19:20], v[35:36]
	v_cndmask_b32_e32 v25, v41, v25, vcc_lo
	s_waitcnt lgkmcnt(2)
	v_add_f64 v[21:22], v[21:22], v[37:38]
	s_waitcnt lgkmcnt(0)
	v_add_f64 v[23:24], v[23:24], v[39:40]
	v_lshlrev_b32_e32 v40, 2, v25
	ds_bpermute_b32 v25, v40, v9
	ds_bpermute_b32 v26, v40, v10
	ds_bpermute_b32 v27, v40, v11
	ds_bpermute_b32 v28, v40, v12
	ds_bpermute_b32 v29, v40, v13
	ds_bpermute_b32 v30, v40, v14
	ds_bpermute_b32 v31, v40, v15
	ds_bpermute_b32 v32, v40, v16
	ds_bpermute_b32 v33, v40, v17
	ds_bpermute_b32 v34, v40, v18
	ds_bpermute_b32 v35, v40, v19
	ds_bpermute_b32 v36, v40, v20
	ds_bpermute_b32 v37, v40, v21
	ds_bpermute_b32 v38, v40, v22
	ds_bpermute_b32 v39, v40, v23
	ds_bpermute_b32 v40, v40, v24
	s_waitcnt lgkmcnt(14)
	v_add_f64 v[9:10], v[9:10], v[25:26]
	v_xor_b32_e32 v25, 4, v41
	s_waitcnt lgkmcnt(12)
	v_add_f64 v[11:12], v[11:12], v[27:28]
	s_waitcnt lgkmcnt(10)
	v_add_f64 v[13:14], v[13:14], v[29:30]
	v_cmp_gt_i32_e32 vcc_lo, 32, v25
	s_waitcnt lgkmcnt(8)
	v_add_f64 v[15:16], v[15:16], v[31:32]
	s_waitcnt lgkmcnt(6)
	v_add_f64 v[17:18], v[17:18], v[33:34]
	s_waitcnt lgkmcnt(4)
	v_add_f64 v[19:20], v[19:20], v[35:36]
	v_cndmask_b32_e32 v25, v41, v25, vcc_lo
	s_waitcnt lgkmcnt(2)
	v_add_f64 v[21:22], v[21:22], v[37:38]
	s_waitcnt lgkmcnt(0)
	v_add_f64 v[23:24], v[23:24], v[39:40]
	v_lshlrev_b32_e32 v40, 2, v25
	;; [unrolled: 36-line block ×3, first 2 shown]
	ds_bpermute_b32 v23, v40, v9
	ds_bpermute_b32 v24, v40, v10
	;; [unrolled: 1-line block ×16, first 2 shown]
	s_waitcnt lgkmcnt(14)
	v_add_f64 v[9:10], v[9:10], v[23:24]
	s_waitcnt lgkmcnt(12)
	v_add_f64 v[27:28], v[11:12], v[27:28]
	s_waitcnt lgkmcnt(10)
	v_add_f64 v[11:12], v[13:14], v[29:30]
	v_xor_b32_e32 v29, 1, v41
	s_waitcnt lgkmcnt(8)
	v_add_f64 v[23:24], v[15:16], v[31:32]
	s_waitcnt lgkmcnt(6)
	v_add_f64 v[13:14], v[17:18], v[33:34]
	v_cmp_gt_i32_e32 vcc_lo, 32, v29
	s_waitcnt lgkmcnt(4)
	v_add_f64 v[17:18], v[19:20], v[35:36]
	s_waitcnt lgkmcnt(2)
	v_add_f64 v[15:16], v[21:22], v[37:38]
	;; [unrolled: 2-line block ×3, first 2 shown]
	v_cndmask_b32_e32 v29, v41, v29, vcc_lo
	v_cmp_eq_u32_e32 vcc_lo, 63, v0
	v_lshlrev_b32_e32 v34, 2, v29
	ds_bpermute_b32 v21, v34, v9
	ds_bpermute_b32 v22, v34, v10
	;; [unrolled: 1-line block ×16, first 2 shown]
	s_and_b32 exec_lo, exec_lo, vcc_lo
	s_cbranch_execz .LBB144_8
; %bb.36:
	s_waitcnt lgkmcnt(12)
	v_add_f64 v[27:28], v[27:28], v[39:40]
	s_waitcnt lgkmcnt(8)
	v_add_f64 v[23:24], v[23:24], v[37:38]
	;; [unrolled: 2-line block ×4, first 2 shown]
	v_add_f64 v[9:10], v[9:10], v[21:22]
	v_add_f64 v[11:12], v[11:12], v[25:26]
	;; [unrolled: 1-line block ×4, first 2 shown]
	v_cmp_eq_f64_e32 vcc_lo, 0, v[1:2]
	v_cmp_eq_f64_e64 s0, 0, v[3:4]
	s_load_dwordx2 s[2:3], s[4:5], 0x60
	v_mul_f64 v[13:14], v[27:28], -v[7:8]
	v_mul_f64 v[15:16], v[5:6], v[27:28]
	v_mul_f64 v[27:28], v[23:24], -v[7:8]
	v_mul_f64 v[23:24], v[5:6], v[23:24]
	;; [unrolled: 2-line block ×4, first 2 shown]
	s_and_b32 s0, vcc_lo, s0
	v_fma_f64 v[17:18], v[5:6], v[9:10], v[13:14]
	v_fma_f64 v[19:20], v[7:8], v[9:10], v[15:16]
	;; [unrolled: 1-line block ×8, first 2 shown]
	v_lshlrev_b32_e32 v21, 2, v69
	s_and_saveexec_b32 s1, s0
	s_xor_b32 s0, exec_lo, s1
	s_cbranch_execz .LBB144_38
; %bb.37:
	v_ashrrev_i32_e32 v22, 31, v21
	v_lshlrev_b64 v[0:1], 4, v[21:22]
                                        ; implicit-def: $vgpr21
	s_waitcnt lgkmcnt(0)
	v_add_co_u32 v0, vcc_lo, s2, v0
	v_add_co_ci_u32_e64 v1, null, s3, v1, vcc_lo
	global_store_dwordx4 v[0:1], v[17:20], off
	global_store_dwordx4 v[0:1], v[13:16], off offset:16
	global_store_dwordx4 v[0:1], v[9:12], off offset:32
	;; [unrolled: 1-line block ×3, first 2 shown]
                                        ; implicit-def: $vgpr3_vgpr4
                                        ; implicit-def: $vgpr17_vgpr18
                                        ; implicit-def: $vgpr13_vgpr14
                                        ; implicit-def: $vgpr9_vgpr10
                                        ; implicit-def: $vgpr5_vgpr6
.LBB144_38:
	s_andn2_saveexec_b32 s0, s0
	s_cbranch_execz .LBB144_8
; %bb.39:
	v_ashrrev_i32_e32 v22, 31, v21
	v_lshlrev_b64 v[21:22], 4, v[21:22]
	s_waitcnt lgkmcnt(0)
	v_add_co_u32 v37, vcc_lo, s2, v21
	v_add_co_ci_u32_e64 v38, null, s3, v22, vcc_lo
	s_clause 0x3
	global_load_dwordx4 v[21:24], v[37:38], off
	global_load_dwordx4 v[25:28], v[37:38], off offset:16
	global_load_dwordx4 v[29:32], v[37:38], off offset:32
	;; [unrolled: 1-line block ×3, first 2 shown]
	s_waitcnt vmcnt(3)
	v_fma_f64 v[17:18], v[1:2], v[21:22], v[17:18]
	v_fma_f64 v[19:20], v[3:4], v[21:22], v[19:20]
	s_waitcnt vmcnt(2)
	v_fma_f64 v[13:14], v[1:2], v[25:26], v[13:14]
	v_fma_f64 v[15:16], v[3:4], v[25:26], v[15:16]
	;; [unrolled: 3-line block ×4, first 2 shown]
	v_fma_f64 v[5:6], -v[3:4], v[23:24], v[17:18]
	v_fma_f64 v[7:8], v[1:2], v[23:24], v[19:20]
	v_fma_f64 v[9:10], -v[3:4], v[27:28], v[13:14]
	v_fma_f64 v[11:12], v[1:2], v[27:28], v[15:16]
	;; [unrolled: 2-line block ×4, first 2 shown]
	global_store_dwordx4 v[37:38], v[5:8], off
	global_store_dwordx4 v[37:38], v[9:12], off offset:16
	global_store_dwordx4 v[37:38], v[13:16], off offset:32
	;; [unrolled: 1-line block ×3, first 2 shown]
	s_endpgm
	.section	.rodata,"a",@progbits
	.p2align	6, 0x0
	.amdhsa_kernel _ZN9rocsparseL18bsrxmvn_4x4_kernelILj128ELj64E21rocsparse_complex_numIdElidS2_S2_EEvT3_20rocsparse_direction_NS_24const_host_device_scalarIT1_EES3_PKS3_PKT2_SC_S9_PKT4_PKT5_S7_PT6_21rocsparse_index_base_b
		.amdhsa_group_segment_fixed_size 0
		.amdhsa_private_segment_fixed_size 0
		.amdhsa_kernarg_size 112
		.amdhsa_user_sgpr_count 6
		.amdhsa_user_sgpr_private_segment_buffer 1
		.amdhsa_user_sgpr_dispatch_ptr 0
		.amdhsa_user_sgpr_queue_ptr 0
		.amdhsa_user_sgpr_kernarg_segment_ptr 1
		.amdhsa_user_sgpr_dispatch_id 0
		.amdhsa_user_sgpr_flat_scratch_init 0
		.amdhsa_user_sgpr_private_segment_size 0
		.amdhsa_wavefront_size32 1
		.amdhsa_uses_dynamic_stack 0
		.amdhsa_system_sgpr_private_segment_wavefront_offset 0
		.amdhsa_system_sgpr_workgroup_id_x 1
		.amdhsa_system_sgpr_workgroup_id_y 0
		.amdhsa_system_sgpr_workgroup_id_z 0
		.amdhsa_system_sgpr_workgroup_info 0
		.amdhsa_system_vgpr_workitem_id 0
		.amdhsa_next_free_vgpr 159
		.amdhsa_next_free_sgpr 16
		.amdhsa_reserve_vcc 1
		.amdhsa_reserve_flat_scratch 0
		.amdhsa_float_round_mode_32 0
		.amdhsa_float_round_mode_16_64 0
		.amdhsa_float_denorm_mode_32 3
		.amdhsa_float_denorm_mode_16_64 3
		.amdhsa_dx10_clamp 1
		.amdhsa_ieee_mode 1
		.amdhsa_fp16_overflow 0
		.amdhsa_workgroup_processor_mode 1
		.amdhsa_memory_ordered 1
		.amdhsa_forward_progress 1
		.amdhsa_shared_vgpr_count 0
		.amdhsa_exception_fp_ieee_invalid_op 0
		.amdhsa_exception_fp_denorm_src 0
		.amdhsa_exception_fp_ieee_div_zero 0
		.amdhsa_exception_fp_ieee_overflow 0
		.amdhsa_exception_fp_ieee_underflow 0
		.amdhsa_exception_fp_ieee_inexact 0
		.amdhsa_exception_int_div_zero 0
	.end_amdhsa_kernel
	.section	.text._ZN9rocsparseL18bsrxmvn_4x4_kernelILj128ELj64E21rocsparse_complex_numIdElidS2_S2_EEvT3_20rocsparse_direction_NS_24const_host_device_scalarIT1_EES3_PKS3_PKT2_SC_S9_PKT4_PKT5_S7_PT6_21rocsparse_index_base_b,"axG",@progbits,_ZN9rocsparseL18bsrxmvn_4x4_kernelILj128ELj64E21rocsparse_complex_numIdElidS2_S2_EEvT3_20rocsparse_direction_NS_24const_host_device_scalarIT1_EES3_PKS3_PKT2_SC_S9_PKT4_PKT5_S7_PT6_21rocsparse_index_base_b,comdat
.Lfunc_end144:
	.size	_ZN9rocsparseL18bsrxmvn_4x4_kernelILj128ELj64E21rocsparse_complex_numIdElidS2_S2_EEvT3_20rocsparse_direction_NS_24const_host_device_scalarIT1_EES3_PKS3_PKT2_SC_S9_PKT4_PKT5_S7_PT6_21rocsparse_index_base_b, .Lfunc_end144-_ZN9rocsparseL18bsrxmvn_4x4_kernelILj128ELj64E21rocsparse_complex_numIdElidS2_S2_EEvT3_20rocsparse_direction_NS_24const_host_device_scalarIT1_EES3_PKS3_PKT2_SC_S9_PKT4_PKT5_S7_PT6_21rocsparse_index_base_b
                                        ; -- End function
	.set _ZN9rocsparseL18bsrxmvn_4x4_kernelILj128ELj64E21rocsparse_complex_numIdElidS2_S2_EEvT3_20rocsparse_direction_NS_24const_host_device_scalarIT1_EES3_PKS3_PKT2_SC_S9_PKT4_PKT5_S7_PT6_21rocsparse_index_base_b.num_vgpr, 159
	.set _ZN9rocsparseL18bsrxmvn_4x4_kernelILj128ELj64E21rocsparse_complex_numIdElidS2_S2_EEvT3_20rocsparse_direction_NS_24const_host_device_scalarIT1_EES3_PKS3_PKT2_SC_S9_PKT4_PKT5_S7_PT6_21rocsparse_index_base_b.num_agpr, 0
	.set _ZN9rocsparseL18bsrxmvn_4x4_kernelILj128ELj64E21rocsparse_complex_numIdElidS2_S2_EEvT3_20rocsparse_direction_NS_24const_host_device_scalarIT1_EES3_PKS3_PKT2_SC_S9_PKT4_PKT5_S7_PT6_21rocsparse_index_base_b.numbered_sgpr, 16
	.set _ZN9rocsparseL18bsrxmvn_4x4_kernelILj128ELj64E21rocsparse_complex_numIdElidS2_S2_EEvT3_20rocsparse_direction_NS_24const_host_device_scalarIT1_EES3_PKS3_PKT2_SC_S9_PKT4_PKT5_S7_PT6_21rocsparse_index_base_b.num_named_barrier, 0
	.set _ZN9rocsparseL18bsrxmvn_4x4_kernelILj128ELj64E21rocsparse_complex_numIdElidS2_S2_EEvT3_20rocsparse_direction_NS_24const_host_device_scalarIT1_EES3_PKS3_PKT2_SC_S9_PKT4_PKT5_S7_PT6_21rocsparse_index_base_b.private_seg_size, 0
	.set _ZN9rocsparseL18bsrxmvn_4x4_kernelILj128ELj64E21rocsparse_complex_numIdElidS2_S2_EEvT3_20rocsparse_direction_NS_24const_host_device_scalarIT1_EES3_PKS3_PKT2_SC_S9_PKT4_PKT5_S7_PT6_21rocsparse_index_base_b.uses_vcc, 1
	.set _ZN9rocsparseL18bsrxmvn_4x4_kernelILj128ELj64E21rocsparse_complex_numIdElidS2_S2_EEvT3_20rocsparse_direction_NS_24const_host_device_scalarIT1_EES3_PKS3_PKT2_SC_S9_PKT4_PKT5_S7_PT6_21rocsparse_index_base_b.uses_flat_scratch, 0
	.set _ZN9rocsparseL18bsrxmvn_4x4_kernelILj128ELj64E21rocsparse_complex_numIdElidS2_S2_EEvT3_20rocsparse_direction_NS_24const_host_device_scalarIT1_EES3_PKS3_PKT2_SC_S9_PKT4_PKT5_S7_PT6_21rocsparse_index_base_b.has_dyn_sized_stack, 0
	.set _ZN9rocsparseL18bsrxmvn_4x4_kernelILj128ELj64E21rocsparse_complex_numIdElidS2_S2_EEvT3_20rocsparse_direction_NS_24const_host_device_scalarIT1_EES3_PKS3_PKT2_SC_S9_PKT4_PKT5_S7_PT6_21rocsparse_index_base_b.has_recursion, 0
	.set _ZN9rocsparseL18bsrxmvn_4x4_kernelILj128ELj64E21rocsparse_complex_numIdElidS2_S2_EEvT3_20rocsparse_direction_NS_24const_host_device_scalarIT1_EES3_PKS3_PKT2_SC_S9_PKT4_PKT5_S7_PT6_21rocsparse_index_base_b.has_indirect_call, 0
	.section	.AMDGPU.csdata,"",@progbits
; Kernel info:
; codeLenInByte = 11396
; TotalNumSgprs: 18
; NumVgprs: 159
; ScratchSize: 0
; MemoryBound: 0
; FloatMode: 240
; IeeeMode: 1
; LDSByteSize: 0 bytes/workgroup (compile time only)
; SGPRBlocks: 0
; VGPRBlocks: 19
; NumSGPRsForWavesPerEU: 18
; NumVGPRsForWavesPerEU: 159
; Occupancy: 6
; WaveLimiterHint : 1
; COMPUTE_PGM_RSRC2:SCRATCH_EN: 0
; COMPUTE_PGM_RSRC2:USER_SGPR: 6
; COMPUTE_PGM_RSRC2:TRAP_HANDLER: 0
; COMPUTE_PGM_RSRC2:TGID_X_EN: 1
; COMPUTE_PGM_RSRC2:TGID_Y_EN: 0
; COMPUTE_PGM_RSRC2:TGID_Z_EN: 0
; COMPUTE_PGM_RSRC2:TIDIG_COMP_CNT: 0
	.section	.text._ZN9rocsparseL18bsrxmvn_4x4_kernelILj128ELj4E21rocsparse_complex_numIdElldS2_S2_EEvT3_20rocsparse_direction_NS_24const_host_device_scalarIT1_EES3_PKS3_PKT2_SC_S9_PKT4_PKT5_S7_PT6_21rocsparse_index_base_b,"axG",@progbits,_ZN9rocsparseL18bsrxmvn_4x4_kernelILj128ELj4E21rocsparse_complex_numIdElldS2_S2_EEvT3_20rocsparse_direction_NS_24const_host_device_scalarIT1_EES3_PKS3_PKT2_SC_S9_PKT4_PKT5_S7_PT6_21rocsparse_index_base_b,comdat
	.globl	_ZN9rocsparseL18bsrxmvn_4x4_kernelILj128ELj4E21rocsparse_complex_numIdElldS2_S2_EEvT3_20rocsparse_direction_NS_24const_host_device_scalarIT1_EES3_PKS3_PKT2_SC_S9_PKT4_PKT5_S7_PT6_21rocsparse_index_base_b ; -- Begin function _ZN9rocsparseL18bsrxmvn_4x4_kernelILj128ELj4E21rocsparse_complex_numIdElldS2_S2_EEvT3_20rocsparse_direction_NS_24const_host_device_scalarIT1_EES3_PKS3_PKT2_SC_S9_PKT4_PKT5_S7_PT6_21rocsparse_index_base_b
	.p2align	8
	.type	_ZN9rocsparseL18bsrxmvn_4x4_kernelILj128ELj4E21rocsparse_complex_numIdElldS2_S2_EEvT3_20rocsparse_direction_NS_24const_host_device_scalarIT1_EES3_PKS3_PKT2_SC_S9_PKT4_PKT5_S7_PT6_21rocsparse_index_base_b,@function
_ZN9rocsparseL18bsrxmvn_4x4_kernelILj128ELj4E21rocsparse_complex_numIdElldS2_S2_EEvT3_20rocsparse_direction_NS_24const_host_device_scalarIT1_EES3_PKS3_PKT2_SC_S9_PKT4_PKT5_S7_PT6_21rocsparse_index_base_b: ; @_ZN9rocsparseL18bsrxmvn_4x4_kernelILj128ELj4E21rocsparse_complex_numIdElldS2_S2_EEvT3_20rocsparse_direction_NS_24const_host_device_scalarIT1_EES3_PKS3_PKT2_SC_S9_PKT4_PKT5_S7_PT6_21rocsparse_index_base_b
; %bb.0:
	s_clause 0x1
	s_load_dwordx2 s[2:3], s[4:5], 0x70
	s_load_dwordx2 s[0:1], s[4:5], 0x10
	s_add_u32 s7, s4, 16
	s_addc_u32 s10, s5, 0
	s_add_u32 s11, s4, 0x58
	s_addc_u32 s12, s5, 0
	s_load_dwordx2 s[8:9], s[4:5], 0x58
	s_waitcnt lgkmcnt(0)
	s_bitcmp1_b32 s3, 0
	s_cselect_b32 s0, s7, s0
	s_cselect_b32 s1, s10, s1
	v_mov_b32_e32 v1, s0
	v_mov_b32_e32 v2, s1
	s_cselect_b32 s0, s11, s8
	s_cselect_b32 s1, s12, s9
	flat_load_dwordx4 v[5:8], v[1:2]
	v_mov_b32_e32 v1, s0
	v_mov_b32_e32 v2, s1
	flat_load_dwordx4 v[1:4], v[1:2]
	s_waitcnt vmcnt(1) lgkmcnt(1)
	v_cmp_eq_f64_e32 vcc_lo, 0, v[5:6]
	v_cmp_eq_f64_e64 s0, 0, v[7:8]
	s_and_b32 s3, vcc_lo, s0
	s_mov_b32 s0, -1
	s_and_saveexec_b32 s1, s3
	s_cbranch_execz .LBB145_2
; %bb.1:
	s_waitcnt vmcnt(0) lgkmcnt(0)
	v_cmp_neq_f64_e32 vcc_lo, 1.0, v[1:2]
	v_cmp_neq_f64_e64 s0, 0, v[3:4]
	s_or_b32 s0, vcc_lo, s0
	s_orn2_b32 s0, s0, exec_lo
.LBB145_2:
	s_or_b32 exec_lo, exec_lo, s1
	s_and_saveexec_b32 s1, s0
	s_cbranch_execz .LBB145_8
; %bb.3:
	s_load_dwordx2 s[0:1], s[4:5], 0x28
	v_lshrrev_b32_e32 v9, 2, v0
	v_mov_b32_e32 v10, 0
	v_lshl_or_b32 v9, s6, 5, v9
	s_waitcnt lgkmcnt(0)
	s_cmp_lg_u64 s[0:1], 0
	s_cbranch_scc0 .LBB145_9
; %bb.4:
	s_load_dwordx2 s[6:7], s[4:5], 0x20
                                        ; implicit-def: $vgpr21_vgpr22
                                        ; implicit-def: $vgpr17_vgpr18
	s_waitcnt lgkmcnt(0)
	v_cmp_gt_i64_e32 vcc_lo, s[6:7], v[9:10]
	s_mov_b32 s7, 0
	s_mov_b32 s6, 0
	s_and_saveexec_b32 s3, vcc_lo
	s_xor_b32 s8, exec_lo, s3
	s_cbranch_execz .LBB145_6
; %bb.5:
	v_lshlrev_b64 v[11:12], 3, v[9:10]
	s_mov_b32 s3, 0
	s_mov_b32 s6, exec_lo
	v_mov_b32_e32 v18, s3
	v_mov_b32_e32 v17, s2
	v_add_co_u32 v11, vcc_lo, s0, v11
	v_add_co_ci_u32_e64 v12, null, s1, v12, vcc_lo
	global_load_dwordx2 v[11:12], v[11:12], off
	s_waitcnt vmcnt(0)
	v_sub_co_u32 v21, vcc_lo, v11, s2
	v_subrev_co_ci_u32_e64 v22, null, 0, v12, vcc_lo
.LBB145_6:
	s_or_b32 exec_lo, exec_lo, s8
	s_and_b32 vcc_lo, exec_lo, s7
	s_cbranch_vccnz .LBB145_10
.LBB145_7:
	s_and_b32 exec_lo, exec_lo, s6
	s_cbranch_execnz .LBB145_13
.LBB145_8:
	s_endpgm
.LBB145_9:
	s_mov_b32 s6, 0
                                        ; implicit-def: $vgpr21_vgpr22
                                        ; implicit-def: $vgpr17_vgpr18
	s_cbranch_execz .LBB145_7
.LBB145_10:
	s_load_dwordx2 s[0:1], s[4:5], 0x0
	s_waitcnt lgkmcnt(0)
	v_cmp_gt_i64_e32 vcc_lo, s[0:1], v[9:10]
	s_and_saveexec_b32 s0, vcc_lo
; %bb.11:
	s_mov_b32 s3, 0
	s_or_b32 s6, s6, exec_lo
; %bb.12:
	s_or_b32 exec_lo, exec_lo, s0
	v_mov_b32_e32 v18, s3
	v_mov_b32_e32 v22, v10
	;; [unrolled: 1-line block ×4, first 2 shown]
	s_and_b32 exec_lo, exec_lo, s6
	s_cbranch_execz .LBB145_8
.LBB145_13:
	s_load_dwordx8 s[8:15], s[4:5], 0x30
	v_lshlrev_b64 v[9:10], 3, v[21:22]
	v_and_b32_e32 v0, 3, v0
	s_clause 0x1
	s_load_dword s1, s[4:5], 0x8
	s_load_dwordx2 s[2:3], s[4:5], 0x50
	s_waitcnt lgkmcnt(0)
	v_add_co_u32 v11, vcc_lo, s8, v9
	v_add_co_ci_u32_e64 v12, null, s9, v10, vcc_lo
	v_add_co_u32 v13, vcc_lo, s10, v9
	v_add_co_ci_u32_e64 v14, null, s11, v10, vcc_lo
	;; [unrolled: 2-line block ×3, first 2 shown]
	global_load_dwordx2 v[9:10], v[11:12], off
	s_cmp_eq_u64 s[10:11], 0
	s_cselect_b32 vcc_lo, -1, 0
	s_cmp_eq_u32 s1, 1
	v_cndmask_b32_e32 v12, v14, v16, vcc_lo
	v_cndmask_b32_e32 v11, v13, v15, vcc_lo
	global_load_dwordx2 v[11:12], v[11:12], off
	s_waitcnt vmcnt(1)
	v_sub_co_u32 v13, vcc_lo, v9, v17
	v_sub_co_ci_u32_e64 v14, null, v10, v18, vcc_lo
	v_add_co_u32 v19, vcc_lo, v13, v0
	v_add_co_ci_u32_e64 v20, null, 0, v14, vcc_lo
	s_waitcnt vmcnt(0)
	v_sub_co_u32 v23, vcc_lo, v11, v17
	v_sub_co_ci_u32_e64 v24, null, v12, v18, vcc_lo
	v_lshlrev_b64 v[11:12], 7, v[19:20]
	v_cmp_lt_i64_e64 s0, v[19:20], v[23:24]
	v_add_co_u32 v25, vcc_lo, s14, v11
	v_add_co_ci_u32_e64 v26, null, s15, v12, vcc_lo
	s_cbranch_scc1 .LBB145_25
; %bb.14:
	v_mov_b32_e32 v29, 0
	v_mov_b32_e32 v37, 0
	;; [unrolled: 1-line block ×16, first 2 shown]
	s_and_saveexec_b32 s6, s0
	s_cbranch_execz .LBB145_24
; %bb.15:
	v_or_b32_e32 v11, 4, v0
	v_not_b32_e32 v15, v9
	v_not_b32_e32 v14, v10
	v_mov_b32_e32 v13, 0
	v_mov_b32_e32 v27, 0
	v_sub_co_u32 v11, vcc_lo, v11, v17
	v_sub_co_ci_u32_e64 v12, null, 0, v18, vcc_lo
	v_mov_b32_e32 v31, 0
	v_add_co_u32 v11, vcc_lo, v11, v9
	v_add_co_ci_u32_e64 v12, null, v12, v10, vcc_lo
	v_sub_co_u32 v16, vcc_lo, v17, v0
	v_subrev_co_ci_u32_e64 v29, null, 0, v18, vcc_lo
	v_cmp_gt_i64_e32 vcc_lo, v[11:12], v[23:24]
	v_add_co_u32 v15, s1, v16, v15
	v_add_co_ci_u32_e64 v14, null, v29, v14, s1
	v_mov_b32_e32 v33, 0
	v_cndmask_b32_e32 v11, v23, v11, vcc_lo
	v_cndmask_b32_e32 v12, v24, v12, vcc_lo
	v_mov_b32_e32 v35, 0
	v_mov_b32_e32 v41, 0
	v_mov_b32_e32 v39, 0
	v_add_co_u32 v15, vcc_lo, v15, v11
	v_add_co_ci_u32_e64 v16, null, v14, v12, vcc_lo
	v_mov_b32_e32 v37, 0
	v_and_b32_e32 v12, 12, v15
	v_mov_b32_e32 v29, 0
	v_mov_b32_e32 v28, 0
	;; [unrolled: 1-line block ×4, first 2 shown]
	v_cmp_ne_u64_e32 vcc_lo, 12, v[12:13]
	v_mov_b32_e32 v13, v25
	v_mov_b32_e32 v11, v19
	;; [unrolled: 1-line block ×9, first 2 shown]
	s_and_saveexec_b32 s7, vcc_lo
	s_cbranch_execz .LBB145_19
; %bb.16:
	v_lshrrev_b32_e32 v11, 2, v15
	v_lshlrev_b64 v[13:14], 3, v[19:20]
	v_mov_b32_e32 v29, 0
	v_mov_b32_e32 v37, 0
	;; [unrolled: 1-line block ×3, first 2 shown]
	v_add_nc_u32_e32 v27, 1, v11
	v_mov_b32_e32 v11, v19
	v_add_co_u32 v43, vcc_lo, s12, v13
	v_add_co_ci_u32_e64 v44, null, s13, v14, vcc_lo
	v_and_b32_e32 v27, 3, v27
	v_mov_b32_e32 v41, 0
	v_mov_b32_e32 v35, 0
	;; [unrolled: 1-line block ×4, first 2 shown]
	v_sub_co_u32 v45, s1, 0, v27
	v_mov_b32_e32 v27, 0
	v_mov_b32_e32 v13, v25
	;; [unrolled: 1-line block ×6, first 2 shown]
	v_sub_co_ci_u32_e64 v46, null, 0, 0, s1
	v_mov_b32_e32 v42, 0
	v_mov_b32_e32 v36, 0
	;; [unrolled: 1-line block ×6, first 2 shown]
	s_mov_b32 s8, 0
.LBB145_17:                             ; =>This Inner Loop Header: Depth=1
	global_load_dwordx2 v[75:76], v[43:44], off
	s_clause 0x6
	global_load_dwordx4 v[47:50], v[13:14], off offset:48
	global_load_dwordx4 v[51:54], v[13:14], off offset:32
	;; [unrolled: 1-line block ×3, first 2 shown]
	global_load_dwordx4 v[59:62], v[13:14], off
	global_load_dwordx4 v[63:66], v[13:14], off offset:112
	global_load_dwordx4 v[67:70], v[13:14], off offset:96
	;; [unrolled: 1-line block ×3, first 2 shown]
	v_add_co_u32 v43, s1, v43, 32
	v_add_co_ci_u32_e64 v44, null, 0, v44, s1
	s_waitcnt vmcnt(7)
	v_sub_co_u32 v75, vcc_lo, v75, v17
	v_sub_co_ci_u32_e64 v76, null, v76, v18, vcc_lo
	v_lshlrev_b64 v[75:76], 6, v[75:76]
	v_add_co_u32 v91, vcc_lo, s2, v75
	v_add_co_ci_u32_e64 v92, null, s3, v76, vcc_lo
	s_clause 0x1
	global_load_dwordx4 v[75:78], v[91:92], off
	global_load_dwordx4 v[79:82], v[91:92], off offset:16
	global_load_dwordx4 v[83:86], v[13:14], off offset:80
	s_clause 0x1
	global_load_dwordx4 v[87:90], v[91:92], off offset:32
	global_load_dwordx4 v[91:94], v[91:92], off offset:48
	v_add_co_u32 v13, vcc_lo, 0x200, v13
	v_add_co_ci_u32_e64 v14, null, 0, v14, vcc_lo
	v_add_co_u32 v45, vcc_lo, v45, 1
	v_add_co_ci_u32_e64 v46, null, 0, v46, vcc_lo
	;; [unrolled: 2-line block ×3, first 2 shown]
	v_cmp_eq_u64_e32 vcc_lo, 0, v[45:46]
	s_or_b32 s8, vcc_lo, s8
	s_waitcnt vmcnt(4)
	v_fma_f64 v[37:38], v[59:60], v[75:76], v[37:38]
	v_fma_f64 v[29:30], v[75:76], 0, v[29:30]
	v_fma_f64 v[41:42], v[51:52], v[75:76], v[41:42]
	v_fma_f64 v[39:40], v[75:76], 0, v[39:40]
	v_fma_f64 v[33:34], v[71:72], v[75:76], v[33:34]
	v_fma_f64 v[35:36], v[75:76], 0, v[35:36]
	v_fma_f64 v[27:28], v[67:68], v[75:76], v[27:28]
	v_fma_f64 v[31:32], v[75:76], 0, v[31:32]
	v_fma_f64 v[37:38], 0x80000000, v[77:78], v[37:38]
	v_fma_f64 v[29:30], v[59:60], v[77:78], v[29:30]
	v_fma_f64 v[41:42], 0x80000000, v[77:78], v[41:42]
	v_fma_f64 v[39:40], v[51:52], v[77:78], v[39:40]
	v_fma_f64 v[33:34], 0x80000000, v[77:78], v[33:34]
	v_fma_f64 v[35:36], v[71:72], v[77:78], v[35:36]
	v_fma_f64 v[27:28], 0x80000000, v[77:78], v[27:28]
	v_fma_f64 v[31:32], v[67:68], v[77:78], v[31:32]
	s_waitcnt vmcnt(3)
	v_fma_f64 v[37:38], v[61:62], v[79:80], v[37:38]
	v_fma_f64 v[29:30], v[79:80], 0, v[29:30]
	v_fma_f64 v[41:42], v[53:54], v[79:80], v[41:42]
	v_fma_f64 v[39:40], v[79:80], 0, v[39:40]
	v_fma_f64 v[33:34], v[73:74], v[79:80], v[33:34]
	v_fma_f64 v[35:36], v[79:80], 0, v[35:36]
	v_fma_f64 v[27:28], v[69:70], v[79:80], v[27:28]
	v_fma_f64 v[31:32], v[79:80], 0, v[31:32]
	v_fma_f64 v[37:38], 0x80000000, v[81:82], v[37:38]
	v_fma_f64 v[29:30], v[61:62], v[81:82], v[29:30]
	v_fma_f64 v[41:42], 0x80000000, v[81:82], v[41:42]
	v_fma_f64 v[39:40], v[53:54], v[81:82], v[39:40]
	v_fma_f64 v[33:34], 0x80000000, v[81:82], v[33:34]
	v_fma_f64 v[35:36], v[73:74], v[81:82], v[35:36]
	v_fma_f64 v[27:28], 0x80000000, v[81:82], v[27:28]
	v_fma_f64 v[31:32], v[69:70], v[81:82], v[31:32]
	;; [unrolled: 17-line block ×4, first 2 shown]
	s_andn2_b32 exec_lo, exec_lo, s8
	s_cbranch_execnz .LBB145_17
; %bb.18:
	s_or_b32 exec_lo, exec_lo, s8
.LBB145_19:
	s_or_b32 exec_lo, exec_lo, s7
	s_mov_b32 s7, exec_lo
	v_cmpx_lt_u64_e32 11, v[15:16]
	s_cbranch_execz .LBB145_23
; %bb.20:
	v_lshlrev_b64 v[15:16], 3, v[11:12]
	s_mov_b32 s8, 0
	v_add_co_u32 v15, vcc_lo, s12, v15
	v_add_co_ci_u32_e64 v16, null, s13, v16, vcc_lo
	v_add_co_u32 v15, vcc_lo, v15, 64
	v_add_co_ci_u32_e64 v16, null, 0, v16, vcc_lo
.LBB145_21:                             ; =>This Inner Loop Header: Depth=1
	s_clause 0x2
	global_load_dwordx2 v[43:44], v[15:16], off offset:-64
	global_load_dwordx2 v[141:142], v[15:16], off offset:-32
	global_load_dwordx2 v[143:144], v[15:16], off
	s_clause 0xf
	global_load_dwordx4 v[45:48], v[13:14], off offset:48
	global_load_dwordx4 v[49:52], v[13:14], off offset:32
	;; [unrolled: 1-line block ×3, first 2 shown]
	global_load_dwordx4 v[57:60], v[13:14], off
	global_load_dwordx4 v[61:64], v[13:14], off offset:112
	global_load_dwordx4 v[65:68], v[13:14], off offset:96
	global_load_dwordx4 v[69:72], v[13:14], off offset:80
	global_load_dwordx4 v[73:76], v[13:14], off offset:64
	global_load_dwordx4 v[77:80], v[13:14], off offset:560
	global_load_dwordx4 v[81:84], v[13:14], off offset:544
	global_load_dwordx4 v[85:88], v[13:14], off offset:528
	global_load_dwordx4 v[89:92], v[13:14], off offset:512
	global_load_dwordx4 v[93:96], v[13:14], off offset:624
	global_load_dwordx4 v[97:100], v[13:14], off offset:608
	global_load_dwordx4 v[101:104], v[13:14], off offset:592
	global_load_dwordx4 v[105:108], v[13:14], off offset:576
	global_load_dwordx2 v[149:150], v[15:16], off offset:32
	s_clause 0x7
	global_load_dwordx4 v[109:112], v[13:14], off offset:1072
	global_load_dwordx4 v[113:116], v[13:14], off offset:1056
	global_load_dwordx4 v[117:120], v[13:14], off offset:1040
	global_load_dwordx4 v[121:124], v[13:14], off offset:1024
	global_load_dwordx4 v[125:128], v[13:14], off offset:1136
	global_load_dwordx4 v[129:132], v[13:14], off offset:1120
	global_load_dwordx4 v[133:136], v[13:14], off offset:1104
	global_load_dwordx4 v[137:140], v[13:14], off offset:1088
	v_add_co_u32 v15, s1, 0x80, v15
	v_add_co_ci_u32_e64 v16, null, 0, v16, s1
	s_waitcnt vmcnt(27)
	v_sub_co_u32 v43, vcc_lo, v43, v17
	v_sub_co_ci_u32_e64 v44, null, v44, v18, vcc_lo
	s_waitcnt vmcnt(26)
	v_sub_co_u32 v141, vcc_lo, v141, v17
	v_sub_co_ci_u32_e64 v142, null, v142, v18, vcc_lo
	;; [unrolled: 3-line block ×3, first 2 shown]
	v_lshlrev_b64 v[43:44], 6, v[43:44]
	v_lshlrev_b64 v[141:142], 6, v[141:142]
	v_lshlrev_b64 v[143:144], 6, v[143:144]
	v_add_co_u32 v43, vcc_lo, s2, v43
	v_add_co_ci_u32_e64 v44, null, s3, v44, vcc_lo
	v_add_co_u32 v151, vcc_lo, s2, v141
	v_add_co_ci_u32_e64 v152, null, s3, v142, vcc_lo
	;; [unrolled: 2-line block ×3, first 2 shown]
	s_clause 0x1
	global_load_dwordx4 v[141:144], v[43:44], off
	global_load_dwordx4 v[145:148], v[43:44], off offset:16
	s_waitcnt vmcnt(1)
	v_fma_f64 v[29:30], v[141:142], 0, v[29:30]
	v_fma_f64 v[39:40], v[141:142], 0, v[39:40]
	;; [unrolled: 1-line block ×13, first 2 shown]
	s_clause 0x1
	global_load_dwordx4 v[27:30], v[43:44], off offset:32
	global_load_dwordx4 v[31:34], v[43:44], off offset:48
	v_fma_f64 v[37:38], 0x80000000, v[143:144], v[37:38]
	v_fma_f64 v[73:74], v[73:74], v[143:144], v[35:36]
	;; [unrolled: 1-line block ×3, first 2 shown]
	s_waitcnt vmcnt(2)
	v_fma_f64 v[35:36], v[145:146], 0, v[57:58]
	v_fma_f64 v[39:40], v[145:146], 0, v[39:40]
	;; [unrolled: 1-line block ×7, first 2 shown]
	global_load_dwordx4 v[35:38], v[151:152], off
	v_fma_f64 v[157:158], v[51:52], v[147:148], v[39:40]
	global_load_dwordx4 v[39:42], v[151:152], off offset:16
	v_fma_f64 v[51:52], v[145:146], 0, v[73:74]
	v_fma_f64 v[73:74], v[75:76], v[145:146], v[49:50]
	;; [unrolled: 1-line block ×5, first 2 shown]
	global_load_dwordx4 v[57:60], v[13:14], off offset:1568
	v_fma_f64 v[75:76], v[75:76], v[147:148], v[51:52]
	v_fma_f64 v[73:74], 0x80000000, v[147:148], v[73:74]
	;; [unrolled: 1-line block ×3, first 2 shown]
	global_load_dwordx4 v[65:68], v[151:152], off offset:32
	global_load_dwordx4 v[49:52], v[13:14], off offset:1584
	s_waitcnt vmcnt(6)
	v_fma_f64 v[143:144], v[27:28], 0, v[143:144]
	v_fma_f64 v[43:44], v[53:54], v[27:28], v[43:44]
	;; [unrolled: 1-line block ×16, first 2 shown]
	global_load_dwordx4 v[27:30], v[151:152], off offset:48
	s_waitcnt vmcnt(6)
	v_fma_f64 v[45:46], v[31:32], 0, v[53:54]
	v_fma_f64 v[145:146], v[55:56], v[31:32], v[43:44]
	;; [unrolled: 1-line block ×9, first 2 shown]
	global_load_dwordx4 v[43:46], v[153:154], off
	v_fma_f64 v[145:146], 0x80000000, v[33:34], v[145:146]
	v_fma_f64 v[47:48], v[47:48], v[33:34], v[53:54]
	;; [unrolled: 1-line block ×4, first 2 shown]
	global_load_dwordx4 v[69:72], v[153:154], off offset:16
	v_fma_f64 v[75:76], v[63:64], v[33:34], v[61:62]
	v_fma_f64 v[141:142], 0x80000000, v[33:34], v[141:142]
	v_fma_f64 v[151:152], 0x80000000, v[33:34], v[31:32]
	global_load_dwordx4 v[31:34], v[153:154], off offset:32
	s_clause 0x1
	global_load_dwordx4 v[53:56], v[13:14], off offset:1552
	global_load_dwordx4 v[61:64], v[13:14], off offset:1536
	s_waitcnt vmcnt(10)
	v_fma_f64 v[147:148], v[35:36], 0, v[147:148]
	v_fma_f64 v[145:146], v[89:90], v[35:36], v[145:146]
	;; [unrolled: 1-line block ×12, first 2 shown]
	v_sub_co_u32 v73, vcc_lo, v149, v17
	v_sub_co_ci_u32_e64 v74, null, v150, v18, vcc_lo
	v_fma_f64 v[141:142], 0x80000000, v[37:38], v[141:142]
	v_fma_f64 v[105:106], v[105:106], v[37:38], v[143:144]
	;; [unrolled: 1-line block ×3, first 2 shown]
	v_lshlrev_b64 v[73:74], 6, v[73:74]
	v_fma_f64 v[97:98], v[97:98], v[37:38], v[35:36]
	global_load_dwordx4 v[35:38], v[13:14], off offset:1632
	v_add_co_u32 v149, vcc_lo, s2, v73
	v_add_co_ci_u32_e64 v150, null, s3, v74, vcc_lo
	global_load_dwordx4 v[73:76], v[153:154], off offset:48
	s_waitcnt vmcnt(11)
	v_fma_f64 v[81:82], v[39:40], 0, v[89:90]
	v_fma_f64 v[145:146], v[91:92], v[39:40], v[145:146]
	;; [unrolled: 1-line block ×4, first 2 shown]
	v_add_co_u32 v11, vcc_lo, v11, 16
	v_add_co_ci_u32_e64 v12, null, 0, v12, vcc_lo
	v_fma_f64 v[141:142], v[83:84], v[39:40], v[141:142]
	v_fma_f64 v[105:106], v[39:40], 0, v[105:106]
	;; [unrolled: 1-line block ×5, first 2 shown]
	global_load_dwordx4 v[89:92], v[13:14], off offset:1600
	v_fma_f64 v[47:48], v[83:84], v[41:42], v[47:48]
	global_load_dwordx4 v[81:84], v[149:150], off
	v_fma_f64 v[97:98], 0x80000000, v[41:42], v[145:146]
	v_fma_f64 v[145:146], 0x80000000, v[41:42], v[147:148]
	;; [unrolled: 1-line block ×6, first 2 shown]
	global_load_dwordx4 v[39:42], v[149:150], off offset:16
	s_waitcnt vmcnt(12)
	v_fma_f64 v[143:144], v[65:66], 0, v[151:152]
	v_fma_f64 v[47:48], v[65:66], 0, v[47:48]
	;; [unrolled: 1-line block ×16, first 2 shown]
	s_clause 0x1
	global_load_dwordx4 v[65:68], v[13:14], off offset:1648
	global_load_dwordx4 v[97:100], v[13:14], off offset:1616
	;; [unrolled: 1-line block ×3, first 2 shown]
	v_add_co_u32 v13, vcc_lo, 0x800, v13
	v_add_co_ci_u32_e64 v14, null, 0, v14, vcc_lo
	v_cmp_ge_i64_e32 vcc_lo, v[11:12], v[23:24]
	s_or_b32 s8, vcc_lo, s8
	s_waitcnt vmcnt(13)
	v_fma_f64 v[145:146], v[87:88], v[27:28], v[147:148]
	v_fma_f64 v[85:86], v[27:28], 0, v[85:86]
	;; [unrolled: 1-line block ×16, first 2 shown]
	global_load_dwordx4 v[77:80], v[149:150], off offset:48
	s_waitcnt vmcnt(13)
	v_fma_f64 v[29:30], v[121:122], v[43:44], v[93:94]
	v_fma_f64 v[85:86], v[43:44], 0, v[85:86]
	v_fma_f64 v[87:88], v[113:114], v[43:44], v[87:88]
	v_fma_f64 v[47:48], v[43:44], 0, v[47:48]
	v_fma_f64 v[93:94], v[137:138], v[43:44], v[141:142]
	v_fma_f64 v[95:96], v[43:44], 0, v[101:102]
	v_fma_f64 v[101:102], v[129:130], v[43:44], v[103:104]
	v_fma_f64 v[27:28], v[43:44], 0, v[27:28]
	v_fma_f64 v[29:30], 0x80000000, v[45:46], v[29:30]
	v_fma_f64 v[43:44], v[121:122], v[45:46], v[85:86]
	v_fma_f64 v[85:86], 0x80000000, v[45:46], v[87:88]
	v_fma_f64 v[47:48], v[113:114], v[45:46], v[47:48]
	v_fma_f64 v[87:88], 0x80000000, v[45:46], v[93:94]
	v_fma_f64 v[93:94], v[137:138], v[45:46], v[95:96]
	v_fma_f64 v[95:96], 0x80000000, v[45:46], v[101:102]
	v_fma_f64 v[27:28], v[129:130], v[45:46], v[27:28]
	s_waitcnt vmcnt(12)
	v_fma_f64 v[29:30], v[123:124], v[69:70], v[29:30]
	v_fma_f64 v[43:44], v[69:70], 0, v[43:44]
	v_fma_f64 v[45:46], v[115:116], v[69:70], v[85:86]
	v_fma_f64 v[47:48], v[69:70], 0, v[47:48]
	v_fma_f64 v[85:86], v[139:140], v[69:70], v[87:88]
	v_fma_f64 v[87:88], v[69:70], 0, v[93:94]
	v_fma_f64 v[93:94], v[131:132], v[69:70], v[95:96]
	v_fma_f64 v[27:28], v[69:70], 0, v[27:28]
	v_fma_f64 v[29:30], 0x80000000, v[71:72], v[29:30]
	v_fma_f64 v[43:44], v[123:124], v[71:72], v[43:44]
	v_fma_f64 v[45:46], 0x80000000, v[71:72], v[45:46]
	v_fma_f64 v[47:48], v[115:116], v[71:72], v[47:48]
	v_fma_f64 v[69:70], 0x80000000, v[71:72], v[85:86]
	v_fma_f64 v[85:86], v[139:140], v[71:72], v[87:88]
	v_fma_f64 v[87:88], 0x80000000, v[71:72], v[93:94]
	v_fma_f64 v[27:28], v[131:132], v[71:72], v[27:28]
	;; [unrolled: 17-line block ×8, first 2 shown]
	s_andn2_b32 exec_lo, exec_lo, s8
	s_cbranch_execnz .LBB145_21
; %bb.22:
	s_or_b32 exec_lo, exec_lo, s8
.LBB145_23:
	s_or_b32 exec_lo, exec_lo, s7
.LBB145_24:
	s_or_b32 exec_lo, exec_lo, s6
	s_cbranch_execz .LBB145_26
	s_branch .LBB145_37
.LBB145_25:
                                        ; implicit-def: $vgpr29_vgpr30
                                        ; implicit-def: $vgpr37_vgpr38
                                        ; implicit-def: $vgpr39_vgpr40
                                        ; implicit-def: $vgpr41_vgpr42
                                        ; implicit-def: $vgpr35_vgpr36
                                        ; implicit-def: $vgpr33_vgpr34
                                        ; implicit-def: $vgpr31_vgpr32
                                        ; implicit-def: $vgpr27_vgpr28
.LBB145_26:
	v_mov_b32_e32 v29, 0
	v_mov_b32_e32 v37, 0
	v_mov_b32_e32 v39, 0
	v_mov_b32_e32 v41, 0
	v_mov_b32_e32 v35, 0
	v_mov_b32_e32 v33, 0
	v_mov_b32_e32 v31, 0
	v_mov_b32_e32 v27, 0
	v_mov_b32_e32 v30, 0
	v_mov_b32_e32 v38, 0
	v_mov_b32_e32 v40, 0
	v_mov_b32_e32 v42, 0
	v_mov_b32_e32 v36, 0
	v_mov_b32_e32 v34, 0
	v_mov_b32_e32 v32, 0
	v_mov_b32_e32 v28, 0
	s_and_saveexec_b32 s1, s0
	s_cbranch_execz .LBB145_36
; %bb.27:
	v_or_b32_e32 v11, 4, v0
	v_sub_co_u32 v14, s0, v17, v0
	v_subrev_co_ci_u32_e64 v15, null, 0, v18, s0
	v_sub_co_u32 v11, vcc_lo, v11, v17
	v_sub_co_ci_u32_e64 v12, null, 0, v18, vcc_lo
	v_mov_b32_e32 v27, 0
	v_add_co_u32 v11, vcc_lo, v11, v9
	v_add_co_ci_u32_e64 v12, null, v12, v10, vcc_lo
	v_not_b32_e32 v9, v9
	v_not_b32_e32 v10, v10
	v_mov_b32_e32 v31, 0
	v_cmp_gt_i64_e32 vcc_lo, v[11:12], v[23:24]
	v_mov_b32_e32 v33, 0
	v_add_co_u32 v9, s0, v14, v9
	v_add_co_ci_u32_e64 v10, null, v15, v10, s0
	v_cndmask_b32_e32 v11, v23, v11, vcc_lo
	v_cndmask_b32_e32 v12, v24, v12, vcc_lo
	v_mov_b32_e32 v35, 0
	v_mov_b32_e32 v41, 0
	;; [unrolled: 1-line block ×3, first 2 shown]
	v_add_co_u32 v9, vcc_lo, v9, v11
	v_mov_b32_e32 v37, 0
	v_mov_b32_e32 v29, 0
	;; [unrolled: 1-line block ×6, first 2 shown]
	v_add_co_ci_u32_e64 v10, null, v10, v12, vcc_lo
	v_and_b32_e32 v12, 12, v9
	v_mov_b32_e32 v36, 0
	v_mov_b32_e32 v42, 0
	;; [unrolled: 1-line block ×5, first 2 shown]
	s_mov_b32 s6, exec_lo
	v_cmpx_ne_u64_e32 12, v[12:13]
	s_cbranch_execz .LBB145_31
; %bb.28:
	v_lshrrev_b32_e32 v13, 2, v9
	v_lshlrev_b64 v[11:12], 3, v[19:20]
	v_mov_b32_e32 v29, 0
	v_mov_b32_e32 v37, 0
	;; [unrolled: 1-line block ×3, first 2 shown]
	v_add_nc_u32_e32 v13, 1, v13
	v_mov_b32_e32 v41, 0
	v_add_co_u32 v11, vcc_lo, s12, v11
	v_mov_b32_e32 v35, 0
	v_and_b32_e32 v13, 3, v13
	v_mov_b32_e32 v33, 0
	v_mov_b32_e32 v31, 0
	;; [unrolled: 1-line block ×4, first 2 shown]
	v_sub_co_u32 v13, s0, 0, v13
	v_mov_b32_e32 v38, 0
	v_mov_b32_e32 v40, 0
	v_add_co_ci_u32_e64 v12, null, s13, v12, vcc_lo
	v_mov_b32_e32 v42, 0
	v_mov_b32_e32 v36, 0
	;; [unrolled: 1-line block ×5, first 2 shown]
	v_sub_co_ci_u32_e64 v14, null, 0, 0, s0
	s_mov_b32 s7, 0
.LBB145_29:                             ; =>This Inner Loop Header: Depth=1
	global_load_dwordx2 v[15:16], v[11:12], off
	s_clause 0x1
	global_load_dwordx4 v[43:46], v[25:26], off offset:16
	global_load_dwordx4 v[47:50], v[25:26], off
	v_add_co_u32 v11, s0, v11, 32
	v_add_co_ci_u32_e64 v12, null, 0, v12, s0
	s_waitcnt vmcnt(2)
	v_sub_co_u32 v15, vcc_lo, v15, v17
	v_sub_co_ci_u32_e64 v16, null, v16, v18, vcc_lo
	v_lshlrev_b64 v[15:16], 6, v[15:16]
	v_add_co_u32 v15, vcc_lo, s2, v15
	v_add_co_ci_u32_e64 v16, null, s3, v16, vcc_lo
	s_clause 0x1
	global_load_dwordx4 v[51:54], v[15:16], off
	global_load_dwordx4 v[55:58], v[15:16], off offset:16
	s_clause 0x3
	global_load_dwordx4 v[59:62], v[25:26], off offset:32
	global_load_dwordx4 v[63:66], v[25:26], off offset:48
	;; [unrolled: 1-line block ×4, first 2 shown]
	s_clause 0x1
	global_load_dwordx4 v[75:78], v[15:16], off offset:32
	global_load_dwordx4 v[79:82], v[15:16], off offset:48
	s_clause 0x1
	global_load_dwordx4 v[83:86], v[25:26], off offset:96
	global_load_dwordx4 v[87:90], v[25:26], off offset:112
	v_add_co_u32 v25, vcc_lo, 0x200, v25
	v_add_co_ci_u32_e64 v26, null, 0, v26, vcc_lo
	v_add_co_u32 v13, vcc_lo, v13, 1
	v_add_co_ci_u32_e64 v14, null, 0, v14, vcc_lo
	;; [unrolled: 2-line block ×3, first 2 shown]
	v_cmp_eq_u64_e32 vcc_lo, 0, v[13:14]
	s_or_b32 s7, vcc_lo, s7
	s_waitcnt vmcnt(9)
	v_fma_f64 v[15:16], v[47:48], v[51:52], v[37:38]
	v_fma_f64 v[29:30], v[51:52], 0, v[29:30]
	;; [unrolled: 1-line block ×16, first 2 shown]
	s_waitcnt vmcnt(7)
	v_fma_f64 v[15:16], v[59:60], v[55:56], v[15:16]
	v_fma_f64 v[29:30], v[55:56], 0, v[29:30]
	;; [unrolled: 1-line block ×4, first 2 shown]
	s_waitcnt vmcnt(6)
	v_fma_f64 v[33:34], v[63:64], v[55:56], v[33:34]
	v_fma_f64 v[35:36], v[55:56], 0, v[35:36]
	v_fma_f64 v[27:28], v[65:66], v[55:56], v[27:28]
	v_fma_f64 v[31:32], v[55:56], 0, v[31:32]
	v_fma_f64 v[15:16], 0x80000000, v[57:58], v[15:16]
	v_fma_f64 v[29:30], v[59:60], v[57:58], v[29:30]
	v_fma_f64 v[37:38], 0x80000000, v[57:58], v[37:38]
	v_fma_f64 v[39:40], v[61:62], v[57:58], v[39:40]
	v_fma_f64 v[33:34], 0x80000000, v[57:58], v[33:34]
	v_fma_f64 v[35:36], v[63:64], v[57:58], v[35:36]
	v_fma_f64 v[27:28], 0x80000000, v[57:58], v[27:28]
	v_fma_f64 v[31:32], v[65:66], v[57:58], v[31:32]
	s_waitcnt vmcnt(3)
	v_fma_f64 v[15:16], v[71:72], v[75:76], v[15:16]
	v_fma_f64 v[29:30], v[75:76], 0, v[29:30]
	;; [unrolled: 1-line block ×16, first 2 shown]
	s_waitcnt vmcnt(1)
	v_fma_f64 v[15:16], v[83:84], v[79:80], v[15:16]
	v_fma_f64 v[29:30], v[79:80], 0, v[29:30]
	;; [unrolled: 1-line block ×4, first 2 shown]
	s_waitcnt vmcnt(0)
	v_fma_f64 v[33:34], v[87:88], v[79:80], v[33:34]
	v_fma_f64 v[35:36], v[79:80], 0, v[35:36]
	;; [unrolled: 1-line block ×12, first 2 shown]
	s_andn2_b32 exec_lo, exec_lo, s7
	s_cbranch_execnz .LBB145_29
; %bb.30:
	s_or_b32 exec_lo, exec_lo, s7
.LBB145_31:
	s_or_b32 exec_lo, exec_lo, s6
	s_mov_b32 s6, exec_lo
	v_cmpx_lt_u64_e32 11, v[9:10]
	s_cbranch_execz .LBB145_35
; %bb.32:
	v_lshlrev_b64 v[9:10], 3, v[19:20]
	s_mov_b32 s7, 0
	v_add_co_u32 v9, vcc_lo, s12, v9
	v_add_co_ci_u32_e64 v10, null, s13, v10, vcc_lo
	v_add_co_u32 v43, vcc_lo, v9, 64
	v_add_co_ci_u32_e64 v44, null, 0, v10, vcc_lo
.LBB145_33:                             ; =>This Inner Loop Header: Depth=1
	s_clause 0x1
	global_load_dwordx2 v[109:110], v[43:44], off offset:-64
	global_load_dwordx2 v[124:125], v[43:44], off offset:-32
	s_clause 0xb
	global_load_dwordx4 v[45:48], v[25:26], off offset:48
	global_load_dwordx4 v[49:52], v[25:26], off offset:32
	;; [unrolled: 1-line block ×3, first 2 shown]
	global_load_dwordx4 v[57:60], v[25:26], off
	global_load_dwordx4 v[61:64], v[25:26], off offset:112
	global_load_dwordx4 v[65:68], v[25:26], off offset:96
	;; [unrolled: 1-line block ×8, first 2 shown]
	s_clause 0x1
	global_load_dwordx2 v[129:130], v[43:44], off
	global_load_dwordx2 v[131:132], v[43:44], off offset:32
	s_clause 0x5
	global_load_dwordx4 v[85:88], v[25:26], off offset:624
	global_load_dwordx4 v[89:92], v[25:26], off offset:608
	global_load_dwordx4 v[93:96], v[25:26], off offset:592
	global_load_dwordx4 v[97:100], v[25:26], off offset:576
	global_load_dwordx4 v[101:104], v[25:26], off offset:1072
	global_load_dwordx4 v[105:108], v[25:26], off offset:1056
	s_waitcnt vmcnt(21)
	v_sub_co_u32 v109, vcc_lo, v109, v17
	v_sub_co_ci_u32_e64 v110, null, v110, v18, vcc_lo
	s_waitcnt vmcnt(20)
	v_sub_co_u32 v126, vcc_lo, v124, v17
	v_sub_co_ci_u32_e64 v127, null, v125, v18, vcc_lo
	v_lshlrev_b64 v[109:110], 6, v[109:110]
	v_lshlrev_b64 v[125:126], 6, v[126:127]
	v_add_co_u32 v121, s0, s2, v109
	v_add_co_ci_u32_e64 v122, null, s3, v110, s0
	v_add_co_u32 v133, vcc_lo, s2, v125
	s_clause 0x3
	global_load_dwordx4 v[109:112], v[121:122], off
	global_load_dwordx4 v[113:116], v[121:122], off offset:16
	global_load_dwordx4 v[117:120], v[121:122], off offset:32
	;; [unrolled: 1-line block ×3, first 2 shown]
	v_add_co_ci_u32_e64 v134, null, s3, v126, vcc_lo
	v_add_co_u32 v43, s0, 0x80, v43
	v_add_co_ci_u32_e64 v44, null, 0, v44, s0
	global_load_dwordx4 v[125:128], v[133:134], off
	s_waitcnt vmcnt(4)
	v_fma_f64 v[39:40], v[109:110], 0, v[39:40]
	v_fma_f64 v[135:136], v[57:58], v[109:110], v[37:38]
	;; [unrolled: 1-line block ×7, first 2 shown]
	global_load_dwordx4 v[37:40], v[133:134], off offset:16
	v_fma_f64 v[41:42], 0x80000000, v[111:112], v[41:42]
	v_fma_f64 v[57:58], v[57:58], v[111:112], v[29:30]
	;; [unrolled: 1-line block ×7, first 2 shown]
	global_load_dwordx4 v[31:34], v[133:134], off offset:32
	s_waitcnt vmcnt(5)
	v_fma_f64 v[59:60], v[113:114], 0, v[59:60]
	v_fma_f64 v[41:42], v[51:52], v[113:114], v[41:42]
	;; [unrolled: 1-line block ×8, first 2 shown]
	global_load_dwordx4 v[27:30], v[25:26], off offset:1040
	v_fma_f64 v[59:60], v[51:52], v[115:116], v[59:60]
	v_fma_f64 v[41:42], 0x80000000, v[115:116], v[41:42]
	;; [unrolled: 1-line block ×3, first 2 shown]
	global_load_dwordx4 v[49:52], v[133:134], off offset:48
	v_fma_f64 v[53:54], v[113:114], 0, v[53:54]
	v_fma_f64 v[35:36], v[47:48], v[113:114], v[35:36]
	;; [unrolled: 1-line block ×5, first 2 shown]
	s_waitcnt vmcnt(6)
	v_fma_f64 v[59:60], v[117:118], 0, v[59:60]
	v_fma_f64 v[41:42], v[75:76], v[117:118], v[41:42]
	v_fma_f64 v[57:58], v[117:118], 0, v[57:58]
	v_fma_f64 v[113:114], v[45:46], v[115:116], v[53:54]
	v_sub_co_u32 v53, vcc_lo, v129, v17
	v_sub_co_ci_u32_e64 v54, null, v130, v18, vcc_lo
	global_load_dwordx4 v[45:48], v[25:26], off offset:1024
	v_fma_f64 v[35:36], 0x80000000, v[115:116], v[35:36]
	v_fma_f64 v[109:110], v[73:74], v[117:118], v[109:110]
	v_lshlrev_b64 v[53:54], 6, v[53:54]
	v_fma_f64 v[111:112], v[69:70], v[117:118], v[111:112]
	v_add_co_u32 v129, vcc_lo, s2, v53
	v_add_co_ci_u32_e64 v130, null, s3, v54, vcc_lo
	v_fma_f64 v[135:136], v[75:76], v[119:120], v[59:60]
	v_fma_f64 v[75:76], v[117:118], 0, v[133:134]
	;; [unrolled: 1-line block ×3, first 2 shown]
	global_load_dwordx4 v[53:56], v[129:130], off
	v_fma_f64 v[73:74], v[117:118], 0, v[113:114]
	v_fma_f64 v[41:42], 0x80000000, v[119:120], v[41:42]
	global_load_dwordx4 v[57:60], v[25:26], off offset:1104
	v_fma_f64 v[35:36], v[71:72], v[117:118], v[35:36]
	v_fma_f64 v[109:110], 0x80000000, v[119:120], v[109:110]
	;; [unrolled: 1-line block ×4, first 2 shown]
	s_waitcnt vmcnt(8)
	v_fma_f64 v[115:116], v[121:122], 0, v[115:116]
	v_fma_f64 v[113:114], v[69:70], v[119:120], v[73:74]
	global_load_dwordx4 v[73:76], v[129:130], off offset:16
	global_load_dwordx4 v[69:72], v[25:26], off offset:1088
	v_fma_f64 v[41:42], v[67:68], v[121:122], v[41:42]
	v_fma_f64 v[35:36], 0x80000000, v[119:120], v[35:36]
	;; [unrolled: 1-line block ×11, first 2 shown]
	global_load_dwordx4 v[65:68], v[129:130], off offset:32
	v_fma_f64 v[135:136], 0x80000000, v[123:124], v[109:110]
	v_fma_f64 v[137:138], 0x80000000, v[123:124], v[111:112]
	global_load_dwordx4 v[109:112], v[25:26], off offset:1120
	v_fma_f64 v[121:122], v[63:64], v[123:124], v[115:116]
	v_fma_f64 v[117:118], v[61:62], v[123:124], v[113:114]
	v_sub_co_u32 v113, vcc_lo, v131, v17
	v_sub_co_ci_u32_e64 v114, null, v132, v18, vcc_lo
	global_load_dwordx4 v[61:64], v[25:26], off offset:1136
	v_fma_f64 v[35:36], 0x80000000, v[123:124], v[35:36]
	s_waitcnt vmcnt(12)
	v_fma_f64 v[119:120], v[125:126], 0, v[119:120]
	v_lshlrev_b64 v[113:114], 6, v[113:114]
	v_fma_f64 v[131:132], v[81:82], v[125:126], v[135:136]
	v_fma_f64 v[41:42], v[83:84], v[125:126], v[41:42]
	v_add_co_u32 v123, vcc_lo, s2, v113
	v_add_co_ci_u32_e64 v124, null, s3, v114, vcc_lo
	global_load_dwordx4 v[113:116], v[129:130], off offset:48
	v_fma_f64 v[129:130], v[125:126], 0, v[133:134]
	v_fma_f64 v[133:134], v[77:78], v[125:126], v[137:138]
	;; [unrolled: 1-line block ×4, first 2 shown]
	v_add_co_u32 v19, vcc_lo, v19, 16
	v_add_co_ci_u32_e64 v20, null, 0, v20, vcc_lo
	v_fma_f64 v[35:36], v[79:80], v[125:126], v[35:36]
	v_fma_f64 v[131:132], 0x80000000, v[127:128], v[131:132]
	;; [unrolled: 1-line block ×8, first 2 shown]
	s_clause 0x1
	global_load_dwordx4 v[81:84], v[25:26], off offset:1552
	global_load_dwordx4 v[77:80], v[25:26], off offset:1536
	global_load_dwordx4 v[117:120], v[123:124], off
	v_fma_f64 v[35:36], 0x80000000, v[127:128], v[35:36]
	s_waitcnt vmcnt(15)
	v_fma_f64 v[125:126], v[37:38], 0, v[125:126]
	v_fma_f64 v[127:128], v[37:38], 0, v[129:130]
	;; [unrolled: 1-line block ×16, first 2 shown]
	s_clause 0x1
	global_load_dwordx4 v[13:16], v[25:26], off offset:1584
	global_load_dwordx4 v[9:12], v[25:26], off offset:1568
	;; [unrolled: 1-line block ×3, first 2 shown]
	s_waitcnt vmcnt(17)
	v_fma_f64 v[125:126], v[31:32], 0, v[125:126]
	v_fma_f64 v[127:128], v[31:32], 0, v[127:128]
	;; [unrolled: 1-line block ×8, first 2 shown]
	global_load_dwordx4 v[39:42], v[25:26], off offset:1616
	v_fma_f64 v[97:98], v[97:98], v[33:34], v[125:126]
	v_fma_f64 v[99:100], v[99:100], v[33:34], v[127:128]
	;; [unrolled: 1-line block ×8, first 2 shown]
	global_load_dwordx4 v[93:96], v[25:26], off offset:1600
	global_load_dwordx4 v[31:34], v[123:124], off offset:32
	s_waitcnt vmcnt(18)
	v_fma_f64 v[97:98], v[49:50], 0, v[97:98]
	v_fma_f64 v[99:100], v[49:50], 0, v[99:100]
	;; [unrolled: 1-line block ×7, first 2 shown]
	global_load_dwordx4 v[89:92], v[123:124], off offset:48
	v_fma_f64 v[123:124], v[85:86], v[49:50], v[131:132]
	v_fma_f64 v[131:132], v[87:88], v[49:50], v[133:134]
	;; [unrolled: 1-line block ×6, first 2 shown]
	s_waitcnt vmcnt(17)
	v_fma_f64 v[97:98], v[53:54], 0, v[97:98]
	v_fma_f64 v[99:100], v[53:54], 0, v[99:100]
	v_fma_f64 v[123:124], 0x80000000, v[51:52], v[123:124]
	v_fma_f64 v[129:130], 0x80000000, v[51:52], v[131:132]
	v_fma_f64 v[131:132], v[87:88], v[51:52], v[49:50]
	s_clause 0x1
	global_load_dwordx4 v[49:52], v[25:26], off offset:1632
	global_load_dwordx4 v[85:88], v[25:26], off offset:1648
	v_fma_f64 v[121:122], v[45:46], v[53:54], v[121:122]
	v_fma_f64 v[127:128], v[47:48], v[53:54], v[127:128]
	;; [unrolled: 1-line block ×3, first 2 shown]
	v_add_co_u32 v25, vcc_lo, 0x800, v25
	v_add_co_ci_u32_e64 v26, null, 0, v26, vcc_lo
	v_cmp_ge_i64_e32 vcc_lo, v[19:20], v[23:24]
	s_or_b32 s7, vcc_lo, s7
	v_fma_f64 v[45:46], v[45:46], v[55:56], v[97:98]
	v_fma_f64 v[47:48], v[47:48], v[55:56], v[99:100]
	v_fma_f64 v[123:124], v[27:28], v[53:54], v[123:124]
	v_fma_f64 v[129:130], v[29:30], v[53:54], v[129:130]
	v_fma_f64 v[53:54], v[53:54], 0, v[131:132]
	v_fma_f64 v[121:122], 0x80000000, v[55:56], v[121:122]
	v_fma_f64 v[97:98], 0x80000000, v[55:56], v[127:128]
	v_fma_f64 v[27:28], v[27:28], v[55:56], v[125:126]
	s_waitcnt vmcnt(17)
	v_fma_f64 v[45:46], v[73:74], 0, v[45:46]
	v_fma_f64 v[47:48], v[73:74], 0, v[47:48]
	v_fma_f64 v[99:100], 0x80000000, v[55:56], v[123:124]
	v_fma_f64 v[123:124], 0x80000000, v[55:56], v[129:130]
	v_fma_f64 v[29:30], v[29:30], v[55:56], v[53:54]
	v_fma_f64 v[53:54], v[105:106], v[73:74], v[121:122]
	v_fma_f64 v[55:56], v[107:108], v[73:74], v[97:98]
	v_fma_f64 v[27:28], v[73:74], 0, v[27:28]
	v_fma_f64 v[45:46], v[105:106], v[75:76], v[45:46]
	v_fma_f64 v[47:48], v[107:108], v[75:76], v[47:48]
	v_fma_f64 v[97:98], v[101:102], v[73:74], v[99:100]
	v_fma_f64 v[99:100], v[103:104], v[73:74], v[123:124]
	v_fma_f64 v[29:30], v[73:74], 0, v[29:30]
	v_fma_f64 v[53:54], 0x80000000, v[75:76], v[53:54]
	v_fma_f64 v[55:56], 0x80000000, v[75:76], v[55:56]
	v_fma_f64 v[27:28], v[101:102], v[75:76], v[27:28]
	s_waitcnt vmcnt(15)
	v_fma_f64 v[45:46], v[65:66], 0, v[45:46]
	v_fma_f64 v[47:48], v[65:66], 0, v[47:48]
	v_fma_f64 v[73:74], 0x80000000, v[75:76], v[97:98]
	v_fma_f64 v[97:98], 0x80000000, v[75:76], v[99:100]
	v_fma_f64 v[29:30], v[103:104], v[75:76], v[29:30]
	v_fma_f64 v[53:54], v[69:70], v[65:66], v[53:54]
	v_fma_f64 v[55:56], v[71:72], v[65:66], v[55:56]
	v_fma_f64 v[27:28], v[65:66], 0, v[27:28]
	;; [unrolled: 17-line block ×6, first 2 shown]
	v_fma_f64 v[9:10], v[93:94], v[33:34], v[9:10]
	v_fma_f64 v[11:12], v[95:96], v[33:34], v[11:12]
	;; [unrolled: 1-line block ×8, first 2 shown]
	s_waitcnt vmcnt(2)
	v_fma_f64 v[9:10], v[89:90], 0, v[9:10]
	v_fma_f64 v[11:12], v[89:90], 0, v[11:12]
	;; [unrolled: 1-line block ×6, first 2 shown]
	s_waitcnt vmcnt(1)
	v_fma_f64 v[29:30], v[49:50], v[89:90], v[29:30]
	v_fma_f64 v[31:32], v[51:52], v[89:90], v[31:32]
	;; [unrolled: 1-line block ×3, first 2 shown]
	s_waitcnt vmcnt(0)
	v_fma_f64 v[33:34], v[85:86], v[89:90], v[35:36]
	v_fma_f64 v[27:28], v[87:88], v[89:90], v[27:28]
	;; [unrolled: 1-line block ×10, first 2 shown]
	s_andn2_b32 exec_lo, exec_lo, s7
	s_cbranch_execnz .LBB145_33
; %bb.34:
	s_or_b32 exec_lo, exec_lo, s7
.LBB145_35:
	s_or_b32 exec_lo, exec_lo, s6
.LBB145_36:
	s_or_b32 exec_lo, exec_lo, s1
.LBB145_37:
	v_mbcnt_lo_u32_b32 v45, -1, 0
	v_xor_b32_e32 v9, 2, v45
	v_cmp_gt_i32_e32 vcc_lo, 32, v9
	v_cndmask_b32_e32 v9, v45, v9, vcc_lo
	v_lshlrev_b32_e32 v25, 2, v9
	ds_bpermute_b32 v9, v25, v37
	ds_bpermute_b32 v10, v25, v38
	;; [unrolled: 1-line block ×16, first 2 shown]
	s_waitcnt lgkmcnt(14)
	v_add_f64 v[9:10], v[37:38], v[9:10]
	v_xor_b32_e32 v37, 1, v45
	s_waitcnt lgkmcnt(12)
	v_add_f64 v[29:30], v[29:30], v[11:12]
	s_waitcnt lgkmcnt(10)
	v_add_f64 v[11:12], v[41:42], v[13:14]
	;; [unrolled: 2-line block ×3, first 2 shown]
	v_cmp_gt_i32_e32 vcc_lo, 32, v37
	s_waitcnt lgkmcnt(6)
	v_add_f64 v[13:14], v[33:34], v[17:18]
	s_waitcnt lgkmcnt(4)
	v_add_f64 v[17:18], v[35:36], v[19:20]
	;; [unrolled: 2-line block ×3, first 2 shown]
	v_cndmask_b32_e32 v33, v45, v37, vcc_lo
	s_waitcnt lgkmcnt(0)
	v_add_f64 v[19:20], v[31:32], v[43:44]
	v_cmp_eq_u32_e32 vcc_lo, 3, v0
	v_lshlrev_b32_e32 v36, 2, v33
	ds_bpermute_b32 v23, v36, v9
	ds_bpermute_b32 v24, v36, v10
	;; [unrolled: 1-line block ×16, first 2 shown]
	s_and_b32 exec_lo, exec_lo, vcc_lo
	s_cbranch_execz .LBB145_8
; %bb.38:
	s_waitcnt lgkmcnt(12)
	v_add_f64 v[29:30], v[29:30], v[41:42]
	s_waitcnt lgkmcnt(8)
	v_add_f64 v[25:26], v[25:26], v[39:40]
	s_waitcnt lgkmcnt(4)
	v_add_f64 v[17:18], v[17:18], v[37:38]
	s_waitcnt lgkmcnt(0)
	v_add_f64 v[19:20], v[19:20], v[35:36]
	v_add_f64 v[9:10], v[9:10], v[23:24]
	v_add_f64 v[11:12], v[11:12], v[27:28]
	;; [unrolled: 1-line block ×4, first 2 shown]
	v_cmp_eq_f64_e32 vcc_lo, 0, v[1:2]
	v_cmp_eq_f64_e64 s0, 0, v[3:4]
	s_load_dwordx2 s[2:3], s[4:5], 0x68
	v_lshlrev_b64 v[21:22], 6, v[21:22]
	v_mul_f64 v[13:14], v[29:30], -v[7:8]
	v_mul_f64 v[15:16], v[5:6], v[29:30]
	v_mul_f64 v[29:30], v[25:26], -v[7:8]
	v_mul_f64 v[25:26], v[5:6], v[25:26]
	;; [unrolled: 2-line block ×4, first 2 shown]
	s_and_b32 s0, vcc_lo, s0
	v_fma_f64 v[17:18], v[5:6], v[9:10], v[13:14]
	v_fma_f64 v[19:20], v[7:8], v[9:10], v[15:16]
	;; [unrolled: 1-line block ×8, first 2 shown]
	s_and_saveexec_b32 s1, s0
	s_xor_b32 s0, exec_lo, s1
	s_cbranch_execz .LBB145_40
; %bb.39:
	s_waitcnt lgkmcnt(0)
	v_add_co_u32 v0, vcc_lo, s2, v21
	v_add_co_ci_u32_e64 v1, null, s3, v22, vcc_lo
                                        ; implicit-def: $vgpr21_vgpr22
	global_store_dwordx4 v[0:1], v[17:20], off
	global_store_dwordx4 v[0:1], v[13:16], off offset:16
	global_store_dwordx4 v[0:1], v[9:12], off offset:32
	;; [unrolled: 1-line block ×3, first 2 shown]
                                        ; implicit-def: $vgpr3_vgpr4
                                        ; implicit-def: $vgpr17_vgpr18
                                        ; implicit-def: $vgpr13_vgpr14
                                        ; implicit-def: $vgpr9_vgpr10
                                        ; implicit-def: $vgpr5_vgpr6
.LBB145_40:
	s_andn2_saveexec_b32 s0, s0
	s_cbranch_execz .LBB145_8
; %bb.41:
	s_waitcnt lgkmcnt(0)
	v_add_co_u32 v37, vcc_lo, s2, v21
	v_add_co_ci_u32_e64 v38, null, s3, v22, vcc_lo
	s_clause 0x3
	global_load_dwordx4 v[21:24], v[37:38], off
	global_load_dwordx4 v[25:28], v[37:38], off offset:16
	global_load_dwordx4 v[29:32], v[37:38], off offset:32
	;; [unrolled: 1-line block ×3, first 2 shown]
	s_waitcnt vmcnt(3)
	v_fma_f64 v[17:18], v[1:2], v[21:22], v[17:18]
	v_fma_f64 v[19:20], v[3:4], v[21:22], v[19:20]
	s_waitcnt vmcnt(2)
	v_fma_f64 v[13:14], v[1:2], v[25:26], v[13:14]
	v_fma_f64 v[15:16], v[3:4], v[25:26], v[15:16]
	;; [unrolled: 3-line block ×4, first 2 shown]
	v_fma_f64 v[5:6], -v[3:4], v[23:24], v[17:18]
	v_fma_f64 v[7:8], v[1:2], v[23:24], v[19:20]
	v_fma_f64 v[9:10], -v[3:4], v[27:28], v[13:14]
	v_fma_f64 v[11:12], v[1:2], v[27:28], v[15:16]
	v_fma_f64 v[13:14], -v[3:4], v[31:32], v[21:22]
	v_fma_f64 v[15:16], v[1:2], v[31:32], v[25:26]
	v_fma_f64 v[17:18], -v[3:4], v[35:36], v[29:30]
	v_fma_f64 v[19:20], v[1:2], v[35:36], v[33:34]
	global_store_dwordx4 v[37:38], v[5:8], off
	global_store_dwordx4 v[37:38], v[9:12], off offset:16
	global_store_dwordx4 v[37:38], v[13:16], off offset:32
	;; [unrolled: 1-line block ×3, first 2 shown]
	s_endpgm
	.section	.rodata,"a",@progbits
	.p2align	6, 0x0
	.amdhsa_kernel _ZN9rocsparseL18bsrxmvn_4x4_kernelILj128ELj4E21rocsparse_complex_numIdElldS2_S2_EEvT3_20rocsparse_direction_NS_24const_host_device_scalarIT1_EES3_PKS3_PKT2_SC_S9_PKT4_PKT5_S7_PT6_21rocsparse_index_base_b
		.amdhsa_group_segment_fixed_size 0
		.amdhsa_private_segment_fixed_size 0
		.amdhsa_kernarg_size 120
		.amdhsa_user_sgpr_count 6
		.amdhsa_user_sgpr_private_segment_buffer 1
		.amdhsa_user_sgpr_dispatch_ptr 0
		.amdhsa_user_sgpr_queue_ptr 0
		.amdhsa_user_sgpr_kernarg_segment_ptr 1
		.amdhsa_user_sgpr_dispatch_id 0
		.amdhsa_user_sgpr_flat_scratch_init 0
		.amdhsa_user_sgpr_private_segment_size 0
		.amdhsa_wavefront_size32 1
		.amdhsa_uses_dynamic_stack 0
		.amdhsa_system_sgpr_private_segment_wavefront_offset 0
		.amdhsa_system_sgpr_workgroup_id_x 1
		.amdhsa_system_sgpr_workgroup_id_y 0
		.amdhsa_system_sgpr_workgroup_id_z 0
		.amdhsa_system_sgpr_workgroup_info 0
		.amdhsa_system_vgpr_workitem_id 0
		.amdhsa_next_free_vgpr 159
		.amdhsa_next_free_sgpr 16
		.amdhsa_reserve_vcc 1
		.amdhsa_reserve_flat_scratch 0
		.amdhsa_float_round_mode_32 0
		.amdhsa_float_round_mode_16_64 0
		.amdhsa_float_denorm_mode_32 3
		.amdhsa_float_denorm_mode_16_64 3
		.amdhsa_dx10_clamp 1
		.amdhsa_ieee_mode 1
		.amdhsa_fp16_overflow 0
		.amdhsa_workgroup_processor_mode 1
		.amdhsa_memory_ordered 1
		.amdhsa_forward_progress 1
		.amdhsa_shared_vgpr_count 0
		.amdhsa_exception_fp_ieee_invalid_op 0
		.amdhsa_exception_fp_denorm_src 0
		.amdhsa_exception_fp_ieee_div_zero 0
		.amdhsa_exception_fp_ieee_overflow 0
		.amdhsa_exception_fp_ieee_underflow 0
		.amdhsa_exception_fp_ieee_inexact 0
		.amdhsa_exception_int_div_zero 0
	.end_amdhsa_kernel
	.section	.text._ZN9rocsparseL18bsrxmvn_4x4_kernelILj128ELj4E21rocsparse_complex_numIdElldS2_S2_EEvT3_20rocsparse_direction_NS_24const_host_device_scalarIT1_EES3_PKS3_PKT2_SC_S9_PKT4_PKT5_S7_PT6_21rocsparse_index_base_b,"axG",@progbits,_ZN9rocsparseL18bsrxmvn_4x4_kernelILj128ELj4E21rocsparse_complex_numIdElldS2_S2_EEvT3_20rocsparse_direction_NS_24const_host_device_scalarIT1_EES3_PKS3_PKT2_SC_S9_PKT4_PKT5_S7_PT6_21rocsparse_index_base_b,comdat
.Lfunc_end145:
	.size	_ZN9rocsparseL18bsrxmvn_4x4_kernelILj128ELj4E21rocsparse_complex_numIdElldS2_S2_EEvT3_20rocsparse_direction_NS_24const_host_device_scalarIT1_EES3_PKS3_PKT2_SC_S9_PKT4_PKT5_S7_PT6_21rocsparse_index_base_b, .Lfunc_end145-_ZN9rocsparseL18bsrxmvn_4x4_kernelILj128ELj4E21rocsparse_complex_numIdElldS2_S2_EEvT3_20rocsparse_direction_NS_24const_host_device_scalarIT1_EES3_PKS3_PKT2_SC_S9_PKT4_PKT5_S7_PT6_21rocsparse_index_base_b
                                        ; -- End function
	.set _ZN9rocsparseL18bsrxmvn_4x4_kernelILj128ELj4E21rocsparse_complex_numIdElldS2_S2_EEvT3_20rocsparse_direction_NS_24const_host_device_scalarIT1_EES3_PKS3_PKT2_SC_S9_PKT4_PKT5_S7_PT6_21rocsparse_index_base_b.num_vgpr, 159
	.set _ZN9rocsparseL18bsrxmvn_4x4_kernelILj128ELj4E21rocsparse_complex_numIdElldS2_S2_EEvT3_20rocsparse_direction_NS_24const_host_device_scalarIT1_EES3_PKS3_PKT2_SC_S9_PKT4_PKT5_S7_PT6_21rocsparse_index_base_b.num_agpr, 0
	.set _ZN9rocsparseL18bsrxmvn_4x4_kernelILj128ELj4E21rocsparse_complex_numIdElldS2_S2_EEvT3_20rocsparse_direction_NS_24const_host_device_scalarIT1_EES3_PKS3_PKT2_SC_S9_PKT4_PKT5_S7_PT6_21rocsparse_index_base_b.numbered_sgpr, 16
	.set _ZN9rocsparseL18bsrxmvn_4x4_kernelILj128ELj4E21rocsparse_complex_numIdElldS2_S2_EEvT3_20rocsparse_direction_NS_24const_host_device_scalarIT1_EES3_PKS3_PKT2_SC_S9_PKT4_PKT5_S7_PT6_21rocsparse_index_base_b.num_named_barrier, 0
	.set _ZN9rocsparseL18bsrxmvn_4x4_kernelILj128ELj4E21rocsparse_complex_numIdElldS2_S2_EEvT3_20rocsparse_direction_NS_24const_host_device_scalarIT1_EES3_PKS3_PKT2_SC_S9_PKT4_PKT5_S7_PT6_21rocsparse_index_base_b.private_seg_size, 0
	.set _ZN9rocsparseL18bsrxmvn_4x4_kernelILj128ELj4E21rocsparse_complex_numIdElldS2_S2_EEvT3_20rocsparse_direction_NS_24const_host_device_scalarIT1_EES3_PKS3_PKT2_SC_S9_PKT4_PKT5_S7_PT6_21rocsparse_index_base_b.uses_vcc, 1
	.set _ZN9rocsparseL18bsrxmvn_4x4_kernelILj128ELj4E21rocsparse_complex_numIdElldS2_S2_EEvT3_20rocsparse_direction_NS_24const_host_device_scalarIT1_EES3_PKS3_PKT2_SC_S9_PKT4_PKT5_S7_PT6_21rocsparse_index_base_b.uses_flat_scratch, 0
	.set _ZN9rocsparseL18bsrxmvn_4x4_kernelILj128ELj4E21rocsparse_complex_numIdElldS2_S2_EEvT3_20rocsparse_direction_NS_24const_host_device_scalarIT1_EES3_PKS3_PKT2_SC_S9_PKT4_PKT5_S7_PT6_21rocsparse_index_base_b.has_dyn_sized_stack, 0
	.set _ZN9rocsparseL18bsrxmvn_4x4_kernelILj128ELj4E21rocsparse_complex_numIdElldS2_S2_EEvT3_20rocsparse_direction_NS_24const_host_device_scalarIT1_EES3_PKS3_PKT2_SC_S9_PKT4_PKT5_S7_PT6_21rocsparse_index_base_b.has_recursion, 0
	.set _ZN9rocsparseL18bsrxmvn_4x4_kernelILj128ELj4E21rocsparse_complex_numIdElldS2_S2_EEvT3_20rocsparse_direction_NS_24const_host_device_scalarIT1_EES3_PKS3_PKT2_SC_S9_PKT4_PKT5_S7_PT6_21rocsparse_index_base_b.has_indirect_call, 0
	.section	.AMDGPU.csdata,"",@progbits
; Kernel info:
; codeLenInByte = 10332
; TotalNumSgprs: 18
; NumVgprs: 159
; ScratchSize: 0
; MemoryBound: 0
; FloatMode: 240
; IeeeMode: 1
; LDSByteSize: 0 bytes/workgroup (compile time only)
; SGPRBlocks: 0
; VGPRBlocks: 19
; NumSGPRsForWavesPerEU: 18
; NumVGPRsForWavesPerEU: 159
; Occupancy: 6
; WaveLimiterHint : 1
; COMPUTE_PGM_RSRC2:SCRATCH_EN: 0
; COMPUTE_PGM_RSRC2:USER_SGPR: 6
; COMPUTE_PGM_RSRC2:TRAP_HANDLER: 0
; COMPUTE_PGM_RSRC2:TGID_X_EN: 1
; COMPUTE_PGM_RSRC2:TGID_Y_EN: 0
; COMPUTE_PGM_RSRC2:TGID_Z_EN: 0
; COMPUTE_PGM_RSRC2:TIDIG_COMP_CNT: 0
	.section	.text._ZN9rocsparseL18bsrxmvn_4x4_kernelILj128ELj8E21rocsparse_complex_numIdElldS2_S2_EEvT3_20rocsparse_direction_NS_24const_host_device_scalarIT1_EES3_PKS3_PKT2_SC_S9_PKT4_PKT5_S7_PT6_21rocsparse_index_base_b,"axG",@progbits,_ZN9rocsparseL18bsrxmvn_4x4_kernelILj128ELj8E21rocsparse_complex_numIdElldS2_S2_EEvT3_20rocsparse_direction_NS_24const_host_device_scalarIT1_EES3_PKS3_PKT2_SC_S9_PKT4_PKT5_S7_PT6_21rocsparse_index_base_b,comdat
	.globl	_ZN9rocsparseL18bsrxmvn_4x4_kernelILj128ELj8E21rocsparse_complex_numIdElldS2_S2_EEvT3_20rocsparse_direction_NS_24const_host_device_scalarIT1_EES3_PKS3_PKT2_SC_S9_PKT4_PKT5_S7_PT6_21rocsparse_index_base_b ; -- Begin function _ZN9rocsparseL18bsrxmvn_4x4_kernelILj128ELj8E21rocsparse_complex_numIdElldS2_S2_EEvT3_20rocsparse_direction_NS_24const_host_device_scalarIT1_EES3_PKS3_PKT2_SC_S9_PKT4_PKT5_S7_PT6_21rocsparse_index_base_b
	.p2align	8
	.type	_ZN9rocsparseL18bsrxmvn_4x4_kernelILj128ELj8E21rocsparse_complex_numIdElldS2_S2_EEvT3_20rocsparse_direction_NS_24const_host_device_scalarIT1_EES3_PKS3_PKT2_SC_S9_PKT4_PKT5_S7_PT6_21rocsparse_index_base_b,@function
_ZN9rocsparseL18bsrxmvn_4x4_kernelILj128ELj8E21rocsparse_complex_numIdElldS2_S2_EEvT3_20rocsparse_direction_NS_24const_host_device_scalarIT1_EES3_PKS3_PKT2_SC_S9_PKT4_PKT5_S7_PT6_21rocsparse_index_base_b: ; @_ZN9rocsparseL18bsrxmvn_4x4_kernelILj128ELj8E21rocsparse_complex_numIdElldS2_S2_EEvT3_20rocsparse_direction_NS_24const_host_device_scalarIT1_EES3_PKS3_PKT2_SC_S9_PKT4_PKT5_S7_PT6_21rocsparse_index_base_b
; %bb.0:
	s_clause 0x1
	s_load_dwordx2 s[2:3], s[4:5], 0x70
	s_load_dwordx2 s[0:1], s[4:5], 0x10
	s_add_u32 s7, s4, 16
	s_addc_u32 s10, s5, 0
	s_add_u32 s11, s4, 0x58
	s_addc_u32 s12, s5, 0
	s_load_dwordx2 s[8:9], s[4:5], 0x58
	s_waitcnt lgkmcnt(0)
	s_bitcmp1_b32 s3, 0
	s_cselect_b32 s0, s7, s0
	s_cselect_b32 s1, s10, s1
	v_mov_b32_e32 v1, s0
	v_mov_b32_e32 v2, s1
	s_cselect_b32 s0, s11, s8
	s_cselect_b32 s1, s12, s9
	flat_load_dwordx4 v[5:8], v[1:2]
	v_mov_b32_e32 v1, s0
	v_mov_b32_e32 v2, s1
	flat_load_dwordx4 v[1:4], v[1:2]
	s_waitcnt vmcnt(1) lgkmcnt(1)
	v_cmp_eq_f64_e32 vcc_lo, 0, v[5:6]
	v_cmp_eq_f64_e64 s0, 0, v[7:8]
	s_and_b32 s3, vcc_lo, s0
	s_mov_b32 s0, -1
	s_and_saveexec_b32 s1, s3
	s_cbranch_execz .LBB146_2
; %bb.1:
	s_waitcnt vmcnt(0) lgkmcnt(0)
	v_cmp_neq_f64_e32 vcc_lo, 1.0, v[1:2]
	v_cmp_neq_f64_e64 s0, 0, v[3:4]
	s_or_b32 s0, vcc_lo, s0
	s_orn2_b32 s0, s0, exec_lo
.LBB146_2:
	s_or_b32 exec_lo, exec_lo, s1
	s_and_saveexec_b32 s1, s0
	s_cbranch_execz .LBB146_8
; %bb.3:
	s_load_dwordx2 s[0:1], s[4:5], 0x28
	v_lshrrev_b32_e32 v9, 3, v0
	v_mov_b32_e32 v10, 0
	v_lshl_or_b32 v9, s6, 4, v9
	s_waitcnt lgkmcnt(0)
	s_cmp_lg_u64 s[0:1], 0
	s_cbranch_scc0 .LBB146_9
; %bb.4:
	s_load_dwordx2 s[6:7], s[4:5], 0x20
                                        ; implicit-def: $vgpr53_vgpr54
                                        ; implicit-def: $vgpr55_vgpr56
	s_waitcnt lgkmcnt(0)
	v_cmp_gt_i64_e32 vcc_lo, s[6:7], v[9:10]
	s_mov_b32 s7, 0
	s_mov_b32 s6, 0
	s_and_saveexec_b32 s3, vcc_lo
	s_xor_b32 s8, exec_lo, s3
	s_cbranch_execz .LBB146_6
; %bb.5:
	v_lshlrev_b64 v[11:12], 3, v[9:10]
	s_mov_b32 s3, 0
	s_mov_b32 s6, exec_lo
	v_mov_b32_e32 v56, s3
	v_mov_b32_e32 v55, s2
	v_add_co_u32 v11, vcc_lo, s0, v11
	v_add_co_ci_u32_e64 v12, null, s1, v12, vcc_lo
	global_load_dwordx2 v[11:12], v[11:12], off
	s_waitcnt vmcnt(0)
	v_sub_co_u32 v53, vcc_lo, v11, s2
	v_subrev_co_ci_u32_e64 v54, null, 0, v12, vcc_lo
.LBB146_6:
	s_or_b32 exec_lo, exec_lo, s8
	s_and_b32 vcc_lo, exec_lo, s7
	s_cbranch_vccnz .LBB146_10
.LBB146_7:
	s_and_b32 exec_lo, exec_lo, s6
	s_cbranch_execnz .LBB146_13
.LBB146_8:
	s_endpgm
.LBB146_9:
	s_mov_b32 s6, 0
                                        ; implicit-def: $vgpr53_vgpr54
                                        ; implicit-def: $vgpr55_vgpr56
	s_cbranch_execz .LBB146_7
.LBB146_10:
	s_load_dwordx2 s[0:1], s[4:5], 0x0
	s_waitcnt lgkmcnt(0)
	v_cmp_gt_i64_e32 vcc_lo, s[0:1], v[9:10]
	s_and_saveexec_b32 s0, vcc_lo
; %bb.11:
	s_mov_b32 s3, 0
	s_or_b32 s6, s6, exec_lo
; %bb.12:
	s_or_b32 exec_lo, exec_lo, s0
	v_mov_b32_e32 v56, s3
	v_mov_b32_e32 v54, v10
	;; [unrolled: 1-line block ×4, first 2 shown]
	s_and_b32 exec_lo, exec_lo, s6
	s_cbranch_execz .LBB146_8
.LBB146_13:
	s_load_dwordx8 s[8:15], s[4:5], 0x30
	v_lshlrev_b64 v[9:10], 3, v[53:54]
	v_and_b32_e32 v0, 7, v0
	s_clause 0x1
	s_load_dword s1, s[4:5], 0x8
	s_load_dwordx2 s[2:3], s[4:5], 0x50
	s_waitcnt lgkmcnt(0)
	v_add_co_u32 v11, vcc_lo, s8, v9
	v_add_co_ci_u32_e64 v12, null, s9, v10, vcc_lo
	v_add_co_u32 v9, vcc_lo, s10, v9
	v_add_co_ci_u32_e64 v10, null, s11, v10, vcc_lo
	;; [unrolled: 2-line block ×3, first 2 shown]
	global_load_dwordx2 v[79:80], v[11:12], off
	s_cmp_eq_u64 s[10:11], 0
	s_cselect_b32 vcc_lo, -1, 0
	s_cmp_eq_u32 s1, 1
	v_cndmask_b32_e32 v10, v10, v14, vcc_lo
	v_cndmask_b32_e32 v9, v9, v13, vcc_lo
	global_load_dwordx2 v[9:10], v[9:10], off
	s_waitcnt vmcnt(1)
	v_sub_co_u32 v11, vcc_lo, v79, v55
	v_sub_co_ci_u32_e64 v12, null, v80, v56, vcc_lo
	v_add_co_u32 v57, vcc_lo, v11, v0
	v_add_co_ci_u32_e64 v58, null, 0, v12, vcc_lo
	s_waitcnt vmcnt(0)
	v_sub_co_u32 v59, vcc_lo, v9, v55
	v_sub_co_ci_u32_e64 v60, null, v10, v56, vcc_lo
	v_lshlrev_b64 v[9:10], 7, v[57:58]
	v_cmp_lt_i64_e64 s0, v[57:58], v[59:60]
	v_add_co_u32 v61, vcc_lo, s14, v9
	v_add_co_ci_u32_e64 v62, null, s15, v10, vcc_lo
	s_cbranch_scc1 .LBB146_25
; %bb.14:
	v_mov_b32_e32 v63, 0
	v_mov_b32_e32 v67, 0
	v_mov_b32_e32 v69, 0
	v_mov_b32_e32 v77, 0
	v_mov_b32_e32 v75, 0
	v_mov_b32_e32 v73, 0
	v_mov_b32_e32 v71, 0
	v_mov_b32_e32 v65, 0
	v_mov_b32_e32 v64, 0
	v_mov_b32_e32 v68, 0
	v_mov_b32_e32 v70, 0
	v_mov_b32_e32 v78, 0
	v_mov_b32_e32 v76, 0
	v_mov_b32_e32 v74, 0
	v_mov_b32_e32 v72, 0
	v_mov_b32_e32 v66, 0
	s_and_saveexec_b32 s6, s0
	s_cbranch_execz .LBB146_24
; %bb.15:
	v_or_b32_e32 v9, 8, v0
	v_not_b32_e32 v13, v79
	v_not_b32_e32 v11, v80
	v_mov_b32_e32 v65, 0
	v_mov_b32_e32 v71, 0
	v_sub_co_u32 v9, vcc_lo, v9, v55
	v_sub_co_ci_u32_e64 v10, null, 0, v56, vcc_lo
	v_mov_b32_e32 v73, 0
	v_add_co_u32 v9, vcc_lo, v9, v79
	v_add_co_ci_u32_e64 v10, null, v10, v80, vcc_lo
	v_sub_co_u32 v14, vcc_lo, v55, v0
	v_subrev_co_ci_u32_e64 v15, null, 0, v56, vcc_lo
	v_cmp_gt_i64_e32 vcc_lo, v[9:10], v[59:60]
	v_add_co_u32 v13, s1, v14, v13
	v_add_co_ci_u32_e64 v11, null, v15, v11, s1
	v_mov_b32_e32 v75, 0
	v_cndmask_b32_e32 v9, v59, v9, vcc_lo
	v_cndmask_b32_e32 v10, v60, v10, vcc_lo
	v_mov_b32_e32 v77, 0
	v_mov_b32_e32 v69, 0
	;; [unrolled: 1-line block ×3, first 2 shown]
	v_add_co_u32 v9, vcc_lo, v13, v9
	v_mov_b32_e32 v63, 0
	v_mov_b32_e32 v84, v62
	;; [unrolled: 1-line block ×8, first 2 shown]
	v_add_co_ci_u32_e64 v10, null, v11, v10, vcc_lo
	v_and_b32_e32 v11, 24, v9
	v_mov_b32_e32 v78, 0
	v_mov_b32_e32 v70, 0
	;; [unrolled: 1-line block ×6, first 2 shown]
	s_mov_b32 s7, exec_lo
	v_cmpx_ne_u64_e32 24, v[11:12]
	s_cbranch_execz .LBB146_19
; %bb.16:
	v_lshrrev_b32_e32 v13, 3, v9
	v_lshlrev_b64 v[11:12], 3, v[57:58]
	v_mov_b32_e32 v63, 0
	v_mov_b32_e32 v82, v58
	;; [unrolled: 1-line block ×3, first 2 shown]
	v_add_nc_u32_e32 v13, 1, v13
	v_mov_b32_e32 v69, 0
	v_add_co_u32 v11, vcc_lo, s12, v11
	v_mov_b32_e32 v77, 0
	v_and_b32_e32 v13, 3, v13
	v_mov_b32_e32 v75, 0
	v_mov_b32_e32 v73, 0
	;; [unrolled: 1-line block ×4, first 2 shown]
	v_sub_co_u32 v13, s1, 0, v13
	v_mov_b32_e32 v84, v62
	v_mov_b32_e32 v64, 0
	;; [unrolled: 1-line block ×5, first 2 shown]
	v_add_co_ci_u32_e64 v12, null, s13, v12, vcc_lo
	v_sub_co_ci_u32_e64 v14, null, 0, 0, s1
	v_mov_b32_e32 v78, 0
	v_mov_b32_e32 v76, 0
	;; [unrolled: 1-line block ×6, first 2 shown]
	s_mov_b32 s8, 0
.LBB146_17:                             ; =>This Inner Loop Header: Depth=1
	global_load_dwordx2 v[43:44], v[11:12], off
	s_clause 0x6
	global_load_dwordx4 v[15:18], v[83:84], off offset:48
	global_load_dwordx4 v[19:22], v[83:84], off offset:32
	;; [unrolled: 1-line block ×3, first 2 shown]
	global_load_dwordx4 v[27:30], v[83:84], off
	global_load_dwordx4 v[31:34], v[83:84], off offset:112
	global_load_dwordx4 v[35:38], v[83:84], off offset:96
	;; [unrolled: 1-line block ×3, first 2 shown]
	v_add_co_u32 v11, s1, v11, 64
	v_add_co_ci_u32_e64 v12, null, 0, v12, s1
	s_waitcnt vmcnt(7)
	v_sub_co_u32 v43, vcc_lo, v43, v55
	v_sub_co_ci_u32_e64 v44, null, v44, v56, vcc_lo
	v_lshlrev_b64 v[43:44], 6, v[43:44]
	v_add_co_u32 v51, vcc_lo, s2, v43
	v_add_co_ci_u32_e64 v52, null, s3, v44, vcc_lo
	s_clause 0x1
	global_load_dwordx4 v[43:46], v[51:52], off
	global_load_dwordx4 v[47:50], v[51:52], off offset:16
	global_load_dwordx4 v[85:88], v[83:84], off offset:80
	s_clause 0x1
	global_load_dwordx4 v[89:92], v[51:52], off offset:32
	global_load_dwordx4 v[93:96], v[51:52], off offset:48
	v_add_co_u32 v83, vcc_lo, 0x400, v83
	v_add_co_ci_u32_e64 v84, null, 0, v84, vcc_lo
	v_add_co_u32 v13, vcc_lo, v13, 1
	v_add_co_ci_u32_e64 v14, null, 0, v14, vcc_lo
	;; [unrolled: 2-line block ×3, first 2 shown]
	v_cmp_eq_u64_e32 vcc_lo, 0, v[13:14]
	s_or_b32 s8, vcc_lo, s8
	s_waitcnt vmcnt(4)
	v_fma_f64 v[51:52], v[27:28], v[43:44], v[67:68]
	v_fma_f64 v[63:64], v[43:44], 0, v[63:64]
	v_fma_f64 v[67:68], v[19:20], v[43:44], v[77:78]
	v_fma_f64 v[69:70], v[43:44], 0, v[69:70]
	v_fma_f64 v[73:74], v[39:40], v[43:44], v[73:74]
	v_fma_f64 v[75:76], v[43:44], 0, v[75:76]
	v_fma_f64 v[65:66], v[35:36], v[43:44], v[65:66]
	v_fma_f64 v[43:44], v[43:44], 0, v[71:72]
	v_fma_f64 v[51:52], 0x80000000, v[45:46], v[51:52]
	v_fma_f64 v[27:28], v[27:28], v[45:46], v[63:64]
	v_fma_f64 v[63:64], 0x80000000, v[45:46], v[67:68]
	v_fma_f64 v[19:20], v[19:20], v[45:46], v[69:70]
	v_fma_f64 v[67:68], 0x80000000, v[45:46], v[73:74]
	v_fma_f64 v[39:40], v[39:40], v[45:46], v[75:76]
	v_fma_f64 v[65:66], 0x80000000, v[45:46], v[65:66]
	v_fma_f64 v[35:36], v[35:36], v[45:46], v[43:44]
	s_waitcnt vmcnt(3)
	v_fma_f64 v[43:44], v[29:30], v[47:48], v[51:52]
	v_fma_f64 v[27:28], v[47:48], 0, v[27:28]
	v_fma_f64 v[45:46], v[21:22], v[47:48], v[63:64]
	v_fma_f64 v[19:20], v[47:48], 0, v[19:20]
	v_fma_f64 v[51:52], v[41:42], v[47:48], v[67:68]
	v_fma_f64 v[39:40], v[47:48], 0, v[39:40]
	v_fma_f64 v[63:64], v[37:38], v[47:48], v[65:66]
	v_fma_f64 v[35:36], v[47:48], 0, v[35:36]
	v_fma_f64 v[43:44], 0x80000000, v[49:50], v[43:44]
	v_fma_f64 v[27:28], v[29:30], v[49:50], v[27:28]
	v_fma_f64 v[29:30], 0x80000000, v[49:50], v[45:46]
	v_fma_f64 v[19:20], v[21:22], v[49:50], v[19:20]
	v_fma_f64 v[21:22], 0x80000000, v[49:50], v[51:52]
	v_fma_f64 v[39:40], v[41:42], v[49:50], v[39:40]
	v_fma_f64 v[41:42], 0x80000000, v[49:50], v[63:64]
	v_fma_f64 v[35:36], v[37:38], v[49:50], v[35:36]
	;; [unrolled: 17-line block ×4, first 2 shown]
	s_andn2_b32 exec_lo, exec_lo, s8
	s_cbranch_execnz .LBB146_17
; %bb.18:
	s_or_b32 exec_lo, exec_lo, s8
.LBB146_19:
	s_or_b32 exec_lo, exec_lo, s7
	s_mov_b32 s7, exec_lo
	v_cmpx_lt_u64_e32 23, v[9:10]
	s_cbranch_execz .LBB146_23
; %bb.20:
	v_lshlrev_b64 v[9:10], 3, v[81:82]
	s_mov_b32 s8, 0
	v_add_co_u32 v9, vcc_lo, s12, v9
	v_add_co_ci_u32_e64 v10, null, s13, v10, vcc_lo
	v_add_co_u32 v85, vcc_lo, 0x80, v9
	v_add_co_ci_u32_e64 v86, null, 0, v10, vcc_lo
.LBB146_21:                             ; =>This Inner Loop Header: Depth=1
	s_clause 0x1
	global_load_dwordx2 v[89:90], v[85:86], off offset:-128
	global_load_dwordx2 v[143:144], v[85:86], off offset:-64
	s_clause 0xd
	global_load_dwordx4 v[45:48], v[83:84], off offset:48
	global_load_dwordx4 v[91:94], v[83:84], off offset:32
	;; [unrolled: 1-line block ×3, first 2 shown]
	global_load_dwordx4 v[99:102], v[83:84], off
	global_load_dwordx4 v[37:40], v[83:84], off offset:112
	global_load_dwordx4 v[103:106], v[83:84], off offset:96
	global_load_dwordx4 v[41:44], v[83:84], off offset:80
	global_load_dwordx4 v[107:110], v[83:84], off offset:64
	global_load_dwordx4 v[9:12], v[83:84], off offset:1072
	global_load_dwordx4 v[25:28], v[83:84], off offset:1056
	global_load_dwordx4 v[17:20], v[83:84], off offset:1040
	global_load_dwordx4 v[29:32], v[83:84], off offset:1024
	global_load_dwordx4 v[13:16], v[83:84], off offset:1136
	global_load_dwordx4 v[21:24], v[83:84], off offset:1120
	v_add_co_u32 v87, vcc_lo, 0x800, v83
	v_add_co_ci_u32_e64 v88, null, 0, v84, vcc_lo
	s_clause 0x1
	global_load_dwordx4 v[111:114], v[83:84], off offset:1104
	global_load_dwordx4 v[115:118], v[83:84], off offset:1088
	s_clause 0x1
	global_load_dwordx2 v[151:152], v[85:86], off
	global_load_dwordx2 v[153:154], v[85:86], off offset:64
	s_clause 0x7
	global_load_dwordx4 v[33:36], v[87:88], off offset:48
	global_load_dwordx4 v[119:122], v[87:88], off offset:32
	global_load_dwordx4 v[123:126], v[87:88], off
	global_load_dwordx4 v[127:130], v[87:88], off offset:16
	global_load_dwordx4 v[49:52], v[87:88], off offset:112
	;; [unrolled: 1-line block ×5, first 2 shown]
	v_add_co_u32 v83, s1, 0x1000, v83
	v_add_co_ci_u32_e64 v84, null, 0, v84, s1
	s_waitcnt vmcnt(27)
	v_sub_co_u32 v89, vcc_lo, v89, v55
	v_sub_co_ci_u32_e64 v90, null, v90, v56, vcc_lo
	s_waitcnt vmcnt(26)
	v_sub_co_u32 v143, vcc_lo, v143, v55
	v_sub_co_ci_u32_e64 v144, null, v144, v56, vcc_lo
	v_lshlrev_b64 v[89:90], 6, v[89:90]
	v_lshlrev_b64 v[143:144], 6, v[143:144]
	v_add_co_u32 v89, vcc_lo, s2, v89
	v_add_co_ci_u32_e64 v90, null, s3, v90, vcc_lo
	v_add_co_u32 v155, vcc_lo, s2, v143
	v_add_co_ci_u32_e64 v156, null, s3, v144, vcc_lo
	s_clause 0x1
	global_load_dwordx4 v[143:146], v[89:90], off
	global_load_dwordx4 v[147:150], v[89:90], off offset:16
	s_waitcnt vmcnt(1)
	v_fma_f64 v[63:64], v[143:144], 0, v[63:64]
	v_fma_f64 v[75:76], v[143:144], 0, v[75:76]
	;; [unrolled: 1-line block ×11, first 2 shown]
	global_load_dwordx4 v[63:66], v[89:90], off offset:32
	v_fma_f64 v[67:68], 0x80000000, v[145:146], v[67:68]
	v_fma_f64 v[91:92], v[91:92], v[145:146], v[69:70]
	;; [unrolled: 1-line block ×5, first 2 shown]
	s_waitcnt vmcnt(1)
	v_fma_f64 v[69:70], v[147:148], 0, v[99:100]
	v_fma_f64 v[75:76], v[147:148], 0, v[75:76]
	;; [unrolled: 1-line block ×6, first 2 shown]
	global_load_dwordx4 v[67:70], v[89:90], off offset:48
	v_fma_f64 v[101:102], v[93:94], v[147:148], v[77:78]
	v_fma_f64 v[109:110], v[109:110], v[149:150], v[75:76]
	global_load_dwordx4 v[75:78], v[155:156], off offset:16
	v_fma_f64 v[93:94], v[93:94], v[149:150], v[71:72]
	global_load_dwordx4 v[71:74], v[155:156], off
	v_fma_f64 v[89:90], v[147:148], 0, v[103:104]
	v_fma_f64 v[103:104], v[105:106], v[147:148], v[107:108]
	v_fma_f64 v[107:108], 0x80000000, v[149:150], v[99:100]
	v_fma_f64 v[143:144], 0x80000000, v[149:150], v[143:144]
	v_fma_f64 v[147:148], 0x80000000, v[149:150], v[101:102]
	global_load_dwordx4 v[99:102], v[155:156], off offset:32
	v_fma_f64 v[105:106], v[105:106], v[149:150], v[89:90]
	v_fma_f64 v[103:104], 0x80000000, v[149:150], v[103:104]
	global_load_dwordx4 v[89:92], v[87:88], off offset:1072
	s_waitcnt vmcnt(5)
	v_fma_f64 v[93:94], v[63:64], 0, v[93:94]
	v_fma_f64 v[107:108], v[95:96], v[63:64], v[107:108]
	;; [unrolled: 1-line block ×9, first 2 shown]
	v_sub_co_u32 v93, vcc_lo, v151, v55
	v_sub_co_ci_u32_e64 v94, null, v152, v56, vcc_lo
	v_fma_f64 v[105:106], 0x80000000, v[65:66], v[107:108]
	v_fma_f64 v[107:108], v[95:96], v[65:66], v[145:146]
	;; [unrolled: 1-line block ×3, first 2 shown]
	v_lshlrev_b64 v[93:94], 6, v[93:94]
	v_fma_f64 v[41:42], v[41:42], v[65:66], v[109:110]
	v_fma_f64 v[143:144], 0x80000000, v[65:66], v[143:144]
	;; [unrolled: 1-line block ×4, first 2 shown]
	global_load_dwordx4 v[63:66], v[87:88], off offset:1056
	v_add_co_u32 v147, vcc_lo, s2, v93
	v_add_co_ci_u32_e64 v148, null, s3, v94, vcc_lo
	global_load_dwordx4 v[93:96], v[155:156], off offset:48
	s_waitcnt vmcnt(6)
	v_fma_f64 v[45:46], v[67:68], 0, v[45:46]
	v_fma_f64 v[103:104], v[67:68], 0, v[107:108]
	;; [unrolled: 1-line block ×9, first 2 shown]
	global_load_dwordx4 v[45:48], v[147:148], off
	v_fma_f64 v[97:98], v[97:98], v[69:70], v[103:104]
	v_fma_f64 v[145:146], 0x80000000, v[69:70], v[145:146]
	;; [unrolled: 1-line block ×4, first 2 shown]
	global_load_dwordx4 v[41:44], v[147:148], off offset:16
	v_fma_f64 v[143:144], 0x80000000, v[69:70], v[143:144]
	v_fma_f64 v[109:110], v[39:40], v[69:70], v[37:38]
	;; [unrolled: 1-line block ×3, first 2 shown]
	global_load_dwordx4 v[67:70], v[147:148], off offset:32
	s_clause 0x1
	global_load_dwordx4 v[103:106], v[87:88], off offset:1024
	global_load_dwordx4 v[37:40], v[87:88], off offset:1120
	s_waitcnt vmcnt(9)
	v_fma_f64 v[149:150], v[71:72], 0, v[149:150]
	v_fma_f64 v[97:98], v[71:72], 0, v[97:98]
	;; [unrolled: 1-line block ×9, first 2 shown]
	v_sub_co_u32 v149, vcc_lo, v153, v55
	v_sub_co_ci_u32_e64 v150, null, v154, v56, vcc_lo
	v_fma_f64 v[29:30], v[29:30], v[73:74], v[97:98]
	v_fma_f64 v[97:98], 0x80000000, v[73:74], v[107:108]
	;; [unrolled: 1-line block ×7, first 2 shown]
	global_load_dwordx4 v[71:74], v[87:88], off offset:1088
	v_fma_f64 v[25:26], v[75:76], 0, v[25:26]
	v_fma_f64 v[29:30], v[75:76], 0, v[29:30]
	;; [unrolled: 1-line block ×9, first 2 shown]
	global_load_dwordx4 v[29:32], v[147:148], off offset:48
	v_lshlrev_b64 v[147:148], 6, v[149:150]
	v_fma_f64 v[149:150], v[27:28], v[77:78], v[25:26]
	v_fma_f64 v[75:76], 0x80000000, v[77:78], v[97:98]
	;; [unrolled: 1-line block ×5, first 2 shown]
	v_add_co_u32 v147, vcc_lo, s2, v147
	v_add_co_ci_u32_e64 v148, null, s3, v148, vcc_lo
	v_fma_f64 v[115:116], 0x80000000, v[77:78], v[143:144]
	v_fma_f64 v[77:78], v[23:24], v[77:78], v[21:22]
	v_add_co_u32 v81, vcc_lo, v81, 32
	s_clause 0x1
	global_load_dwordx4 v[25:28], v[147:148], off
	global_load_dwordx4 v[21:24], v[147:148], off offset:16
	v_add_co_ci_u32_e64 v82, null, 0, v82, vcc_lo
	v_add_co_u32 v85, vcc_lo, 0x100, v85
	s_waitcnt vmcnt(12)
	v_fma_f64 v[143:144], v[99:100], 0, v[145:146]
	v_add_co_ci_u32_e64 v86, null, 0, v86, vcc_lo
	v_fma_f64 v[145:146], v[99:100], 0, v[149:150]
	v_fma_f64 v[117:118], v[17:18], v[99:100], v[75:76]
	;; [unrolled: 1-line block ×5, first 2 shown]
	v_cmp_ge_i64_e32 vcc_lo, v[81:82], v[59:60]
	v_fma_f64 v[115:116], v[13:14], v[99:100], v[115:116]
	v_fma_f64 v[99:100], v[99:100], 0, v[77:78]
	global_load_dwordx4 v[75:78], v[87:88], off offset:1040
	s_or_b32 s8, vcc_lo, s8
	v_fma_f64 v[17:18], v[17:18], v[101:102], v[143:144]
	v_fma_f64 v[9:10], v[9:10], v[101:102], v[145:146]
	;; [unrolled: 1-line block ×8, first 2 shown]
	s_clause 0x1
	global_load_dwordx4 v[97:100], v[87:88], off offset:1136
	global_load_dwordx4 v[107:110], v[87:88], off offset:1104
	;; [unrolled: 1-line block ×3, first 2 shown]
	s_waitcnt vmcnt(13)
	v_fma_f64 v[87:88], v[19:20], v[93:94], v[149:150]
	v_fma_f64 v[17:18], v[93:94], 0, v[17:18]
	;; [unrolled: 1-line block ×16, first 2 shown]
	global_load_dwordx4 v[9:12], v[147:148], off offset:48
	s_waitcnt vmcnt(13)
	v_fma_f64 v[15:16], v[123:124], v[45:46], v[87:88]
	v_fma_f64 v[17:18], v[45:46], 0, v[17:18]
	v_fma_f64 v[19:20], v[119:120], v[45:46], v[19:20]
	v_fma_f64 v[87:88], v[45:46], 0, v[93:94]
	v_fma_f64 v[93:94], v[139:140], v[45:46], v[101:102]
	v_fma_f64 v[95:96], v[45:46], 0, v[111:112]
	v_fma_f64 v[101:102], v[131:132], v[45:46], v[113:114]
	v_fma_f64 v[13:14], v[45:46], 0, v[13:14]
	v_fma_f64 v[15:16], 0x80000000, v[47:48], v[15:16]
	v_fma_f64 v[17:18], v[123:124], v[47:48], v[17:18]
	v_fma_f64 v[19:20], 0x80000000, v[47:48], v[19:20]
	v_fma_f64 v[45:46], v[119:120], v[47:48], v[87:88]
	v_fma_f64 v[87:88], 0x80000000, v[47:48], v[93:94]
	v_fma_f64 v[93:94], v[139:140], v[47:48], v[95:96]
	v_fma_f64 v[95:96], 0x80000000, v[47:48], v[101:102]
	v_fma_f64 v[13:14], v[131:132], v[47:48], v[13:14]
	s_waitcnt vmcnt(12)
	v_fma_f64 v[15:16], v[125:126], v[41:42], v[15:16]
	v_fma_f64 v[17:18], v[41:42], 0, v[17:18]
	v_fma_f64 v[19:20], v[121:122], v[41:42], v[19:20]
	v_fma_f64 v[45:46], v[41:42], 0, v[45:46]
	v_fma_f64 v[47:48], v[141:142], v[41:42], v[87:88]
	v_fma_f64 v[87:88], v[41:42], 0, v[93:94]
	v_fma_f64 v[93:94], v[133:134], v[41:42], v[95:96]
	v_fma_f64 v[13:14], v[41:42], 0, v[13:14]
	v_fma_f64 v[15:16], 0x80000000, v[43:44], v[15:16]
	v_fma_f64 v[17:18], v[125:126], v[43:44], v[17:18]
	v_fma_f64 v[19:20], 0x80000000, v[43:44], v[19:20]
	v_fma_f64 v[41:42], v[121:122], v[43:44], v[45:46]
	v_fma_f64 v[45:46], 0x80000000, v[43:44], v[47:48]
	v_fma_f64 v[47:48], v[141:142], v[43:44], v[87:88]
	v_fma_f64 v[87:88], 0x80000000, v[43:44], v[93:94]
	v_fma_f64 v[13:14], v[133:134], v[43:44], v[13:14]
	;; [unrolled: 17-line block ×8, first 2 shown]
	s_andn2_b32 exec_lo, exec_lo, s8
	s_cbranch_execnz .LBB146_21
; %bb.22:
	s_or_b32 exec_lo, exec_lo, s8
.LBB146_23:
	s_or_b32 exec_lo, exec_lo, s7
.LBB146_24:
	s_or_b32 exec_lo, exec_lo, s6
	s_cbranch_execz .LBB146_26
	s_branch .LBB146_37
.LBB146_25:
                                        ; implicit-def: $vgpr63_vgpr64
                                        ; implicit-def: $vgpr67_vgpr68
                                        ; implicit-def: $vgpr69_vgpr70
                                        ; implicit-def: $vgpr77_vgpr78
                                        ; implicit-def: $vgpr75_vgpr76
                                        ; implicit-def: $vgpr73_vgpr74
                                        ; implicit-def: $vgpr71_vgpr72
                                        ; implicit-def: $vgpr65_vgpr66
.LBB146_26:
	v_mov_b32_e32 v63, 0
	v_mov_b32_e32 v67, 0
	;; [unrolled: 1-line block ×16, first 2 shown]
	s_and_saveexec_b32 s1, s0
	s_cbranch_execz .LBB146_36
; %bb.27:
	v_or_b32_e32 v9, 8, v0
	v_not_b32_e32 v13, v79
	v_sub_co_u32 v14, s0, v55, v0
	v_not_b32_e32 v11, v80
	v_sub_co_u32 v9, vcc_lo, v9, v55
	v_sub_co_ci_u32_e64 v10, null, 0, v56, vcc_lo
	v_subrev_co_ci_u32_e64 v15, null, 0, v56, s0
	v_add_co_u32 v9, vcc_lo, v9, v79
	v_add_co_ci_u32_e64 v10, null, v10, v80, vcc_lo
	v_add_co_u32 v13, s0, v14, v13
	v_add_co_ci_u32_e64 v11, null, v15, v11, s0
	v_cmp_gt_i64_e32 vcc_lo, v[9:10], v[59:60]
	v_mov_b32_e32 v65, 0
	v_mov_b32_e32 v71, 0
	;; [unrolled: 1-line block ×5, first 2 shown]
	v_cndmask_b32_e32 v9, v59, v9, vcc_lo
	v_cndmask_b32_e32 v10, v60, v10, vcc_lo
	v_mov_b32_e32 v69, 0
	v_mov_b32_e32 v67, 0
	;; [unrolled: 1-line block ×3, first 2 shown]
	v_add_co_u32 v9, vcc_lo, v13, v9
	v_mov_b32_e32 v12, 0
	v_mov_b32_e32 v66, 0
	;; [unrolled: 1-line block ×4, first 2 shown]
	v_add_co_ci_u32_e64 v10, null, v11, v10, vcc_lo
	v_and_b32_e32 v11, 24, v9
	v_mov_b32_e32 v76, 0
	v_mov_b32_e32 v78, 0
	;; [unrolled: 1-line block ×5, first 2 shown]
	s_mov_b32 s6, exec_lo
	v_cmpx_ne_u64_e32 24, v[11:12]
	s_cbranch_execz .LBB146_31
; %bb.28:
	v_lshrrev_b32_e32 v13, 3, v9
	v_lshlrev_b64 v[11:12], 3, v[57:58]
	v_mov_b32_e32 v63, 0
	v_mov_b32_e32 v67, 0
	;; [unrolled: 1-line block ×3, first 2 shown]
	v_add_nc_u32_e32 v13, 1, v13
	v_mov_b32_e32 v77, 0
	v_add_co_u32 v11, vcc_lo, s12, v11
	v_mov_b32_e32 v75, 0
	v_and_b32_e32 v13, 3, v13
	v_mov_b32_e32 v73, 0
	v_mov_b32_e32 v71, 0
	;; [unrolled: 1-line block ×4, first 2 shown]
	v_sub_co_u32 v13, s0, 0, v13
	v_mov_b32_e32 v68, 0
	v_mov_b32_e32 v70, 0
	v_add_co_ci_u32_e64 v12, null, s13, v12, vcc_lo
	v_mov_b32_e32 v78, 0
	v_mov_b32_e32 v76, 0
	;; [unrolled: 1-line block ×5, first 2 shown]
	v_sub_co_ci_u32_e64 v14, null, 0, 0, s0
	s_mov_b32 s7, 0
.LBB146_29:                             ; =>This Inner Loop Header: Depth=1
	global_load_dwordx2 v[23:24], v[11:12], off
	s_clause 0x1
	global_load_dwordx4 v[15:18], v[61:62], off offset:16
	global_load_dwordx4 v[19:22], v[61:62], off
	v_add_co_u32 v11, s0, v11, 64
	v_add_co_ci_u32_e64 v12, null, 0, v12, s0
	s_waitcnt vmcnt(2)
	v_sub_co_u32 v23, vcc_lo, v23, v55
	v_sub_co_ci_u32_e64 v24, null, v24, v56, vcc_lo
	v_lshlrev_b64 v[23:24], 6, v[23:24]
	v_add_co_u32 v51, vcc_lo, s2, v23
	v_add_co_ci_u32_e64 v52, null, s3, v24, vcc_lo
	s_clause 0x1
	global_load_dwordx4 v[23:26], v[51:52], off
	global_load_dwordx4 v[27:30], v[51:52], off offset:16
	s_clause 0x3
	global_load_dwordx4 v[31:34], v[61:62], off offset:32
	global_load_dwordx4 v[35:38], v[61:62], off offset:48
	;; [unrolled: 1-line block ×4, first 2 shown]
	s_clause 0x1
	global_load_dwordx4 v[47:50], v[51:52], off offset:32
	global_load_dwordx4 v[79:82], v[51:52], off offset:48
	s_clause 0x1
	global_load_dwordx4 v[83:86], v[61:62], off offset:96
	global_load_dwordx4 v[87:90], v[61:62], off offset:112
	v_add_co_u32 v61, vcc_lo, 0x400, v61
	v_add_co_ci_u32_e64 v62, null, 0, v62, vcc_lo
	v_add_co_u32 v13, vcc_lo, v13, 1
	v_add_co_ci_u32_e64 v14, null, 0, v14, vcc_lo
	;; [unrolled: 2-line block ×3, first 2 shown]
	v_cmp_eq_u64_e32 vcc_lo, 0, v[13:14]
	s_or_b32 s7, vcc_lo, s7
	s_waitcnt vmcnt(9)
	v_fma_f64 v[51:52], v[19:20], v[23:24], v[67:68]
	v_fma_f64 v[63:64], v[23:24], 0, v[63:64]
	;; [unrolled: 1-line block ×16, first 2 shown]
	s_waitcnt vmcnt(7)
	v_fma_f64 v[23:24], v[31:32], v[27:28], v[51:52]
	v_fma_f64 v[19:20], v[27:28], 0, v[19:20]
	;; [unrolled: 1-line block ×4, first 2 shown]
	s_waitcnt vmcnt(6)
	v_fma_f64 v[51:52], v[35:36], v[27:28], v[67:68]
	v_fma_f64 v[15:16], v[27:28], 0, v[15:16]
	;; [unrolled: 1-line block ×12, first 2 shown]
	s_waitcnt vmcnt(3)
	v_fma_f64 v[23:24], v[43:44], v[47:48], v[23:24]
	v_fma_f64 v[19:20], v[47:48], 0, v[19:20]
	;; [unrolled: 1-line block ×16, first 2 shown]
	s_waitcnt vmcnt(1)
	v_fma_f64 v[23:24], v[83:84], v[79:80], v[23:24]
	v_fma_f64 v[19:20], v[79:80], 0, v[19:20]
	;; [unrolled: 1-line block ×4, first 2 shown]
	s_waitcnt vmcnt(0)
	v_fma_f64 v[27:28], v[87:88], v[79:80], v[27:28]
	v_fma_f64 v[15:16], v[79:80], 0, v[15:16]
	;; [unrolled: 1-line block ×12, first 2 shown]
	s_andn2_b32 exec_lo, exec_lo, s7
	s_cbranch_execnz .LBB146_29
; %bb.30:
	s_or_b32 exec_lo, exec_lo, s7
.LBB146_31:
	s_or_b32 exec_lo, exec_lo, s6
	s_mov_b32 s6, exec_lo
	v_cmpx_lt_u64_e32 23, v[9:10]
	s_cbranch_execz .LBB146_35
; %bb.32:
	v_lshlrev_b64 v[9:10], 3, v[57:58]
	s_mov_b32 s7, 0
	v_add_co_u32 v9, vcc_lo, s12, v9
	v_add_co_ci_u32_e64 v10, null, s13, v10, vcc_lo
	v_add_co_u32 v9, vcc_lo, 0x80, v9
	v_add_co_ci_u32_e64 v10, null, 0, v10, vcc_lo
.LBB146_33:                             ; =>This Inner Loop Header: Depth=1
	s_clause 0x3
	global_load_dwordx2 v[51:52], v[9:10], off offset:-128
	global_load_dwordx2 v[119:120], v[9:10], off offset:-64
	global_load_dwordx2 v[121:122], v[9:10], off
	global_load_dwordx2 v[123:124], v[9:10], off offset:64
	s_clause 0xb
	global_load_dwordx4 v[11:14], v[61:62], off offset:48
	global_load_dwordx4 v[15:18], v[61:62], off offset:32
	;; [unrolled: 1-line block ×3, first 2 shown]
	global_load_dwordx4 v[23:26], v[61:62], off
	global_load_dwordx4 v[27:30], v[61:62], off offset:112
	global_load_dwordx4 v[31:34], v[61:62], off offset:96
	;; [unrolled: 1-line block ×8, first 2 shown]
	v_add_co_u32 v127, vcc_lo, 0x800, v61
	v_add_co_ci_u32_e64 v128, null, 0, v62, vcc_lo
	s_clause 0x7
	global_load_dwordx4 v[87:90], v[61:62], off offset:1136
	global_load_dwordx4 v[91:94], v[61:62], off offset:1120
	;; [unrolled: 1-line block ×6, first 2 shown]
	global_load_dwordx4 v[111:114], v[127:128], off
	global_load_dwordx4 v[115:118], v[127:128], off offset:16
	v_add_co_u32 v61, s0, 0x1000, v61
	v_add_co_ci_u32_e64 v62, null, 0, v62, s0
	s_waitcnt vmcnt(23)
	v_sub_co_u32 v51, vcc_lo, v51, v55
	v_sub_co_ci_u32_e64 v52, null, v52, v56, vcc_lo
	s_waitcnt vmcnt(22)
	v_sub_co_u32 v119, vcc_lo, v119, v55
	v_sub_co_ci_u32_e64 v120, null, v120, v56, vcc_lo
	;; [unrolled: 3-line block ×3, first 2 shown]
	s_waitcnt vmcnt(20)
	v_sub_co_u32 v123, vcc_lo, v123, v55
	v_lshlrev_b64 v[51:52], 6, v[51:52]
	v_sub_co_ci_u32_e64 v124, null, v124, v56, vcc_lo
	v_lshlrev_b64 v[119:120], 6, v[119:120]
	v_lshlrev_b64 v[121:122], 6, v[121:122]
	;; [unrolled: 1-line block ×3, first 2 shown]
	v_add_co_u32 v51, vcc_lo, s2, v51
	v_add_co_ci_u32_e64 v52, null, s3, v52, vcc_lo
	v_add_co_u32 v129, vcc_lo, s2, v119
	v_add_co_ci_u32_e64 v130, null, s3, v120, vcc_lo
	;; [unrolled: 2-line block ×4, first 2 shown]
	s_clause 0x1
	global_load_dwordx4 v[119:122], v[51:52], off
	global_load_dwordx4 v[123:126], v[51:52], off offset:16
	v_add_co_u32 v57, vcc_lo, v57, 32
	v_add_co_ci_u32_e64 v58, null, 0, v58, vcc_lo
	v_add_co_u32 v9, vcc_lo, 0x100, v9
	v_add_co_ci_u32_e64 v10, null, 0, v10, vcc_lo
	v_cmp_ge_i64_e32 vcc_lo, v[57:58], v[59:60]
	s_or_b32 s7, vcc_lo, s7
	s_waitcnt vmcnt(1)
	v_fma_f64 v[63:64], v[119:120], 0, v[63:64]
	v_fma_f64 v[69:70], v[119:120], 0, v[69:70]
	;; [unrolled: 1-line block ×9, first 2 shown]
	global_load_dwordx4 v[23:26], v[51:52], off offset:32
	v_fma_f64 v[63:64], v[119:120], 0, v[75:76]
	v_fma_f64 v[71:72], v[21:22], v[121:122], v[71:72]
	;; [unrolled: 1-line block ×3, first 2 shown]
	s_waitcnt vmcnt(1)
	v_fma_f64 v[119:120], v[123:124], 0, v[135:136]
	v_fma_f64 v[69:70], v[123:124], 0, v[69:70]
	;; [unrolled: 1-line block ×3, first 2 shown]
	global_load_dwordx4 v[19:22], v[51:52], off offset:48
	v_fma_f64 v[51:52], 0x80000000, v[121:122], v[67:68]
	v_fma_f64 v[67:68], 0x80000000, v[121:122], v[77:78]
	;; [unrolled: 1-line block ×3, first 2 shown]
	global_load_dwordx4 v[63:66], v[129:130], off
	v_fma_f64 v[119:120], v[15:16], v[125:126], v[119:120]
	v_fma_f64 v[135:136], v[17:18], v[125:126], v[69:70]
	;; [unrolled: 1-line block ×6, first 2 shown]
	global_load_dwordx4 v[15:18], v[129:130], off offset:16
	v_fma_f64 v[67:68], v[123:124], 0, v[75:76]
	v_fma_f64 v[73:74], v[13:14], v[123:124], v[77:78]
	;; [unrolled: 1-line block ×7, first 2 shown]
	s_clause 0x1
	global_load_dwordx4 v[11:14], v[129:130], off offset:32
	global_load_dwordx4 v[67:70], v[129:130], off offset:48
	v_fma_f64 v[125:126], 0x80000000, v[125:126], v[73:74]
	global_load_dwordx4 v[71:74], v[127:128], off offset:112
	s_waitcnt vmcnt(6)
	v_fma_f64 v[119:120], v[23:24], 0, v[119:120]
	v_fma_f64 v[129:130], v[23:24], 0, v[135:136]
	;; [unrolled: 1-line block ×10, first 2 shown]
	global_load_dwordx4 v[39:42], v[131:132], off
	v_fma_f64 v[51:52], 0x80000000, v[25:26], v[51:52]
	v_fma_f64 v[121:122], 0x80000000, v[25:26], v[121:122]
	v_fma_f64 v[75:76], v[35:36], v[25:26], v[75:76]
	v_fma_f64 v[77:78], v[37:38], v[25:26], v[77:78]
	v_fma_f64 v[123:124], 0x80000000, v[25:26], v[123:124]
	v_fma_f64 v[125:126], 0x80000000, v[25:26], v[23:24]
	s_clause 0x1
	global_load_dwordx4 v[23:26], v[127:128], off offset:80
	global_load_dwordx4 v[35:38], v[127:128], off offset:96
	s_waitcnt vmcnt(8)
	v_fma_f64 v[119:120], v[19:20], 0, v[119:120]
	v_fma_f64 v[129:130], v[19:20], 0, v[129:130]
	;; [unrolled: 1-line block ×10, first 2 shown]
	global_load_dwordx4 v[31:34], v[131:132], off offset:16
	v_fma_f64 v[51:52], 0x80000000, v[21:22], v[51:52]
	v_fma_f64 v[125:126], v[27:28], v[21:22], v[75:76]
	;; [unrolled: 1-line block ×3, first 2 shown]
	global_load_dwordx4 v[27:30], v[127:128], off offset:64
	v_fma_f64 v[75:76], 0x80000000, v[21:22], v[121:122]
	v_fma_f64 v[121:122], 0x80000000, v[21:22], v[123:124]
	;; [unrolled: 1-line block ×3, first 2 shown]
	global_load_dwordx4 v[19:22], v[131:132], off offset:32
	s_waitcnt vmcnt(10)
	v_fma_f64 v[77:78], v[63:64], 0, v[119:120]
	v_fma_f64 v[119:120], v[63:64], 0, v[129:130]
	;; [unrolled: 1-line block ×11, first 2 shown]
	global_load_dwordx4 v[75:78], v[127:128], off offset:1040
	v_fma_f64 v[121:122], 0x80000000, v[65:66], v[121:122]
	s_waitcnt vmcnt(10)
	v_fma_f64 v[83:84], v[15:16], 0, v[83:84]
	v_fma_f64 v[85:86], v[15:16], 0, v[85:86]
	v_fma_f64 v[119:120], v[79:80], v[65:66], v[119:120]
	v_fma_f64 v[123:124], v[81:82], v[65:66], v[125:126]
	v_fma_f64 v[125:126], 0x80000000, v[65:66], v[129:130]
	v_fma_f64 v[129:130], 0x80000000, v[65:66], v[63:64]
	global_load_dwordx4 v[63:66], v[131:132], off offset:48
	global_load_dwordx4 v[79:82], v[127:128], off offset:1024
	v_fma_f64 v[51:52], v[47:48], v[15:16], v[51:52]
	v_fma_f64 v[121:122], v[43:44], v[15:16], v[121:122]
	;; [unrolled: 1-line block ×7, first 2 shown]
	global_load_dwordx4 v[47:50], v[133:134], off
	v_fma_f64 v[15:16], v[45:46], v[15:16], v[129:130]
	v_fma_f64 v[51:52], 0x80000000, v[17:18], v[51:52]
	;; [unrolled: 1-line block ×3, first 2 shown]
	s_waitcnt vmcnt(12)
	v_fma_f64 v[83:84], v[11:12], 0, v[83:84]
	v_fma_f64 v[85:86], v[11:12], 0, v[85:86]
	;; [unrolled: 1-line block ×5, first 2 shown]
	global_load_dwordx4 v[43:46], v[133:134], off offset:16
	v_fma_f64 v[129:130], 0x80000000, v[17:18], v[15:16]
	global_load_dwordx4 v[15:18], v[127:128], off offset:1072
	v_fma_f64 v[51:52], v[99:100], v[11:12], v[51:52]
	v_fma_f64 v[121:122], v[95:96], v[11:12], v[121:122]
	;; [unrolled: 1-line block ×7, first 2 shown]
	global_load_dwordx4 v[83:86], v[127:128], off offset:1056
	v_fma_f64 v[11:12], v[97:98], v[11:12], v[129:130]
	v_fma_f64 v[51:52], 0x80000000, v[13:14], v[51:52]
	;; [unrolled: 1-line block ×3, first 2 shown]
	s_waitcnt vmcnt(14)
	v_fma_f64 v[99:100], v[67:68], 0, v[99:100]
	v_fma_f64 v[119:120], v[95:96], v[13:14], v[119:120]
	;; [unrolled: 1-line block ×5, first 2 shown]
	global_load_dwordx4 v[95:98], v[127:128], off offset:1104
	v_fma_f64 v[129:130], 0x80000000, v[13:14], v[11:12]
	global_load_dwordx4 v[11:14], v[127:128], off offset:1088
	v_fma_f64 v[51:52], v[91:92], v[67:68], v[51:52]
	v_fma_f64 v[121:122], v[87:88], v[67:68], v[121:122]
	;; [unrolled: 1-line block ×6, first 2 shown]
	s_clause 0x1
	global_load_dwordx4 v[91:94], v[133:134], off offset:32
	global_load_dwordx4 v[99:102], v[133:134], off offset:48
	v_fma_f64 v[129:130], v[89:90], v[67:68], v[129:130]
	v_fma_f64 v[67:68], v[67:68], 0, v[123:124]
	;; [unrolled: 1-line block ×8, first 2 shown]
	s_clause 0x1
	global_load_dwordx4 v[87:90], v[127:128], off offset:1120
	global_load_dwordx4 v[119:122], v[127:128], off offset:1136
	s_waitcnt vmcnt(18)
	v_fma_f64 v[51:52], v[111:112], v[39:40], v[51:52]
	v_fma_f64 v[69:70], v[39:40], 0, v[131:132]
	v_fma_f64 v[123:124], v[113:114], v[39:40], v[123:124]
	v_fma_f64 v[127:128], v[39:40], 0, v[135:136]
	v_fma_f64 v[125:126], v[115:116], v[39:40], v[125:126]
	v_fma_f64 v[131:132], v[39:40], 0, v[133:134]
	v_fma_f64 v[129:130], v[117:118], v[39:40], v[129:130]
	v_fma_f64 v[39:40], v[39:40], 0, v[67:68]
	v_fma_f64 v[51:52], 0x80000000, v[41:42], v[51:52]
	v_fma_f64 v[67:68], v[111:112], v[41:42], v[69:70]
	v_fma_f64 v[69:70], 0x80000000, v[41:42], v[123:124]
	v_fma_f64 v[111:112], v[113:114], v[41:42], v[127:128]
	v_fma_f64 v[113:114], 0x80000000, v[41:42], v[125:126]
	v_fma_f64 v[115:116], v[115:116], v[41:42], v[131:132]
	v_fma_f64 v[123:124], 0x80000000, v[41:42], v[129:130]
	v_fma_f64 v[39:40], v[117:118], v[41:42], v[39:40]
	s_waitcnt vmcnt(15)
	v_fma_f64 v[41:42], v[107:108], v[31:32], v[51:52]
	v_fma_f64 v[51:52], v[31:32], 0, v[67:68]
	v_fma_f64 v[67:68], v[109:110], v[31:32], v[69:70]
	v_fma_f64 v[69:70], v[31:32], 0, v[111:112]
	v_fma_f64 v[111:112], v[103:104], v[31:32], v[113:114]
	v_fma_f64 v[113:114], v[31:32], 0, v[115:116]
	v_fma_f64 v[115:116], v[105:106], v[31:32], v[123:124]
	v_fma_f64 v[31:32], v[31:32], 0, v[39:40]
	v_fma_f64 v[39:40], 0x80000000, v[33:34], v[41:42]
	v_fma_f64 v[41:42], v[107:108], v[33:34], v[51:52]
	v_fma_f64 v[51:52], 0x80000000, v[33:34], v[67:68]
	v_fma_f64 v[67:68], v[109:110], v[33:34], v[69:70]
	v_fma_f64 v[69:70], 0x80000000, v[33:34], v[111:112]
	v_fma_f64 v[103:104], v[103:104], v[33:34], v[113:114]
	v_fma_f64 v[107:108], 0x80000000, v[33:34], v[115:116]
	v_fma_f64 v[31:32], v[105:106], v[33:34], v[31:32]
	;; [unrolled: 17-line block ×7, first 2 shown]
	s_waitcnt vmcnt(1)
	v_fma_f64 v[19:20], v[87:88], v[99:100], v[19:20]
	v_fma_f64 v[11:12], v[99:100], 0, v[11:12]
	v_fma_f64 v[21:22], v[89:90], v[99:100], v[21:22]
	v_fma_f64 v[13:14], v[99:100], 0, v[13:14]
	s_waitcnt vmcnt(0)
	v_fma_f64 v[25:26], v[119:120], v[99:100], v[25:26]
	v_fma_f64 v[15:16], v[99:100], 0, v[15:16]
	;; [unrolled: 1-line block ×12, first 2 shown]
	s_andn2_b32 exec_lo, exec_lo, s7
	s_cbranch_execnz .LBB146_33
; %bb.34:
	s_or_b32 exec_lo, exec_lo, s7
.LBB146_35:
	s_or_b32 exec_lo, exec_lo, s6
.LBB146_36:
	s_or_b32 exec_lo, exec_lo, s1
.LBB146_37:
	v_mbcnt_lo_u32_b32 v41, -1, 0
	v_xor_b32_e32 v9, 4, v41
	v_xor_b32_e32 v25, 2, v41
	v_cmp_gt_i32_e32 vcc_lo, 32, v9
	v_cndmask_b32_e32 v9, v41, v9, vcc_lo
	v_cmp_gt_i32_e32 vcc_lo, 32, v25
	v_lshlrev_b32_e32 v24, 2, v9
	v_cndmask_b32_e32 v27, v41, v25, vcc_lo
	ds_bpermute_b32 v9, v24, v67
	ds_bpermute_b32 v10, v24, v68
	;; [unrolled: 1-line block ×16, first 2 shown]
	v_lshlrev_b32_e32 v40, 2, v27
	s_waitcnt lgkmcnt(14)
	v_add_f64 v[9:10], v[67:68], v[9:10]
	s_waitcnt lgkmcnt(12)
	v_add_f64 v[11:12], v[63:64], v[11:12]
	;; [unrolled: 2-line block ×8, first 2 shown]
	ds_bpermute_b32 v23, v40, v9
	ds_bpermute_b32 v24, v40, v10
	;; [unrolled: 1-line block ×16, first 2 shown]
	s_waitcnt lgkmcnt(14)
	v_add_f64 v[9:10], v[9:10], v[23:24]
	s_waitcnt lgkmcnt(12)
	v_add_f64 v[27:28], v[11:12], v[27:28]
	;; [unrolled: 2-line block ×3, first 2 shown]
	v_xor_b32_e32 v29, 1, v41
	s_waitcnt lgkmcnt(8)
	v_add_f64 v[23:24], v[15:16], v[31:32]
	s_waitcnt lgkmcnt(6)
	v_add_f64 v[13:14], v[17:18], v[33:34]
	;; [unrolled: 2-line block ×3, first 2 shown]
	v_cmp_gt_i32_e32 vcc_lo, 32, v29
	s_waitcnt lgkmcnt(2)
	v_add_f64 v[15:16], v[21:22], v[37:38]
	s_waitcnt lgkmcnt(0)
	v_add_f64 v[19:20], v[25:26], v[39:40]
	v_cndmask_b32_e32 v29, v41, v29, vcc_lo
	v_cmp_eq_u32_e32 vcc_lo, 7, v0
	v_lshlrev_b32_e32 v34, 2, v29
	ds_bpermute_b32 v21, v34, v9
	ds_bpermute_b32 v22, v34, v10
	;; [unrolled: 1-line block ×16, first 2 shown]
	s_and_b32 exec_lo, exec_lo, vcc_lo
	s_cbranch_execz .LBB146_8
; %bb.38:
	s_waitcnt lgkmcnt(12)
	v_add_f64 v[27:28], v[27:28], v[39:40]
	s_waitcnt lgkmcnt(8)
	v_add_f64 v[23:24], v[23:24], v[37:38]
	;; [unrolled: 2-line block ×4, first 2 shown]
	v_add_f64 v[9:10], v[9:10], v[21:22]
	v_add_f64 v[11:12], v[11:12], v[25:26]
	v_add_f64 v[21:22], v[13:14], v[29:30]
	v_add_f64 v[25:26], v[15:16], v[31:32]
	v_cmp_eq_f64_e32 vcc_lo, 0, v[1:2]
	v_cmp_eq_f64_e64 s0, 0, v[3:4]
	s_load_dwordx2 s[2:3], s[4:5], 0x68
	v_mul_f64 v[13:14], v[27:28], -v[7:8]
	v_mul_f64 v[15:16], v[5:6], v[27:28]
	v_mul_f64 v[27:28], v[23:24], -v[7:8]
	v_mul_f64 v[23:24], v[5:6], v[23:24]
	;; [unrolled: 2-line block ×4, first 2 shown]
	s_and_b32 s0, vcc_lo, s0
	v_fma_f64 v[17:18], v[5:6], v[9:10], v[13:14]
	v_fma_f64 v[19:20], v[7:8], v[9:10], v[15:16]
	;; [unrolled: 1-line block ×8, first 2 shown]
	v_lshlrev_b64 v[21:22], 6, v[53:54]
	s_and_saveexec_b32 s1, s0
	s_xor_b32 s0, exec_lo, s1
	s_cbranch_execz .LBB146_40
; %bb.39:
	s_waitcnt lgkmcnt(0)
	v_add_co_u32 v0, vcc_lo, s2, v21
	v_add_co_ci_u32_e64 v1, null, s3, v22, vcc_lo
                                        ; implicit-def: $vgpr21_vgpr22
	global_store_dwordx4 v[0:1], v[17:20], off
	global_store_dwordx4 v[0:1], v[13:16], off offset:16
	global_store_dwordx4 v[0:1], v[9:12], off offset:32
	;; [unrolled: 1-line block ×3, first 2 shown]
                                        ; implicit-def: $vgpr3_vgpr4
                                        ; implicit-def: $vgpr17_vgpr18
                                        ; implicit-def: $vgpr13_vgpr14
                                        ; implicit-def: $vgpr9_vgpr10
                                        ; implicit-def: $vgpr5_vgpr6
.LBB146_40:
	s_andn2_saveexec_b32 s0, s0
	s_cbranch_execz .LBB146_8
; %bb.41:
	s_waitcnt lgkmcnt(0)
	v_add_co_u32 v37, vcc_lo, s2, v21
	v_add_co_ci_u32_e64 v38, null, s3, v22, vcc_lo
	s_clause 0x3
	global_load_dwordx4 v[21:24], v[37:38], off
	global_load_dwordx4 v[25:28], v[37:38], off offset:16
	global_load_dwordx4 v[29:32], v[37:38], off offset:32
	;; [unrolled: 1-line block ×3, first 2 shown]
	s_waitcnt vmcnt(3)
	v_fma_f64 v[17:18], v[1:2], v[21:22], v[17:18]
	v_fma_f64 v[19:20], v[3:4], v[21:22], v[19:20]
	s_waitcnt vmcnt(2)
	v_fma_f64 v[13:14], v[1:2], v[25:26], v[13:14]
	v_fma_f64 v[15:16], v[3:4], v[25:26], v[15:16]
	;; [unrolled: 3-line block ×4, first 2 shown]
	v_fma_f64 v[5:6], -v[3:4], v[23:24], v[17:18]
	v_fma_f64 v[7:8], v[1:2], v[23:24], v[19:20]
	v_fma_f64 v[9:10], -v[3:4], v[27:28], v[13:14]
	v_fma_f64 v[11:12], v[1:2], v[27:28], v[15:16]
	;; [unrolled: 2-line block ×4, first 2 shown]
	global_store_dwordx4 v[37:38], v[5:8], off
	global_store_dwordx4 v[37:38], v[9:12], off offset:16
	global_store_dwordx4 v[37:38], v[13:16], off offset:32
	;; [unrolled: 1-line block ×3, first 2 shown]
	s_endpgm
	.section	.rodata,"a",@progbits
	.p2align	6, 0x0
	.amdhsa_kernel _ZN9rocsparseL18bsrxmvn_4x4_kernelILj128ELj8E21rocsparse_complex_numIdElldS2_S2_EEvT3_20rocsparse_direction_NS_24const_host_device_scalarIT1_EES3_PKS3_PKT2_SC_S9_PKT4_PKT5_S7_PT6_21rocsparse_index_base_b
		.amdhsa_group_segment_fixed_size 0
		.amdhsa_private_segment_fixed_size 0
		.amdhsa_kernarg_size 120
		.amdhsa_user_sgpr_count 6
		.amdhsa_user_sgpr_private_segment_buffer 1
		.amdhsa_user_sgpr_dispatch_ptr 0
		.amdhsa_user_sgpr_queue_ptr 0
		.amdhsa_user_sgpr_kernarg_segment_ptr 1
		.amdhsa_user_sgpr_dispatch_id 0
		.amdhsa_user_sgpr_flat_scratch_init 0
		.amdhsa_user_sgpr_private_segment_size 0
		.amdhsa_wavefront_size32 1
		.amdhsa_uses_dynamic_stack 0
		.amdhsa_system_sgpr_private_segment_wavefront_offset 0
		.amdhsa_system_sgpr_workgroup_id_x 1
		.amdhsa_system_sgpr_workgroup_id_y 0
		.amdhsa_system_sgpr_workgroup_id_z 0
		.amdhsa_system_sgpr_workgroup_info 0
		.amdhsa_system_vgpr_workitem_id 0
		.amdhsa_next_free_vgpr 157
		.amdhsa_next_free_sgpr 16
		.amdhsa_reserve_vcc 1
		.amdhsa_reserve_flat_scratch 0
		.amdhsa_float_round_mode_32 0
		.amdhsa_float_round_mode_16_64 0
		.amdhsa_float_denorm_mode_32 3
		.amdhsa_float_denorm_mode_16_64 3
		.amdhsa_dx10_clamp 1
		.amdhsa_ieee_mode 1
		.amdhsa_fp16_overflow 0
		.amdhsa_workgroup_processor_mode 1
		.amdhsa_memory_ordered 1
		.amdhsa_forward_progress 1
		.amdhsa_shared_vgpr_count 0
		.amdhsa_exception_fp_ieee_invalid_op 0
		.amdhsa_exception_fp_denorm_src 0
		.amdhsa_exception_fp_ieee_div_zero 0
		.amdhsa_exception_fp_ieee_overflow 0
		.amdhsa_exception_fp_ieee_underflow 0
		.amdhsa_exception_fp_ieee_inexact 0
		.amdhsa_exception_int_div_zero 0
	.end_amdhsa_kernel
	.section	.text._ZN9rocsparseL18bsrxmvn_4x4_kernelILj128ELj8E21rocsparse_complex_numIdElldS2_S2_EEvT3_20rocsparse_direction_NS_24const_host_device_scalarIT1_EES3_PKS3_PKT2_SC_S9_PKT4_PKT5_S7_PT6_21rocsparse_index_base_b,"axG",@progbits,_ZN9rocsparseL18bsrxmvn_4x4_kernelILj128ELj8E21rocsparse_complex_numIdElldS2_S2_EEvT3_20rocsparse_direction_NS_24const_host_device_scalarIT1_EES3_PKS3_PKT2_SC_S9_PKT4_PKT5_S7_PT6_21rocsparse_index_base_b,comdat
.Lfunc_end146:
	.size	_ZN9rocsparseL18bsrxmvn_4x4_kernelILj128ELj8E21rocsparse_complex_numIdElldS2_S2_EEvT3_20rocsparse_direction_NS_24const_host_device_scalarIT1_EES3_PKS3_PKT2_SC_S9_PKT4_PKT5_S7_PT6_21rocsparse_index_base_b, .Lfunc_end146-_ZN9rocsparseL18bsrxmvn_4x4_kernelILj128ELj8E21rocsparse_complex_numIdElldS2_S2_EEvT3_20rocsparse_direction_NS_24const_host_device_scalarIT1_EES3_PKS3_PKT2_SC_S9_PKT4_PKT5_S7_PT6_21rocsparse_index_base_b
                                        ; -- End function
	.set _ZN9rocsparseL18bsrxmvn_4x4_kernelILj128ELj8E21rocsparse_complex_numIdElldS2_S2_EEvT3_20rocsparse_direction_NS_24const_host_device_scalarIT1_EES3_PKS3_PKT2_SC_S9_PKT4_PKT5_S7_PT6_21rocsparse_index_base_b.num_vgpr, 157
	.set _ZN9rocsparseL18bsrxmvn_4x4_kernelILj128ELj8E21rocsparse_complex_numIdElldS2_S2_EEvT3_20rocsparse_direction_NS_24const_host_device_scalarIT1_EES3_PKS3_PKT2_SC_S9_PKT4_PKT5_S7_PT6_21rocsparse_index_base_b.num_agpr, 0
	.set _ZN9rocsparseL18bsrxmvn_4x4_kernelILj128ELj8E21rocsparse_complex_numIdElldS2_S2_EEvT3_20rocsparse_direction_NS_24const_host_device_scalarIT1_EES3_PKS3_PKT2_SC_S9_PKT4_PKT5_S7_PT6_21rocsparse_index_base_b.numbered_sgpr, 16
	.set _ZN9rocsparseL18bsrxmvn_4x4_kernelILj128ELj8E21rocsparse_complex_numIdElldS2_S2_EEvT3_20rocsparse_direction_NS_24const_host_device_scalarIT1_EES3_PKS3_PKT2_SC_S9_PKT4_PKT5_S7_PT6_21rocsparse_index_base_b.num_named_barrier, 0
	.set _ZN9rocsparseL18bsrxmvn_4x4_kernelILj128ELj8E21rocsparse_complex_numIdElldS2_S2_EEvT3_20rocsparse_direction_NS_24const_host_device_scalarIT1_EES3_PKS3_PKT2_SC_S9_PKT4_PKT5_S7_PT6_21rocsparse_index_base_b.private_seg_size, 0
	.set _ZN9rocsparseL18bsrxmvn_4x4_kernelILj128ELj8E21rocsparse_complex_numIdElldS2_S2_EEvT3_20rocsparse_direction_NS_24const_host_device_scalarIT1_EES3_PKS3_PKT2_SC_S9_PKT4_PKT5_S7_PT6_21rocsparse_index_base_b.uses_vcc, 1
	.set _ZN9rocsparseL18bsrxmvn_4x4_kernelILj128ELj8E21rocsparse_complex_numIdElldS2_S2_EEvT3_20rocsparse_direction_NS_24const_host_device_scalarIT1_EES3_PKS3_PKT2_SC_S9_PKT4_PKT5_S7_PT6_21rocsparse_index_base_b.uses_flat_scratch, 0
	.set _ZN9rocsparseL18bsrxmvn_4x4_kernelILj128ELj8E21rocsparse_complex_numIdElldS2_S2_EEvT3_20rocsparse_direction_NS_24const_host_device_scalarIT1_EES3_PKS3_PKT2_SC_S9_PKT4_PKT5_S7_PT6_21rocsparse_index_base_b.has_dyn_sized_stack, 0
	.set _ZN9rocsparseL18bsrxmvn_4x4_kernelILj128ELj8E21rocsparse_complex_numIdElldS2_S2_EEvT3_20rocsparse_direction_NS_24const_host_device_scalarIT1_EES3_PKS3_PKT2_SC_S9_PKT4_PKT5_S7_PT6_21rocsparse_index_base_b.has_recursion, 0
	.set _ZN9rocsparseL18bsrxmvn_4x4_kernelILj128ELj8E21rocsparse_complex_numIdElldS2_S2_EEvT3_20rocsparse_direction_NS_24const_host_device_scalarIT1_EES3_PKS3_PKT2_SC_S9_PKT4_PKT5_S7_PT6_21rocsparse_index_base_b.has_indirect_call, 0
	.section	.AMDGPU.csdata,"",@progbits
; Kernel info:
; codeLenInByte = 10624
; TotalNumSgprs: 18
; NumVgprs: 157
; ScratchSize: 0
; MemoryBound: 0
; FloatMode: 240
; IeeeMode: 1
; LDSByteSize: 0 bytes/workgroup (compile time only)
; SGPRBlocks: 0
; VGPRBlocks: 19
; NumSGPRsForWavesPerEU: 18
; NumVGPRsForWavesPerEU: 157
; Occupancy: 6
; WaveLimiterHint : 1
; COMPUTE_PGM_RSRC2:SCRATCH_EN: 0
; COMPUTE_PGM_RSRC2:USER_SGPR: 6
; COMPUTE_PGM_RSRC2:TRAP_HANDLER: 0
; COMPUTE_PGM_RSRC2:TGID_X_EN: 1
; COMPUTE_PGM_RSRC2:TGID_Y_EN: 0
; COMPUTE_PGM_RSRC2:TGID_Z_EN: 0
; COMPUTE_PGM_RSRC2:TIDIG_COMP_CNT: 0
	.section	.text._ZN9rocsparseL18bsrxmvn_4x4_kernelILj128ELj16E21rocsparse_complex_numIdElldS2_S2_EEvT3_20rocsparse_direction_NS_24const_host_device_scalarIT1_EES3_PKS3_PKT2_SC_S9_PKT4_PKT5_S7_PT6_21rocsparse_index_base_b,"axG",@progbits,_ZN9rocsparseL18bsrxmvn_4x4_kernelILj128ELj16E21rocsparse_complex_numIdElldS2_S2_EEvT3_20rocsparse_direction_NS_24const_host_device_scalarIT1_EES3_PKS3_PKT2_SC_S9_PKT4_PKT5_S7_PT6_21rocsparse_index_base_b,comdat
	.globl	_ZN9rocsparseL18bsrxmvn_4x4_kernelILj128ELj16E21rocsparse_complex_numIdElldS2_S2_EEvT3_20rocsparse_direction_NS_24const_host_device_scalarIT1_EES3_PKS3_PKT2_SC_S9_PKT4_PKT5_S7_PT6_21rocsparse_index_base_b ; -- Begin function _ZN9rocsparseL18bsrxmvn_4x4_kernelILj128ELj16E21rocsparse_complex_numIdElldS2_S2_EEvT3_20rocsparse_direction_NS_24const_host_device_scalarIT1_EES3_PKS3_PKT2_SC_S9_PKT4_PKT5_S7_PT6_21rocsparse_index_base_b
	.p2align	8
	.type	_ZN9rocsparseL18bsrxmvn_4x4_kernelILj128ELj16E21rocsparse_complex_numIdElldS2_S2_EEvT3_20rocsparse_direction_NS_24const_host_device_scalarIT1_EES3_PKS3_PKT2_SC_S9_PKT4_PKT5_S7_PT6_21rocsparse_index_base_b,@function
_ZN9rocsparseL18bsrxmvn_4x4_kernelILj128ELj16E21rocsparse_complex_numIdElldS2_S2_EEvT3_20rocsparse_direction_NS_24const_host_device_scalarIT1_EES3_PKS3_PKT2_SC_S9_PKT4_PKT5_S7_PT6_21rocsparse_index_base_b: ; @_ZN9rocsparseL18bsrxmvn_4x4_kernelILj128ELj16E21rocsparse_complex_numIdElldS2_S2_EEvT3_20rocsparse_direction_NS_24const_host_device_scalarIT1_EES3_PKS3_PKT2_SC_S9_PKT4_PKT5_S7_PT6_21rocsparse_index_base_b
; %bb.0:
	s_clause 0x1
	s_load_dwordx2 s[2:3], s[4:5], 0x70
	s_load_dwordx2 s[0:1], s[4:5], 0x10
	s_add_u32 s7, s4, 16
	s_addc_u32 s10, s5, 0
	s_add_u32 s11, s4, 0x58
	s_addc_u32 s12, s5, 0
	s_load_dwordx2 s[8:9], s[4:5], 0x58
	s_waitcnt lgkmcnt(0)
	s_bitcmp1_b32 s3, 0
	s_cselect_b32 s0, s7, s0
	s_cselect_b32 s1, s10, s1
	v_mov_b32_e32 v1, s0
	v_mov_b32_e32 v2, s1
	s_cselect_b32 s0, s11, s8
	s_cselect_b32 s1, s12, s9
	flat_load_dwordx4 v[5:8], v[1:2]
	v_mov_b32_e32 v1, s0
	v_mov_b32_e32 v2, s1
	flat_load_dwordx4 v[1:4], v[1:2]
	s_waitcnt vmcnt(1) lgkmcnt(1)
	v_cmp_eq_f64_e32 vcc_lo, 0, v[5:6]
	v_cmp_eq_f64_e64 s0, 0, v[7:8]
	s_and_b32 s3, vcc_lo, s0
	s_mov_b32 s0, -1
	s_and_saveexec_b32 s1, s3
	s_cbranch_execz .LBB147_2
; %bb.1:
	s_waitcnt vmcnt(0) lgkmcnt(0)
	v_cmp_neq_f64_e32 vcc_lo, 1.0, v[1:2]
	v_cmp_neq_f64_e64 s0, 0, v[3:4]
	s_or_b32 s0, vcc_lo, s0
	s_orn2_b32 s0, s0, exec_lo
.LBB147_2:
	s_or_b32 exec_lo, exec_lo, s1
	s_and_saveexec_b32 s1, s0
	s_cbranch_execz .LBB147_8
; %bb.3:
	s_load_dwordx2 s[0:1], s[4:5], 0x28
	v_lshrrev_b32_e32 v9, 4, v0
	v_mov_b32_e32 v10, 0
	v_lshl_or_b32 v9, s6, 3, v9
	s_waitcnt lgkmcnt(0)
	s_cmp_lg_u64 s[0:1], 0
	s_cbranch_scc0 .LBB147_9
; %bb.4:
	s_load_dwordx2 s[6:7], s[4:5], 0x20
                                        ; implicit-def: $vgpr37_vgpr38
                                        ; implicit-def: $vgpr39_vgpr40
	s_waitcnt lgkmcnt(0)
	v_cmp_gt_i64_e32 vcc_lo, s[6:7], v[9:10]
	s_mov_b32 s7, 0
	s_mov_b32 s6, 0
	s_and_saveexec_b32 s3, vcc_lo
	s_xor_b32 s8, exec_lo, s3
	s_cbranch_execz .LBB147_6
; %bb.5:
	v_lshlrev_b64 v[11:12], 3, v[9:10]
	s_mov_b32 s3, 0
	s_mov_b32 s6, exec_lo
	v_mov_b32_e32 v40, s3
	v_mov_b32_e32 v39, s2
	v_add_co_u32 v11, vcc_lo, s0, v11
	v_add_co_ci_u32_e64 v12, null, s1, v12, vcc_lo
	global_load_dwordx2 v[11:12], v[11:12], off
	s_waitcnt vmcnt(0)
	v_sub_co_u32 v37, vcc_lo, v11, s2
	v_subrev_co_ci_u32_e64 v38, null, 0, v12, vcc_lo
.LBB147_6:
	s_or_b32 exec_lo, exec_lo, s8
	s_and_b32 vcc_lo, exec_lo, s7
	s_cbranch_vccnz .LBB147_10
.LBB147_7:
	s_and_b32 exec_lo, exec_lo, s6
	s_cbranch_execnz .LBB147_13
.LBB147_8:
	s_endpgm
.LBB147_9:
	s_mov_b32 s6, 0
                                        ; implicit-def: $vgpr37_vgpr38
                                        ; implicit-def: $vgpr39_vgpr40
	s_cbranch_execz .LBB147_7
.LBB147_10:
	s_load_dwordx2 s[0:1], s[4:5], 0x0
	s_waitcnt lgkmcnt(0)
	v_cmp_gt_i64_e32 vcc_lo, s[0:1], v[9:10]
	s_and_saveexec_b32 s0, vcc_lo
; %bb.11:
	s_mov_b32 s3, 0
	s_or_b32 s6, s6, exec_lo
; %bb.12:
	s_or_b32 exec_lo, exec_lo, s0
	v_mov_b32_e32 v40, s3
	v_mov_b32_e32 v38, v10
	;; [unrolled: 1-line block ×4, first 2 shown]
	s_and_b32 exec_lo, exec_lo, s6
	s_cbranch_execz .LBB147_8
.LBB147_13:
	s_load_dwordx8 s[8:15], s[4:5], 0x30
	v_lshlrev_b64 v[9:10], 3, v[37:38]
	v_and_b32_e32 v0, 15, v0
	s_clause 0x1
	s_load_dword s1, s[4:5], 0x8
	s_load_dwordx2 s[2:3], s[4:5], 0x50
	s_waitcnt lgkmcnt(0)
	v_add_co_u32 v11, vcc_lo, s8, v9
	v_add_co_ci_u32_e64 v12, null, s9, v10, vcc_lo
	v_add_co_u32 v9, vcc_lo, s10, v9
	v_add_co_ci_u32_e64 v10, null, s11, v10, vcc_lo
	;; [unrolled: 2-line block ×3, first 2 shown]
	global_load_dwordx2 v[63:64], v[11:12], off
	s_cmp_eq_u64 s[10:11], 0
	s_cselect_b32 vcc_lo, -1, 0
	s_cmp_eq_u32 s1, 1
	v_cndmask_b32_e32 v10, v10, v14, vcc_lo
	v_cndmask_b32_e32 v9, v9, v13, vcc_lo
	global_load_dwordx2 v[9:10], v[9:10], off
	s_waitcnt vmcnt(1)
	v_sub_co_u32 v11, vcc_lo, v63, v39
	v_sub_co_ci_u32_e64 v12, null, v64, v40, vcc_lo
	v_add_co_u32 v41, vcc_lo, v11, v0
	v_add_co_ci_u32_e64 v42, null, 0, v12, vcc_lo
	s_waitcnt vmcnt(0)
	v_sub_co_u32 v43, vcc_lo, v9, v39
	v_sub_co_ci_u32_e64 v44, null, v10, v40, vcc_lo
	v_lshlrev_b64 v[9:10], 7, v[41:42]
	v_cmp_lt_i64_e64 s0, v[41:42], v[43:44]
	v_add_co_u32 v45, vcc_lo, s14, v9
	v_add_co_ci_u32_e64 v46, null, s15, v10, vcc_lo
	s_cbranch_scc1 .LBB147_25
; %bb.14:
	v_mov_b32_e32 v49, 0
	v_mov_b32_e32 v57, 0
	;; [unrolled: 1-line block ×16, first 2 shown]
	s_and_saveexec_b32 s6, s0
	s_cbranch_execz .LBB147_24
; %bb.15:
	v_or_b32_e32 v9, 16, v0
	v_not_b32_e32 v13, v63
	v_not_b32_e32 v11, v64
	v_mov_b32_e32 v47, 0
	v_mov_b32_e32 v51, 0
	v_sub_co_u32 v9, vcc_lo, v9, v39
	v_sub_co_ci_u32_e64 v10, null, 0, v40, vcc_lo
	v_mov_b32_e32 v53, 0
	v_add_co_u32 v9, vcc_lo, v9, v63
	v_add_co_ci_u32_e64 v10, null, v10, v64, vcc_lo
	v_sub_co_u32 v14, vcc_lo, v39, v0
	v_subrev_co_ci_u32_e64 v15, null, 0, v40, vcc_lo
	v_cmp_gt_i64_e32 vcc_lo, v[9:10], v[43:44]
	v_add_co_u32 v13, s1, v14, v13
	v_add_co_ci_u32_e64 v11, null, v15, v11, s1
	v_mov_b32_e32 v55, 0
	v_cndmask_b32_e32 v9, v43, v9, vcc_lo
	v_cndmask_b32_e32 v10, v44, v10, vcc_lo
	v_mov_b32_e32 v61, 0
	v_mov_b32_e32 v59, 0
	;; [unrolled: 1-line block ×3, first 2 shown]
	v_add_co_u32 v9, vcc_lo, v13, v9
	v_mov_b32_e32 v49, 0
	v_mov_b32_e32 v68, v46
	;; [unrolled: 1-line block ×8, first 2 shown]
	v_add_co_ci_u32_e64 v10, null, v11, v10, vcc_lo
	v_and_b32_e32 v11, 48, v9
	v_mov_b32_e32 v62, 0
	v_mov_b32_e32 v60, 0
	;; [unrolled: 1-line block ×6, first 2 shown]
	s_mov_b32 s7, exec_lo
	v_cmpx_ne_u64_e32 48, v[11:12]
	s_cbranch_execz .LBB147_19
; %bb.16:
	v_lshrrev_b32_e32 v13, 4, v9
	v_lshlrev_b64 v[11:12], 3, v[41:42]
	v_mov_b32_e32 v49, 0
	v_mov_b32_e32 v66, v42
	;; [unrolled: 1-line block ×3, first 2 shown]
	v_add_nc_u32_e32 v13, 1, v13
	v_mov_b32_e32 v59, 0
	v_add_co_u32 v11, vcc_lo, s12, v11
	v_mov_b32_e32 v61, 0
	v_and_b32_e32 v13, 3, v13
	v_mov_b32_e32 v55, 0
	v_mov_b32_e32 v53, 0
	;; [unrolled: 1-line block ×4, first 2 shown]
	v_sub_co_u32 v13, s1, 0, v13
	v_mov_b32_e32 v68, v46
	v_mov_b32_e32 v50, 0
	;; [unrolled: 1-line block ×5, first 2 shown]
	v_add_co_ci_u32_e64 v12, null, s13, v12, vcc_lo
	v_sub_co_ci_u32_e64 v14, null, 0, 0, s1
	v_mov_b32_e32 v62, 0
	v_mov_b32_e32 v56, 0
	v_mov_b32_e32 v54, 0
	v_mov_b32_e32 v52, 0
	v_mov_b32_e32 v48, 0
	v_mov_b32_e32 v67, v45
	s_mov_b32 s8, 0
.LBB147_17:                             ; =>This Inner Loop Header: Depth=1
	global_load_dwordx2 v[35:36], v[11:12], off
	s_clause 0x6
	global_load_dwordx4 v[15:18], v[67:68], off offset:48
	global_load_dwordx4 v[19:22], v[67:68], off offset:32
	;; [unrolled: 1-line block ×3, first 2 shown]
	global_load_dwordx4 v[27:30], v[67:68], off
	global_load_dwordx4 v[31:34], v[67:68], off offset:112
	global_load_dwordx4 v[69:72], v[67:68], off offset:96
	;; [unrolled: 1-line block ×3, first 2 shown]
	v_add_co_u32 v11, s1, 0x80, v11
	v_add_co_ci_u32_e64 v12, null, 0, v12, s1
	s_waitcnt vmcnt(7)
	v_sub_co_u32 v35, vcc_lo, v35, v39
	v_sub_co_ci_u32_e64 v36, null, v36, v40, vcc_lo
	v_lshlrev_b64 v[35:36], 6, v[35:36]
	v_add_co_u32 v35, vcc_lo, s2, v35
	v_add_co_ci_u32_e64 v36, null, s3, v36, vcc_lo
	s_clause 0x1
	global_load_dwordx4 v[77:80], v[35:36], off
	global_load_dwordx4 v[81:84], v[35:36], off offset:16
	global_load_dwordx4 v[85:88], v[67:68], off offset:80
	s_clause 0x1
	global_load_dwordx4 v[89:92], v[35:36], off offset:32
	global_load_dwordx4 v[93:96], v[35:36], off offset:48
	v_add_co_u32 v67, vcc_lo, 0x800, v67
	v_add_co_ci_u32_e64 v68, null, 0, v68, vcc_lo
	v_add_co_u32 v13, vcc_lo, v13, 1
	v_add_co_ci_u32_e64 v14, null, 0, v14, vcc_lo
	;; [unrolled: 2-line block ×3, first 2 shown]
	v_cmp_eq_u64_e32 vcc_lo, 0, v[13:14]
	s_or_b32 s8, vcc_lo, s8
	s_waitcnt vmcnt(4)
	v_fma_f64 v[35:36], v[27:28], v[77:78], v[57:58]
	v_fma_f64 v[49:50], v[77:78], 0, v[49:50]
	v_fma_f64 v[57:58], v[19:20], v[77:78], v[61:62]
	v_fma_f64 v[59:60], v[77:78], 0, v[59:60]
	v_fma_f64 v[53:54], v[73:74], v[77:78], v[53:54]
	v_fma_f64 v[55:56], v[77:78], 0, v[55:56]
	v_fma_f64 v[47:48], v[69:70], v[77:78], v[47:48]
	v_fma_f64 v[51:52], v[77:78], 0, v[51:52]
	v_fma_f64 v[35:36], 0x80000000, v[79:80], v[35:36]
	v_fma_f64 v[27:28], v[27:28], v[79:80], v[49:50]
	v_fma_f64 v[49:50], 0x80000000, v[79:80], v[57:58]
	v_fma_f64 v[19:20], v[19:20], v[79:80], v[59:60]
	v_fma_f64 v[53:54], 0x80000000, v[79:80], v[53:54]
	v_fma_f64 v[55:56], v[73:74], v[79:80], v[55:56]
	v_fma_f64 v[47:48], 0x80000000, v[79:80], v[47:48]
	v_fma_f64 v[51:52], v[69:70], v[79:80], v[51:52]
	s_waitcnt vmcnt(3)
	v_fma_f64 v[35:36], v[29:30], v[81:82], v[35:36]
	v_fma_f64 v[27:28], v[81:82], 0, v[27:28]
	v_fma_f64 v[49:50], v[21:22], v[81:82], v[49:50]
	v_fma_f64 v[19:20], v[81:82], 0, v[19:20]
	v_fma_f64 v[53:54], v[75:76], v[81:82], v[53:54]
	v_fma_f64 v[55:56], v[81:82], 0, v[55:56]
	v_fma_f64 v[47:48], v[71:72], v[81:82], v[47:48]
	v_fma_f64 v[51:52], v[81:82], 0, v[51:52]
	v_fma_f64 v[35:36], 0x80000000, v[83:84], v[35:36]
	v_fma_f64 v[27:28], v[29:30], v[83:84], v[27:28]
	v_fma_f64 v[29:30], 0x80000000, v[83:84], v[49:50]
	v_fma_f64 v[19:20], v[21:22], v[83:84], v[19:20]
	v_fma_f64 v[21:22], 0x80000000, v[83:84], v[53:54]
	v_fma_f64 v[49:50], v[75:76], v[83:84], v[55:56]
	v_fma_f64 v[47:48], 0x80000000, v[83:84], v[47:48]
	v_fma_f64 v[51:52], v[71:72], v[83:84], v[51:52]
	;; [unrolled: 17-line block ×4, first 2 shown]
	s_andn2_b32 exec_lo, exec_lo, s8
	s_cbranch_execnz .LBB147_17
; %bb.18:
	s_or_b32 exec_lo, exec_lo, s8
.LBB147_19:
	s_or_b32 exec_lo, exec_lo, s7
	s_mov_b32 s7, exec_lo
	v_cmpx_lt_u64_e32 47, v[9:10]
	s_cbranch_execz .LBB147_23
; %bb.20:
	v_lshlrev_b64 v[9:10], 3, v[65:66]
	s_mov_b32 s8, 0
	v_add_co_u32 v9, vcc_lo, s12, v9
	v_add_co_ci_u32_e64 v10, null, s13, v10, vcc_lo
	v_add_co_u32 v69, vcc_lo, 0x100, v9
	v_add_co_ci_u32_e64 v70, null, 0, v10, vcc_lo
.LBB147_21:                             ; =>This Inner Loop Header: Depth=1
	s_clause 0x1
	global_load_dwordx2 v[71:72], v[69:70], off offset:-256
	global_load_dwordx2 v[143:144], v[69:70], off offset:-128
	s_clause 0x7
	global_load_dwordx4 v[25:28], v[67:68], off offset:48
	global_load_dwordx4 v[75:78], v[67:68], off offset:32
	;; [unrolled: 1-line block ×3, first 2 shown]
	global_load_dwordx4 v[79:82], v[67:68], off
	global_load_dwordx4 v[9:12], v[67:68], off offset:112
	global_load_dwordx4 v[83:86], v[67:68], off offset:96
	;; [unrolled: 1-line block ×4, first 2 shown]
	s_clause 0x1
	global_load_dwordx2 v[151:152], v[69:70], off
	global_load_dwordx2 v[153:154], v[69:70], off offset:128
	v_add_co_u32 v33, vcc_lo, 0x800, v67
	v_add_co_ci_u32_e64 v34, null, 0, v68, vcc_lo
	v_add_co_u32 v35, vcc_lo, v67, 0x1000
	v_add_co_ci_u32_e64 v36, null, 0, v68, vcc_lo
	;; [unrolled: 2-line block ×4, first 2 shown]
	s_clause 0xf
	global_load_dwordx4 v[91:94], v[33:34], off offset:32
	global_load_dwordx4 v[21:24], v[33:34], off offset:16
	;; [unrolled: 1-line block ×7, first 2 shown]
	global_load_dwordx4 v[111:114], v[35:36], off offset:-2048
	global_load_dwordx4 v[33:36], v[35:36], off
	global_load_dwordx4 v[115:118], v[139:140], off offset:32
	global_load_dwordx4 v[119:122], v[139:140], off offset:16
	;; [unrolled: 1-line block ×7, first 2 shown]
	v_add_co_u32 v67, s1, 0x2000, v67
	v_add_co_ci_u32_e64 v68, null, 0, v68, s1
	s_waitcnt vmcnt(27)
	v_sub_co_u32 v71, vcc_lo, v71, v39
	v_sub_co_ci_u32_e64 v72, null, v72, v40, vcc_lo
	s_waitcnt vmcnt(26)
	v_sub_co_u32 v143, vcc_lo, v143, v39
	v_sub_co_ci_u32_e64 v144, null, v144, v40, vcc_lo
	v_lshlrev_b64 v[71:72], 6, v[71:72]
	v_lshlrev_b64 v[143:144], 6, v[143:144]
	v_add_co_u32 v71, vcc_lo, s2, v71
	v_add_co_ci_u32_e64 v72, null, s3, v72, vcc_lo
	v_add_co_u32 v155, vcc_lo, s2, v143
	v_add_co_ci_u32_e64 v156, null, s3, v144, vcc_lo
	s_clause 0x1
	global_load_dwordx4 v[143:146], v[71:72], off
	global_load_dwordx4 v[147:150], v[71:72], off offset:16
	s_waitcnt vmcnt(1)
	v_fma_f64 v[49:50], v[143:144], 0, v[49:50]
	v_fma_f64 v[47:48], v[83:84], v[143:144], v[47:48]
	;; [unrolled: 1-line block ×10, first 2 shown]
	global_load_dwordx4 v[47:50], v[71:72], off offset:32
	v_fma_f64 v[57:58], 0x80000000, v[145:146], v[57:58]
	v_fma_f64 v[61:62], 0x80000000, v[145:146], v[61:62]
	;; [unrolled: 1-line block ×6, first 2 shown]
	s_waitcnt vmcnt(1)
	v_fma_f64 v[51:52], v[147:148], 0, v[79:80]
	v_fma_f64 v[79:80], v[81:82], v[147:148], v[57:58]
	;; [unrolled: 1-line block ×5, first 2 shown]
	global_load_dwordx4 v[51:54], v[71:72], off offset:48
	v_fma_f64 v[71:72], v[77:78], v[147:148], v[61:62]
	v_fma_f64 v[81:82], v[89:90], v[147:148], v[75:76]
	;; [unrolled: 1-line block ×4, first 2 shown]
	global_load_dwordx4 v[55:58], v[155:156], off
	v_fma_f64 v[83:84], v[85:86], v[147:148], v[143:144]
	v_fma_f64 v[87:88], v[89:90], v[149:150], v[59:60]
	global_load_dwordx4 v[59:62], v[155:156], off offset:16
	v_fma_f64 v[89:90], 0x80000000, v[149:150], v[79:80]
	v_fma_f64 v[71:72], 0x80000000, v[149:150], v[71:72]
	;; [unrolled: 1-line block ×4, first 2 shown]
	global_load_dwordx4 v[79:82], v[155:156], off offset:32
	global_load_dwordx4 v[75:78], v[73:74], off
	v_fma_f64 v[83:84], 0x80000000, v[149:150], v[83:84]
	s_waitcnt vmcnt(5)
	v_fma_f64 v[89:90], v[29:30], v[47:48], v[89:90]
	v_fma_f64 v[145:146], v[47:48], 0, v[145:146]
	;; [unrolled: 1-line block ×16, first 2 shown]
	v_sub_co_u32 v47, vcc_lo, v151, v39
	v_sub_co_ci_u32_e64 v48, null, v152, v40, vcc_lo
	global_load_dwordx4 v[83:86], v[73:74], off offset:48
	v_lshlrev_b64 v[47:48], 6, v[47:48]
	v_add_co_u32 v145, vcc_lo, s2, v47
	v_add_co_ci_u32_e64 v146, null, s3, v48, vcc_lo
	global_load_dwordx4 v[47:50], v[155:156], off offset:48
	s_waitcnt vmcnt(6)
	v_fma_f64 v[25:26], v[51:52], 0, v[25:26]
	v_fma_f64 v[71:72], v[27:28], v[51:52], v[71:72]
	;; [unrolled: 1-line block ×9, first 2 shown]
	global_load_dwordx4 v[25:28], v[145:146], off
	v_fma_f64 v[147:148], v[31:32], v[53:54], v[29:30]
	v_fma_f64 v[151:152], v[15:16], v[53:54], v[13:14]
	global_load_dwordx4 v[13:16], v[145:146], off offset:16
	v_fma_f64 v[89:90], 0x80000000, v[53:54], v[89:90]
	v_fma_f64 v[87:88], v[11:12], v[53:54], v[9:10]
	;; [unrolled: 1-line block ×5, first 2 shown]
	global_load_dwordx4 v[51:54], v[145:146], off offset:32
	s_clause 0x1
	global_load_dwordx4 v[29:32], v[73:74], off offset:32
	global_load_dwordx4 v[9:12], v[73:74], off offset:96
	s_waitcnt vmcnt(10)
	v_fma_f64 v[149:150], v[55:56], 0, v[149:150]
	v_fma_f64 v[147:148], v[55:56], 0, v[147:148]
	v_fma_f64 v[151:152], v[55:56], 0, v[151:152]
	v_fma_f64 v[89:90], v[111:112], v[55:56], v[89:90]
	v_fma_f64 v[71:72], v[91:92], v[55:56], v[71:72]
	v_fma_f64 v[143:144], v[107:108], v[55:56], v[143:144]
	v_fma_f64 v[155:156], v[95:96], v[55:56], v[155:156]
	v_fma_f64 v[55:56], v[55:56], 0, v[87:88]
	v_fma_f64 v[91:92], v[91:92], v[57:58], v[149:150]
	v_sub_co_u32 v149, vcc_lo, v153, v39
	v_fma_f64 v[87:88], v[111:112], v[57:58], v[147:148]
	v_sub_co_ci_u32_e64 v150, null, v154, v40, vcc_lo
	v_fma_f64 v[89:90], 0x80000000, v[57:58], v[89:90]
	v_fma_f64 v[71:72], 0x80000000, v[57:58], v[71:72]
	;; [unrolled: 1-line block ×6, first 2 shown]
	global_load_dwordx4 v[55:58], v[73:74], off offset:64
	s_waitcnt vmcnt(10)
	v_fma_f64 v[91:92], v[59:60], 0, v[91:92]
	v_fma_f64 v[87:88], v[59:60], 0, v[87:88]
	;; [unrolled: 1-line block ×9, first 2 shown]
	global_load_dwordx4 v[87:90], v[145:146], off offset:48
	v_lshlrev_b64 v[145:146], 6, v[149:150]
	v_fma_f64 v[149:150], v[93:94], v[61:62], v[91:92]
	v_fma_f64 v[95:96], 0x80000000, v[61:62], v[147:148]
	v_fma_f64 v[71:72], 0x80000000, v[61:62], v[71:72]
	v_fma_f64 v[111:112], 0x80000000, v[61:62], v[111:112]
	v_fma_f64 v[107:108], v[109:110], v[61:62], v[107:108]
	v_add_co_u32 v145, vcc_lo, s2, v145
	v_add_co_ci_u32_e64 v146, null, s3, v146, vcc_lo
	v_fma_f64 v[109:110], 0x80000000, v[61:62], v[143:144]
	v_fma_f64 v[97:98], v[97:98], v[61:62], v[59:60]
	v_add_co_u32 v65, vcc_lo, v65, 64
	s_clause 0x1
	global_load_dwordx4 v[91:94], v[145:146], off
	global_load_dwordx4 v[59:62], v[145:146], off offset:16
	v_add_co_ci_u32_e64 v66, null, 0, v66, vcc_lo
	v_add_co_u32 v69, vcc_lo, 0x200, v69
	s_waitcnt vmcnt(12)
	v_fma_f64 v[113:114], v[79:80], 0, v[113:114]
	v_add_co_ci_u32_e64 v70, null, 0, v70, vcc_lo
	v_fma_f64 v[147:148], v[79:80], 0, v[149:150]
	v_fma_f64 v[143:144], v[21:22], v[79:80], v[95:96]
	;; [unrolled: 1-line block ×5, first 2 shown]
	v_cmp_ge_i64_e32 vcc_lo, v[65:66], v[43:44]
	v_fma_f64 v[109:110], v[17:18], v[79:80], v[109:110]
	v_fma_f64 v[79:80], v[79:80], 0, v[97:98]
	global_load_dwordx4 v[95:98], v[73:74], off offset:112
	s_or_b32 s8, vcc_lo, s8
	v_fma_f64 v[21:22], v[21:22], v[81:82], v[113:114]
	v_fma_f64 v[103:104], v[103:104], v[81:82], v[147:148]
	;; [unrolled: 1-line block ×8, first 2 shown]
	s_clause 0x1
	global_load_dwordx4 v[79:82], v[73:74], off offset:80
	global_load_dwordx4 v[71:74], v[73:74], off offset:16
	;; [unrolled: 1-line block ×3, first 2 shown]
	s_waitcnt vmcnt(13)
	v_fma_f64 v[143:144], v[23:24], v[47:48], v[143:144]
	v_fma_f64 v[21:22], v[47:48], 0, v[21:22]
	;; [unrolled: 1-line block ×16, first 2 shown]
	global_load_dwordx4 v[17:20], v[145:146], off offset:48
	s_waitcnt vmcnt(13)
	v_fma_f64 v[47:48], v[33:34], v[25:26], v[47:48]
	v_fma_f64 v[21:22], v[25:26], 0, v[21:22]
	v_fma_f64 v[23:24], v[115:116], v[25:26], v[23:24]
	v_fma_f64 v[103:104], v[25:26], 0, v[103:104]
	v_fma_f64 v[105:106], v[139:140], v[25:26], v[105:106]
	v_fma_f64 v[99:100], v[25:26], 0, v[99:100]
	v_fma_f64 v[101:102], v[127:128], v[25:26], v[101:102]
	v_fma_f64 v[25:26], v[25:26], 0, v[49:50]
	v_fma_f64 v[47:48], 0x80000000, v[27:28], v[47:48]
	v_fma_f64 v[21:22], v[33:34], v[27:28], v[21:22]
	v_fma_f64 v[23:24], 0x80000000, v[27:28], v[23:24]
	v_fma_f64 v[33:34], v[115:116], v[27:28], v[103:104]
	v_fma_f64 v[49:50], 0x80000000, v[27:28], v[105:106]
	v_fma_f64 v[99:100], v[139:140], v[27:28], v[99:100]
	v_fma_f64 v[101:102], 0x80000000, v[27:28], v[101:102]
	v_fma_f64 v[25:26], v[127:128], v[27:28], v[25:26]
	s_waitcnt vmcnt(12)
	v_fma_f64 v[27:28], v[35:36], v[13:14], v[47:48]
	v_fma_f64 v[21:22], v[13:14], 0, v[21:22]
	v_fma_f64 v[23:24], v[117:118], v[13:14], v[23:24]
	v_fma_f64 v[33:34], v[13:14], 0, v[33:34]
	v_fma_f64 v[47:48], v[141:142], v[13:14], v[49:50]
	v_fma_f64 v[49:50], v[13:14], 0, v[99:100]
	v_fma_f64 v[99:100], v[129:130], v[13:14], v[101:102]
	v_fma_f64 v[13:14], v[13:14], 0, v[25:26]
	v_fma_f64 v[25:26], 0x80000000, v[15:16], v[27:28]
	v_fma_f64 v[21:22], v[35:36], v[15:16], v[21:22]
	v_fma_f64 v[23:24], 0x80000000, v[15:16], v[23:24]
	v_fma_f64 v[27:28], v[117:118], v[15:16], v[33:34]
	v_fma_f64 v[33:34], 0x80000000, v[15:16], v[47:48]
	v_fma_f64 v[35:36], v[141:142], v[15:16], v[49:50]
	v_fma_f64 v[47:48], 0x80000000, v[15:16], v[99:100]
	v_fma_f64 v[13:14], v[129:130], v[15:16], v[13:14]
	;; [unrolled: 17-line block ×8, first 2 shown]
	s_andn2_b32 exec_lo, exec_lo, s8
	s_cbranch_execnz .LBB147_21
; %bb.22:
	s_or_b32 exec_lo, exec_lo, s8
.LBB147_23:
	s_or_b32 exec_lo, exec_lo, s7
.LBB147_24:
	s_or_b32 exec_lo, exec_lo, s6
	s_cbranch_execz .LBB147_26
	s_branch .LBB147_37
.LBB147_25:
                                        ; implicit-def: $vgpr49_vgpr50
                                        ; implicit-def: $vgpr57_vgpr58
                                        ; implicit-def: $vgpr59_vgpr60
                                        ; implicit-def: $vgpr61_vgpr62
                                        ; implicit-def: $vgpr55_vgpr56
                                        ; implicit-def: $vgpr53_vgpr54
                                        ; implicit-def: $vgpr51_vgpr52
                                        ; implicit-def: $vgpr47_vgpr48
.LBB147_26:
	v_mov_b32_e32 v49, 0
	v_mov_b32_e32 v57, 0
	;; [unrolled: 1-line block ×16, first 2 shown]
	s_and_saveexec_b32 s1, s0
	s_cbranch_execz .LBB147_36
; %bb.27:
	v_or_b32_e32 v9, 16, v0
	v_not_b32_e32 v13, v63
	v_sub_co_u32 v14, s0, v39, v0
	v_not_b32_e32 v11, v64
	v_sub_co_u32 v9, vcc_lo, v9, v39
	v_sub_co_ci_u32_e64 v10, null, 0, v40, vcc_lo
	v_subrev_co_ci_u32_e64 v15, null, 0, v40, s0
	v_add_co_u32 v9, vcc_lo, v9, v63
	v_add_co_ci_u32_e64 v10, null, v10, v64, vcc_lo
	v_add_co_u32 v13, s0, v14, v13
	v_add_co_ci_u32_e64 v11, null, v15, v11, s0
	v_cmp_gt_i64_e32 vcc_lo, v[9:10], v[43:44]
	v_mov_b32_e32 v47, 0
	v_mov_b32_e32 v51, 0
	;; [unrolled: 1-line block ×5, first 2 shown]
	v_cndmask_b32_e32 v9, v43, v9, vcc_lo
	v_cndmask_b32_e32 v10, v44, v10, vcc_lo
	v_mov_b32_e32 v59, 0
	v_mov_b32_e32 v57, 0
	v_mov_b32_e32 v49, 0
	v_add_co_u32 v9, vcc_lo, v13, v9
	v_mov_b32_e32 v12, 0
	v_mov_b32_e32 v48, 0
	;; [unrolled: 1-line block ×4, first 2 shown]
	v_add_co_ci_u32_e64 v10, null, v11, v10, vcc_lo
	v_and_b32_e32 v11, 48, v9
	v_mov_b32_e32 v56, 0
	v_mov_b32_e32 v62, 0
	;; [unrolled: 1-line block ×5, first 2 shown]
	s_mov_b32 s6, exec_lo
	v_cmpx_ne_u64_e32 48, v[11:12]
	s_cbranch_execz .LBB147_31
; %bb.28:
	v_lshrrev_b32_e32 v13, 4, v9
	v_lshlrev_b64 v[11:12], 3, v[41:42]
	v_mov_b32_e32 v49, 0
	v_mov_b32_e32 v57, 0
	;; [unrolled: 1-line block ×3, first 2 shown]
	v_add_nc_u32_e32 v13, 1, v13
	v_mov_b32_e32 v61, 0
	v_add_co_u32 v11, vcc_lo, s12, v11
	v_mov_b32_e32 v55, 0
	v_and_b32_e32 v13, 3, v13
	v_mov_b32_e32 v53, 0
	v_mov_b32_e32 v51, 0
	v_mov_b32_e32 v47, 0
	v_mov_b32_e32 v50, 0
	v_sub_co_u32 v13, s0, 0, v13
	v_mov_b32_e32 v58, 0
	v_mov_b32_e32 v60, 0
	v_add_co_ci_u32_e64 v12, null, s13, v12, vcc_lo
	v_mov_b32_e32 v62, 0
	v_mov_b32_e32 v56, 0
	;; [unrolled: 1-line block ×5, first 2 shown]
	v_sub_co_ci_u32_e64 v14, null, 0, 0, s0
	s_mov_b32 s7, 0
.LBB147_29:                             ; =>This Inner Loop Header: Depth=1
	global_load_dwordx2 v[23:24], v[11:12], off
	s_clause 0x1
	global_load_dwordx4 v[15:18], v[45:46], off offset:16
	global_load_dwordx4 v[19:22], v[45:46], off
	v_add_co_u32 v11, s0, 0x80, v11
	v_add_co_ci_u32_e64 v12, null, 0, v12, s0
	s_waitcnt vmcnt(2)
	v_sub_co_u32 v23, vcc_lo, v23, v39
	v_sub_co_ci_u32_e64 v24, null, v24, v40, vcc_lo
	v_lshlrev_b64 v[23:24], 6, v[23:24]
	v_add_co_u32 v35, vcc_lo, s2, v23
	v_add_co_ci_u32_e64 v36, null, s3, v24, vcc_lo
	s_clause 0x1
	global_load_dwordx4 v[23:26], v[35:36], off
	global_load_dwordx4 v[27:30], v[35:36], off offset:16
	s_clause 0x3
	global_load_dwordx4 v[31:34], v[45:46], off offset:32
	global_load_dwordx4 v[63:66], v[45:46], off offset:48
	;; [unrolled: 1-line block ×4, first 2 shown]
	s_clause 0x1
	global_load_dwordx4 v[75:78], v[35:36], off offset:32
	global_load_dwordx4 v[79:82], v[35:36], off offset:48
	s_clause 0x1
	global_load_dwordx4 v[83:86], v[45:46], off offset:96
	global_load_dwordx4 v[87:90], v[45:46], off offset:112
	v_add_co_u32 v45, vcc_lo, 0x800, v45
	v_add_co_ci_u32_e64 v46, null, 0, v46, vcc_lo
	v_add_co_u32 v13, vcc_lo, v13, 1
	v_add_co_ci_u32_e64 v14, null, 0, v14, vcc_lo
	v_add_co_u32 v41, vcc_lo, v41, 16
	v_add_co_ci_u32_e64 v42, null, 0, v42, vcc_lo
	v_cmp_eq_u64_e32 vcc_lo, 0, v[13:14]
	s_or_b32 s7, vcc_lo, s7
	s_waitcnt vmcnt(9)
	v_fma_f64 v[35:36], v[19:20], v[23:24], v[57:58]
	v_fma_f64 v[49:50], v[23:24], 0, v[49:50]
	;; [unrolled: 1-line block ×16, first 2 shown]
	s_waitcnt vmcnt(7)
	v_fma_f64 v[23:24], v[31:32], v[27:28], v[35:36]
	v_fma_f64 v[19:20], v[27:28], 0, v[19:20]
	;; [unrolled: 1-line block ×4, first 2 shown]
	s_waitcnt vmcnt(6)
	v_fma_f64 v[35:36], v[63:64], v[27:28], v[51:52]
	v_fma_f64 v[15:16], v[27:28], 0, v[15:16]
	;; [unrolled: 1-line block ×12, first 2 shown]
	s_waitcnt vmcnt(3)
	v_fma_f64 v[23:24], v[71:72], v[75:76], v[23:24]
	v_fma_f64 v[19:20], v[75:76], 0, v[19:20]
	;; [unrolled: 1-line block ×16, first 2 shown]
	s_waitcnt vmcnt(1)
	v_fma_f64 v[23:24], v[83:84], v[79:80], v[23:24]
	v_fma_f64 v[19:20], v[79:80], 0, v[19:20]
	;; [unrolled: 1-line block ×4, first 2 shown]
	s_waitcnt vmcnt(0)
	v_fma_f64 v[27:28], v[87:88], v[79:80], v[27:28]
	v_fma_f64 v[15:16], v[79:80], 0, v[15:16]
	;; [unrolled: 1-line block ×12, first 2 shown]
	s_andn2_b32 exec_lo, exec_lo, s7
	s_cbranch_execnz .LBB147_29
; %bb.30:
	s_or_b32 exec_lo, exec_lo, s7
.LBB147_31:
	s_or_b32 exec_lo, exec_lo, s6
	s_mov_b32 s6, exec_lo
	v_cmpx_lt_u64_e32 47, v[9:10]
	s_cbranch_execz .LBB147_35
; %bb.32:
	v_lshlrev_b64 v[9:10], 3, v[41:42]
	s_mov_b32 s7, 0
	v_add_co_u32 v9, vcc_lo, s12, v9
	v_add_co_ci_u32_e64 v10, null, s13, v10, vcc_lo
	v_add_co_u32 v63, vcc_lo, 0x100, v9
	v_add_co_ci_u32_e64 v64, null, 0, v10, vcc_lo
.LBB147_33:                             ; =>This Inner Loop Header: Depth=1
	global_load_dwordx2 v[113:114], v[63:64], off offset:-256
	s_clause 0x7
	global_load_dwordx4 v[13:16], v[45:46], off offset:48
	global_load_dwordx4 v[21:24], v[45:46], off offset:32
	global_load_dwordx4 v[33:36], v[45:46], off offset:16
	global_load_dwordx4 v[65:68], v[45:46], off
	global_load_dwordx4 v[9:12], v[45:46], off offset:112
	global_load_dwordx4 v[17:20], v[45:46], off offset:96
	;; [unrolled: 1-line block ×4, first 2 shown]
	v_add_co_u32 v93, vcc_lo, 0x800, v45
	v_add_co_ci_u32_e64 v94, null, 0, v46, vcc_lo
	v_add_co_u32 v101, vcc_lo, v45, 0x1000
	v_add_co_ci_u32_e64 v102, null, 0, v46, vcc_lo
	;; [unrolled: 2-line block ×4, first 2 shown]
	s_clause 0x2
	global_load_dwordx2 v[123:124], v[63:64], off offset:-128
	global_load_dwordx2 v[125:126], v[63:64], off
	global_load_dwordx2 v[127:128], v[63:64], off offset:128
	s_clause 0xa
	global_load_dwordx4 v[69:72], v[93:94], off offset:32
	global_load_dwordx4 v[73:76], v[93:94], off offset:16
	;; [unrolled: 1-line block ×7, first 2 shown]
	global_load_dwordx4 v[97:100], v[101:102], off offset:-2048
	global_load_dwordx4 v[101:104], v[101:102], off
	global_load_dwordx4 v[105:108], v[121:122], off offset:48
	global_load_dwordx4 v[109:112], v[121:122], off offset:32
	v_add_co_u32 v45, s0, 0x2000, v45
	v_add_co_ci_u32_e64 v46, null, 0, v46, s0
	s_waitcnt vmcnt(22)
	v_sub_co_u32 v113, vcc_lo, v113, v39
	v_sub_co_ci_u32_e64 v114, null, v114, v40, vcc_lo
	v_lshlrev_b64 v[113:114], 6, v[113:114]
	v_add_co_u32 v131, vcc_lo, s2, v113
	v_add_co_ci_u32_e64 v132, null, s3, v114, vcc_lo
	s_clause 0x1
	global_load_dwordx4 v[113:116], v[131:132], off
	global_load_dwordx4 v[117:120], v[131:132], off offset:16
	s_waitcnt vmcnt(1)
	v_fma_f64 v[49:50], v[113:114], 0, v[49:50]
	v_fma_f64 v[133:134], v[65:66], v[113:114], v[57:58]
	;; [unrolled: 1-line block ×10, first 2 shown]
	global_load_dwordx4 v[57:60], v[121:122], off offset:16
	v_fma_f64 v[113:114], v[35:36], v[115:116], v[51:52]
	v_fma_f64 v[133:134], 0x80000000, v[115:116], v[133:134]
	;; [unrolled: 1-line block ×4, first 2 shown]
	s_waitcnt vmcnt(1)
	v_fma_f64 v[65:66], v[117:118], 0, v[65:66]
	v_fma_f64 v[55:56], v[33:34], v[115:116], v[49:50]
	v_sub_co_u32 v49, vcc_lo, v123, v39
	v_sub_co_ci_u32_e64 v50, null, v124, v40, vcc_lo
	global_load_dwordx4 v[33:36], v[121:122], off offset:112
	v_fma_f64 v[115:116], 0x80000000, v[115:116], v[47:48]
	v_fma_f64 v[67:68], v[117:118], 0, v[67:68]
	v_lshlrev_b64 v[49:50], 6, v[49:50]
	v_fma_f64 v[61:62], v[23:24], v[117:118], v[61:62]
	v_add_co_u32 v123, vcc_lo, s2, v49
	v_add_co_ci_u32_e64 v124, null, s3, v50, vcc_lo
	s_clause 0x1
	global_load_dwordx4 v[47:50], v[131:132], off offset:32
	global_load_dwordx4 v[51:54], v[131:132], off offset:48
	v_fma_f64 v[131:132], v[21:22], v[117:118], v[133:134]
	v_fma_f64 v[133:134], v[21:22], v[119:120], v[65:66]
	;; [unrolled: 1-line block ×6, first 2 shown]
	global_load_dwordx4 v[21:24], v[123:124], off
	v_fma_f64 v[67:68], v[13:14], v[117:118], v[135:136]
	v_fma_f64 v[61:62], 0x80000000, v[119:120], v[61:62]
	;; [unrolled: 1-line block ×5, first 2 shown]
	global_load_dwordx4 v[13:16], v[123:124], off offset:16
	v_fma_f64 v[113:114], 0x80000000, v[119:120], v[113:114]
	v_fma_f64 v[131:132], 0x80000000, v[119:120], v[67:68]
	global_load_dwordx4 v[65:68], v[123:124], off offset:32
	s_waitcnt vmcnt(4)
	v_fma_f64 v[119:120], v[47:48], 0, v[133:134]
	v_fma_f64 v[133:134], v[47:48], 0, v[137:138]
	;; [unrolled: 1-line block ×8, first 2 shown]
	global_load_dwordx4 v[29:32], v[123:124], off offset:48
	v_fma_f64 v[123:124], v[25:26], v[47:48], v[131:132]
	v_fma_f64 v[47:48], v[27:28], v[47:48], v[113:114]
	;; [unrolled: 1-line block ×3, first 2 shown]
	v_sub_co_u32 v115, vcc_lo, v125, v39
	v_sub_co_ci_u32_e64 v116, null, v126, v40, vcc_lo
	v_fma_f64 v[55:56], v[25:26], v[49:50], v[55:56]
	v_fma_f64 v[61:62], 0x80000000, v[49:50], v[61:62]
	global_load_dwordx4 v[25:28], v[121:122], off offset:96
	v_lshlrev_b64 v[115:116], 6, v[115:116]
	v_add_co_u32 v125, vcc_lo, s2, v115
	v_add_co_ci_u32_e64 v126, null, s3, v116, vcc_lo
	v_fma_f64 v[115:116], 0x80000000, v[49:50], v[117:118]
	s_waitcnt vmcnt(5)
	v_fma_f64 v[119:120], v[51:52], 0, v[119:120]
	v_fma_f64 v[117:118], 0x80000000, v[49:50], v[123:124]
	v_fma_f64 v[123:124], 0x80000000, v[49:50], v[47:48]
	global_load_dwordx4 v[47:50], v[125:126], off
	v_fma_f64 v[113:114], v[51:52], 0, v[113:114]
	v_fma_f64 v[131:132], v[51:52], 0, v[133:134]
	;; [unrolled: 1-line block ×9, first 2 shown]
	v_sub_co_u32 v113, vcc_lo, v127, v39
	v_sub_co_ci_u32_e64 v114, null, v128, v40, vcc_lo
	v_fma_f64 v[55:56], v[9:10], v[53:54], v[55:56]
	global_load_dwordx4 v[9:12], v[125:126], off offset:16
	v_fma_f64 v[131:132], v[19:20], v[53:54], v[131:132]
	v_lshlrev_b64 v[113:114], 6, v[113:114]
	global_load_dwordx4 v[17:20], v[121:122], off offset:80
	v_fma_f64 v[61:62], 0x80000000, v[53:54], v[61:62]
	v_add_co_u32 v127, vcc_lo, s2, v113
	v_add_co_ci_u32_e64 v128, null, s3, v114, vcc_lo
	global_load_dwordx4 v[113:116], v[121:122], off offset:64
	v_fma_f64 v[121:122], 0x80000000, v[53:54], v[133:134]
	v_fma_f64 v[117:118], 0x80000000, v[53:54], v[117:118]
	;; [unrolled: 1-line block ×3, first 2 shown]
	global_load_dwordx4 v[51:54], v[125:126], off offset:32
	s_waitcnt vmcnt(9)
	v_fma_f64 v[119:120], v[21:22], 0, v[119:120]
	v_fma_f64 v[123:124], v[21:22], 0, v[123:124]
	v_add_co_u32 v41, vcc_lo, v41, 64
	v_fma_f64 v[55:56], v[21:22], 0, v[55:56]
	v_add_co_ci_u32_e64 v42, null, 0, v42, vcc_lo
	v_fma_f64 v[131:132], v[21:22], 0, v[131:132]
	v_add_co_u32 v63, vcc_lo, 0x200, v63
	v_fma_f64 v[61:62], v[99:100], v[21:22], v[61:62]
	v_add_co_ci_u32_e64 v64, null, 0, v64, vcc_lo
	v_cmp_ge_i64_e32 vcc_lo, v[41:42], v[43:44]
	v_fma_f64 v[121:122], v[97:98], v[21:22], v[121:122]
	v_fma_f64 v[117:118], v[73:74], v[21:22], v[117:118]
	;; [unrolled: 1-line block ×3, first 2 shown]
	s_or_b32 s7, vcc_lo, s7
	v_fma_f64 v[119:120], v[97:98], v[23:24], v[119:120]
	v_fma_f64 v[123:124], v[75:76], v[23:24], v[123:124]
	v_fma_f64 v[55:56], v[73:74], v[23:24], v[55:56]
	global_load_dwordx4 v[73:76], v[129:130], off offset:16
	v_fma_f64 v[131:132], v[99:100], v[23:24], v[131:132]
	global_load_dwordx4 v[97:100], v[129:130], off
	v_fma_f64 v[61:62], 0x80000000, v[23:24], v[61:62]
	v_fma_f64 v[121:122], 0x80000000, v[23:24], v[121:122]
	;; [unrolled: 1-line block ×4, first 2 shown]
	global_load_dwordx4 v[21:24], v[125:126], off offset:48
	s_waitcnt vmcnt(11)
	v_fma_f64 v[119:120], v[13:14], 0, v[119:120]
	v_fma_f64 v[123:124], v[13:14], 0, v[123:124]
	;; [unrolled: 1-line block ×11, first 2 shown]
	global_load_dwordx4 v[89:92], v[127:128], off offset:16
	v_fma_f64 v[125:126], v[71:72], v[15:16], v[125:126]
	global_load_dwordx4 v[69:72], v[127:128], off
	v_fma_f64 v[61:62], 0x80000000, v[15:16], v[61:62]
	v_fma_f64 v[121:122], 0x80000000, v[15:16], v[121:122]
	;; [unrolled: 1-line block ×4, first 2 shown]
	global_load_dwordx4 v[13:16], v[129:130], off offset:48
	s_waitcnt vmcnt(13)
	v_fma_f64 v[119:120], v[65:66], 0, v[119:120]
	v_fma_f64 v[123:124], v[65:66], 0, v[123:124]
	;; [unrolled: 1-line block ×11, first 2 shown]
	global_load_dwordx4 v[85:88], v[129:130], off offset:80
	v_fma_f64 v[125:126], v[95:96], v[67:68], v[125:126]
	global_load_dwordx4 v[93:96], v[129:130], off offset:32
	v_fma_f64 v[61:62], 0x80000000, v[67:68], v[61:62]
	v_fma_f64 v[121:122], 0x80000000, v[67:68], v[121:122]
	;; [unrolled: 1-line block ×4, first 2 shown]
	global_load_dwordx4 v[65:68], v[129:130], off offset:64
	s_waitcnt vmcnt(15)
	v_fma_f64 v[117:118], v[29:30], 0, v[119:120]
	v_fma_f64 v[119:120], v[29:30], 0, v[125:126]
	;; [unrolled: 1-line block ×7, first 2 shown]
	s_clause 0x1
	global_load_dwordx4 v[81:84], v[127:128], off offset:32
	global_load_dwordx4 v[117:120], v[127:128], off offset:48
	v_fma_f64 v[127:128], v[77:78], v[29:30], v[131:132]
	v_fma_f64 v[131:132], v[79:80], v[29:30], v[133:134]
	;; [unrolled: 1-line block ×6, first 2 shown]
	s_waitcnt vmcnt(15)
	v_fma_f64 v[125:126], v[47:48], 0, v[125:126]
	v_fma_f64 v[123:124], 0x80000000, v[31:32], v[127:128]
	v_fma_f64 v[127:128], 0x80000000, v[31:32], v[131:132]
	v_fma_f64 v[131:132], v[79:80], v[31:32], v[29:30]
	s_clause 0x1
	global_load_dwordx4 v[29:32], v[129:130], off offset:96
	global_load_dwordx4 v[77:80], v[129:130], off offset:112
	v_fma_f64 v[121:122], v[101:102], v[47:48], v[121:122]
	v_fma_f64 v[61:62], v[103:104], v[47:48], v[61:62]
	v_fma_f64 v[129:130], v[47:48], 0, v[135:136]
	v_fma_f64 v[55:56], v[47:48], 0, v[55:56]
	v_fma_f64 v[101:102], v[101:102], v[49:50], v[125:126]
	v_fma_f64 v[123:124], v[57:58], v[47:48], v[123:124]
	v_fma_f64 v[127:128], v[59:60], v[47:48], v[127:128]
	v_fma_f64 v[47:48], v[47:48], 0, v[131:132]
	v_fma_f64 v[121:122], 0x80000000, v[49:50], v[121:122]
	v_fma_f64 v[61:62], 0x80000000, v[49:50], v[61:62]
	v_fma_f64 v[103:104], v[103:104], v[49:50], v[129:130]
	v_fma_f64 v[55:56], v[57:58], v[49:50], v[55:56]
	v_fma_f64 v[123:124], 0x80000000, v[49:50], v[123:124]
	v_fma_f64 v[57:58], 0x80000000, v[49:50], v[127:128]
	v_fma_f64 v[47:48], v[59:60], v[49:50], v[47:48]
	s_waitcnt vmcnt(16)
	v_fma_f64 v[59:60], v[9:10], 0, v[101:102]
	v_fma_f64 v[49:50], v[109:110], v[9:10], v[121:122]
	v_fma_f64 v[61:62], v[111:112], v[9:10], v[61:62]
	v_fma_f64 v[101:102], v[9:10], 0, v[103:104]
	v_fma_f64 v[55:56], v[9:10], 0, v[55:56]
	v_fma_f64 v[103:104], v[105:106], v[9:10], v[123:124]
	v_fma_f64 v[57:58], v[107:108], v[9:10], v[57:58]
	v_fma_f64 v[9:10], v[9:10], 0, v[47:48]
	v_fma_f64 v[47:48], 0x80000000, v[11:12], v[49:50]
	v_fma_f64 v[49:50], v[109:110], v[11:12], v[59:60]
	v_fma_f64 v[59:60], 0x80000000, v[11:12], v[61:62]
	v_fma_f64 v[61:62], v[111:112], v[11:12], v[101:102]
	v_fma_f64 v[55:56], v[105:106], v[11:12], v[55:56]
	v_fma_f64 v[101:102], 0x80000000, v[11:12], v[103:104]
	v_fma_f64 v[57:58], 0x80000000, v[11:12], v[57:58]
	v_fma_f64 v[9:10], v[107:108], v[11:12], v[9:10]
	s_waitcnt vmcnt(13)
	v_fma_f64 v[11:12], v[113:114], v[51:52], v[47:48]
	;; [unrolled: 17-line block ×7, first 2 shown]
	v_fma_f64 v[15:16], v[117:118], 0, v[15:16]
	v_fma_f64 v[19:20], v[31:32], v[117:118], v[19:20]
	;; [unrolled: 1-line block ×3, first 2 shown]
	s_waitcnt vmcnt(0)
	v_fma_f64 v[23:24], v[77:78], v[117:118], v[23:24]
	v_fma_f64 v[13:14], v[117:118], 0, v[13:14]
	;; [unrolled: 1-line block ×12, first 2 shown]
	s_andn2_b32 exec_lo, exec_lo, s7
	s_cbranch_execnz .LBB147_33
; %bb.34:
	s_or_b32 exec_lo, exec_lo, s7
.LBB147_35:
	s_or_b32 exec_lo, exec_lo, s6
.LBB147_36:
	s_or_b32 exec_lo, exec_lo, s1
.LBB147_37:
	v_mbcnt_lo_u32_b32 v43, -1, 0
	v_xor_b32_e32 v9, 8, v43
	v_xor_b32_e32 v25, 4, v43
	v_cmp_gt_i32_e32 vcc_lo, 32, v9
	v_cndmask_b32_e32 v9, v43, v9, vcc_lo
	v_cmp_gt_i32_e32 vcc_lo, 32, v25
	v_lshlrev_b32_e32 v24, 2, v9
	v_cndmask_b32_e32 v25, v43, v25, vcc_lo
	ds_bpermute_b32 v9, v24, v57
	ds_bpermute_b32 v10, v24, v58
	;; [unrolled: 1-line block ×16, first 2 shown]
	v_lshlrev_b32_e32 v42, 2, v25
	s_waitcnt lgkmcnt(14)
	v_add_f64 v[9:10], v[57:58], v[9:10]
	s_waitcnt lgkmcnt(12)
	v_add_f64 v[11:12], v[49:50], v[11:12]
	;; [unrolled: 2-line block ×8, first 2 shown]
	ds_bpermute_b32 v25, v42, v9
	ds_bpermute_b32 v26, v42, v10
	ds_bpermute_b32 v27, v42, v11
	ds_bpermute_b32 v28, v42, v12
	ds_bpermute_b32 v29, v42, v13
	ds_bpermute_b32 v30, v42, v14
	ds_bpermute_b32 v31, v42, v15
	ds_bpermute_b32 v32, v42, v16
	ds_bpermute_b32 v33, v42, v17
	ds_bpermute_b32 v34, v42, v18
	ds_bpermute_b32 v35, v42, v19
	ds_bpermute_b32 v36, v42, v20
	ds_bpermute_b32 v39, v42, v21
	ds_bpermute_b32 v40, v42, v22
	ds_bpermute_b32 v41, v42, v23
	ds_bpermute_b32 v42, v42, v24
	s_waitcnt lgkmcnt(14)
	v_add_f64 v[9:10], v[9:10], v[25:26]
	v_xor_b32_e32 v25, 2, v43
	s_waitcnt lgkmcnt(12)
	v_add_f64 v[11:12], v[11:12], v[27:28]
	s_waitcnt lgkmcnt(10)
	v_add_f64 v[13:14], v[13:14], v[29:30]
	v_cmp_gt_i32_e32 vcc_lo, 32, v25
	s_waitcnt lgkmcnt(8)
	v_add_f64 v[15:16], v[15:16], v[31:32]
	s_waitcnt lgkmcnt(6)
	v_add_f64 v[17:18], v[17:18], v[33:34]
	;; [unrolled: 2-line block ×3, first 2 shown]
	v_cndmask_b32_e32 v27, v43, v25, vcc_lo
	s_waitcnt lgkmcnt(2)
	v_add_f64 v[21:22], v[21:22], v[39:40]
	s_waitcnt lgkmcnt(0)
	v_add_f64 v[25:26], v[23:24], v[41:42]
	v_lshlrev_b32_e32 v42, 2, v27
	ds_bpermute_b32 v23, v42, v9
	ds_bpermute_b32 v24, v42, v10
	;; [unrolled: 1-line block ×16, first 2 shown]
	s_waitcnt lgkmcnt(14)
	v_add_f64 v[9:10], v[9:10], v[23:24]
	s_waitcnt lgkmcnt(12)
	v_add_f64 v[27:28], v[11:12], v[27:28]
	;; [unrolled: 2-line block ×3, first 2 shown]
	v_xor_b32_e32 v29, 1, v43
	s_waitcnt lgkmcnt(8)
	v_add_f64 v[23:24], v[15:16], v[31:32]
	s_waitcnt lgkmcnt(6)
	v_add_f64 v[13:14], v[17:18], v[33:34]
	v_cmp_gt_i32_e32 vcc_lo, 32, v29
	s_waitcnt lgkmcnt(4)
	v_add_f64 v[17:18], v[19:20], v[35:36]
	s_waitcnt lgkmcnt(2)
	v_add_f64 v[15:16], v[21:22], v[39:40]
	;; [unrolled: 2-line block ×3, first 2 shown]
	v_cndmask_b32_e32 v29, v43, v29, vcc_lo
	v_cmp_eq_u32_e32 vcc_lo, 15, v0
	v_lshlrev_b32_e32 v34, 2, v29
	ds_bpermute_b32 v21, v34, v9
	ds_bpermute_b32 v22, v34, v10
	;; [unrolled: 1-line block ×16, first 2 shown]
	s_and_b32 exec_lo, exec_lo, vcc_lo
	s_cbranch_execz .LBB147_8
; %bb.38:
	s_waitcnt lgkmcnt(12)
	v_add_f64 v[27:28], v[27:28], v[41:42]
	s_waitcnt lgkmcnt(8)
	v_add_f64 v[23:24], v[23:24], v[39:40]
	;; [unrolled: 2-line block ×4, first 2 shown]
	v_add_f64 v[9:10], v[9:10], v[21:22]
	v_add_f64 v[11:12], v[11:12], v[25:26]
	;; [unrolled: 1-line block ×4, first 2 shown]
	v_cmp_eq_f64_e32 vcc_lo, 0, v[1:2]
	v_cmp_eq_f64_e64 s0, 0, v[3:4]
	s_load_dwordx2 s[2:3], s[4:5], 0x68
	v_mul_f64 v[13:14], v[27:28], -v[7:8]
	v_mul_f64 v[15:16], v[5:6], v[27:28]
	v_mul_f64 v[27:28], v[23:24], -v[7:8]
	v_mul_f64 v[23:24], v[5:6], v[23:24]
	;; [unrolled: 2-line block ×4, first 2 shown]
	s_and_b32 s0, vcc_lo, s0
	v_fma_f64 v[17:18], v[5:6], v[9:10], v[13:14]
	v_fma_f64 v[19:20], v[7:8], v[9:10], v[15:16]
	;; [unrolled: 1-line block ×8, first 2 shown]
	v_lshlrev_b64 v[21:22], 6, v[37:38]
	s_and_saveexec_b32 s1, s0
	s_xor_b32 s0, exec_lo, s1
	s_cbranch_execz .LBB147_40
; %bb.39:
	s_waitcnt lgkmcnt(0)
	v_add_co_u32 v0, vcc_lo, s2, v21
	v_add_co_ci_u32_e64 v1, null, s3, v22, vcc_lo
                                        ; implicit-def: $vgpr21_vgpr22
	global_store_dwordx4 v[0:1], v[17:20], off
	global_store_dwordx4 v[0:1], v[13:16], off offset:16
	global_store_dwordx4 v[0:1], v[9:12], off offset:32
	;; [unrolled: 1-line block ×3, first 2 shown]
                                        ; implicit-def: $vgpr3_vgpr4
                                        ; implicit-def: $vgpr17_vgpr18
                                        ; implicit-def: $vgpr13_vgpr14
                                        ; implicit-def: $vgpr9_vgpr10
                                        ; implicit-def: $vgpr5_vgpr6
.LBB147_40:
	s_andn2_saveexec_b32 s0, s0
	s_cbranch_execz .LBB147_8
; %bb.41:
	s_waitcnt lgkmcnt(0)
	v_add_co_u32 v37, vcc_lo, s2, v21
	v_add_co_ci_u32_e64 v38, null, s3, v22, vcc_lo
	s_clause 0x3
	global_load_dwordx4 v[21:24], v[37:38], off
	global_load_dwordx4 v[25:28], v[37:38], off offset:16
	global_load_dwordx4 v[29:32], v[37:38], off offset:32
	;; [unrolled: 1-line block ×3, first 2 shown]
	s_waitcnt vmcnt(3)
	v_fma_f64 v[17:18], v[1:2], v[21:22], v[17:18]
	v_fma_f64 v[19:20], v[3:4], v[21:22], v[19:20]
	s_waitcnt vmcnt(2)
	v_fma_f64 v[13:14], v[1:2], v[25:26], v[13:14]
	v_fma_f64 v[15:16], v[3:4], v[25:26], v[15:16]
	;; [unrolled: 3-line block ×4, first 2 shown]
	v_fma_f64 v[5:6], -v[3:4], v[23:24], v[17:18]
	v_fma_f64 v[7:8], v[1:2], v[23:24], v[19:20]
	v_fma_f64 v[9:10], -v[3:4], v[27:28], v[13:14]
	v_fma_f64 v[11:12], v[1:2], v[27:28], v[15:16]
	;; [unrolled: 2-line block ×4, first 2 shown]
	global_store_dwordx4 v[37:38], v[5:8], off
	global_store_dwordx4 v[37:38], v[9:12], off offset:16
	global_store_dwordx4 v[37:38], v[13:16], off offset:32
	;; [unrolled: 1-line block ×3, first 2 shown]
	s_endpgm
	.section	.rodata,"a",@progbits
	.p2align	6, 0x0
	.amdhsa_kernel _ZN9rocsparseL18bsrxmvn_4x4_kernelILj128ELj16E21rocsparse_complex_numIdElldS2_S2_EEvT3_20rocsparse_direction_NS_24const_host_device_scalarIT1_EES3_PKS3_PKT2_SC_S9_PKT4_PKT5_S7_PT6_21rocsparse_index_base_b
		.amdhsa_group_segment_fixed_size 0
		.amdhsa_private_segment_fixed_size 0
		.amdhsa_kernarg_size 120
		.amdhsa_user_sgpr_count 6
		.amdhsa_user_sgpr_private_segment_buffer 1
		.amdhsa_user_sgpr_dispatch_ptr 0
		.amdhsa_user_sgpr_queue_ptr 0
		.amdhsa_user_sgpr_kernarg_segment_ptr 1
		.amdhsa_user_sgpr_dispatch_id 0
		.amdhsa_user_sgpr_flat_scratch_init 0
		.amdhsa_user_sgpr_private_segment_size 0
		.amdhsa_wavefront_size32 1
		.amdhsa_uses_dynamic_stack 0
		.amdhsa_system_sgpr_private_segment_wavefront_offset 0
		.amdhsa_system_sgpr_workgroup_id_x 1
		.amdhsa_system_sgpr_workgroup_id_y 0
		.amdhsa_system_sgpr_workgroup_id_z 0
		.amdhsa_system_sgpr_workgroup_info 0
		.amdhsa_system_vgpr_workitem_id 0
		.amdhsa_next_free_vgpr 159
		.amdhsa_next_free_sgpr 16
		.amdhsa_reserve_vcc 1
		.amdhsa_reserve_flat_scratch 0
		.amdhsa_float_round_mode_32 0
		.amdhsa_float_round_mode_16_64 0
		.amdhsa_float_denorm_mode_32 3
		.amdhsa_float_denorm_mode_16_64 3
		.amdhsa_dx10_clamp 1
		.amdhsa_ieee_mode 1
		.amdhsa_fp16_overflow 0
		.amdhsa_workgroup_processor_mode 1
		.amdhsa_memory_ordered 1
		.amdhsa_forward_progress 1
		.amdhsa_shared_vgpr_count 0
		.amdhsa_exception_fp_ieee_invalid_op 0
		.amdhsa_exception_fp_denorm_src 0
		.amdhsa_exception_fp_ieee_div_zero 0
		.amdhsa_exception_fp_ieee_overflow 0
		.amdhsa_exception_fp_ieee_underflow 0
		.amdhsa_exception_fp_ieee_inexact 0
		.amdhsa_exception_int_div_zero 0
	.end_amdhsa_kernel
	.section	.text._ZN9rocsparseL18bsrxmvn_4x4_kernelILj128ELj16E21rocsparse_complex_numIdElldS2_S2_EEvT3_20rocsparse_direction_NS_24const_host_device_scalarIT1_EES3_PKS3_PKT2_SC_S9_PKT4_PKT5_S7_PT6_21rocsparse_index_base_b,"axG",@progbits,_ZN9rocsparseL18bsrxmvn_4x4_kernelILj128ELj16E21rocsparse_complex_numIdElldS2_S2_EEvT3_20rocsparse_direction_NS_24const_host_device_scalarIT1_EES3_PKS3_PKT2_SC_S9_PKT4_PKT5_S7_PT6_21rocsparse_index_base_b,comdat
.Lfunc_end147:
	.size	_ZN9rocsparseL18bsrxmvn_4x4_kernelILj128ELj16E21rocsparse_complex_numIdElldS2_S2_EEvT3_20rocsparse_direction_NS_24const_host_device_scalarIT1_EES3_PKS3_PKT2_SC_S9_PKT4_PKT5_S7_PT6_21rocsparse_index_base_b, .Lfunc_end147-_ZN9rocsparseL18bsrxmvn_4x4_kernelILj128ELj16E21rocsparse_complex_numIdElldS2_S2_EEvT3_20rocsparse_direction_NS_24const_host_device_scalarIT1_EES3_PKS3_PKT2_SC_S9_PKT4_PKT5_S7_PT6_21rocsparse_index_base_b
                                        ; -- End function
	.set _ZN9rocsparseL18bsrxmvn_4x4_kernelILj128ELj16E21rocsparse_complex_numIdElldS2_S2_EEvT3_20rocsparse_direction_NS_24const_host_device_scalarIT1_EES3_PKS3_PKT2_SC_S9_PKT4_PKT5_S7_PT6_21rocsparse_index_base_b.num_vgpr, 159
	.set _ZN9rocsparseL18bsrxmvn_4x4_kernelILj128ELj16E21rocsparse_complex_numIdElldS2_S2_EEvT3_20rocsparse_direction_NS_24const_host_device_scalarIT1_EES3_PKS3_PKT2_SC_S9_PKT4_PKT5_S7_PT6_21rocsparse_index_base_b.num_agpr, 0
	.set _ZN9rocsparseL18bsrxmvn_4x4_kernelILj128ELj16E21rocsparse_complex_numIdElldS2_S2_EEvT3_20rocsparse_direction_NS_24const_host_device_scalarIT1_EES3_PKS3_PKT2_SC_S9_PKT4_PKT5_S7_PT6_21rocsparse_index_base_b.numbered_sgpr, 16
	.set _ZN9rocsparseL18bsrxmvn_4x4_kernelILj128ELj16E21rocsparse_complex_numIdElldS2_S2_EEvT3_20rocsparse_direction_NS_24const_host_device_scalarIT1_EES3_PKS3_PKT2_SC_S9_PKT4_PKT5_S7_PT6_21rocsparse_index_base_b.num_named_barrier, 0
	.set _ZN9rocsparseL18bsrxmvn_4x4_kernelILj128ELj16E21rocsparse_complex_numIdElldS2_S2_EEvT3_20rocsparse_direction_NS_24const_host_device_scalarIT1_EES3_PKS3_PKT2_SC_S9_PKT4_PKT5_S7_PT6_21rocsparse_index_base_b.private_seg_size, 0
	.set _ZN9rocsparseL18bsrxmvn_4x4_kernelILj128ELj16E21rocsparse_complex_numIdElldS2_S2_EEvT3_20rocsparse_direction_NS_24const_host_device_scalarIT1_EES3_PKS3_PKT2_SC_S9_PKT4_PKT5_S7_PT6_21rocsparse_index_base_b.uses_vcc, 1
	.set _ZN9rocsparseL18bsrxmvn_4x4_kernelILj128ELj16E21rocsparse_complex_numIdElldS2_S2_EEvT3_20rocsparse_direction_NS_24const_host_device_scalarIT1_EES3_PKS3_PKT2_SC_S9_PKT4_PKT5_S7_PT6_21rocsparse_index_base_b.uses_flat_scratch, 0
	.set _ZN9rocsparseL18bsrxmvn_4x4_kernelILj128ELj16E21rocsparse_complex_numIdElldS2_S2_EEvT3_20rocsparse_direction_NS_24const_host_device_scalarIT1_EES3_PKS3_PKT2_SC_S9_PKT4_PKT5_S7_PT6_21rocsparse_index_base_b.has_dyn_sized_stack, 0
	.set _ZN9rocsparseL18bsrxmvn_4x4_kernelILj128ELj16E21rocsparse_complex_numIdElldS2_S2_EEvT3_20rocsparse_direction_NS_24const_host_device_scalarIT1_EES3_PKS3_PKT2_SC_S9_PKT4_PKT5_S7_PT6_21rocsparse_index_base_b.has_recursion, 0
	.set _ZN9rocsparseL18bsrxmvn_4x4_kernelILj128ELj16E21rocsparse_complex_numIdElldS2_S2_EEvT3_20rocsparse_direction_NS_24const_host_device_scalarIT1_EES3_PKS3_PKT2_SC_S9_PKT4_PKT5_S7_PT6_21rocsparse_index_base_b.has_indirect_call, 0
	.section	.AMDGPU.csdata,"",@progbits
; Kernel info:
; codeLenInByte = 10976
; TotalNumSgprs: 18
; NumVgprs: 159
; ScratchSize: 0
; MemoryBound: 0
; FloatMode: 240
; IeeeMode: 1
; LDSByteSize: 0 bytes/workgroup (compile time only)
; SGPRBlocks: 0
; VGPRBlocks: 19
; NumSGPRsForWavesPerEU: 18
; NumVGPRsForWavesPerEU: 159
; Occupancy: 6
; WaveLimiterHint : 1
; COMPUTE_PGM_RSRC2:SCRATCH_EN: 0
; COMPUTE_PGM_RSRC2:USER_SGPR: 6
; COMPUTE_PGM_RSRC2:TRAP_HANDLER: 0
; COMPUTE_PGM_RSRC2:TGID_X_EN: 1
; COMPUTE_PGM_RSRC2:TGID_Y_EN: 0
; COMPUTE_PGM_RSRC2:TGID_Z_EN: 0
; COMPUTE_PGM_RSRC2:TIDIG_COMP_CNT: 0
	.section	.text._ZN9rocsparseL18bsrxmvn_4x4_kernelILj128ELj32E21rocsparse_complex_numIdElldS2_S2_EEvT3_20rocsparse_direction_NS_24const_host_device_scalarIT1_EES3_PKS3_PKT2_SC_S9_PKT4_PKT5_S7_PT6_21rocsparse_index_base_b,"axG",@progbits,_ZN9rocsparseL18bsrxmvn_4x4_kernelILj128ELj32E21rocsparse_complex_numIdElldS2_S2_EEvT3_20rocsparse_direction_NS_24const_host_device_scalarIT1_EES3_PKS3_PKT2_SC_S9_PKT4_PKT5_S7_PT6_21rocsparse_index_base_b,comdat
	.globl	_ZN9rocsparseL18bsrxmvn_4x4_kernelILj128ELj32E21rocsparse_complex_numIdElldS2_S2_EEvT3_20rocsparse_direction_NS_24const_host_device_scalarIT1_EES3_PKS3_PKT2_SC_S9_PKT4_PKT5_S7_PT6_21rocsparse_index_base_b ; -- Begin function _ZN9rocsparseL18bsrxmvn_4x4_kernelILj128ELj32E21rocsparse_complex_numIdElldS2_S2_EEvT3_20rocsparse_direction_NS_24const_host_device_scalarIT1_EES3_PKS3_PKT2_SC_S9_PKT4_PKT5_S7_PT6_21rocsparse_index_base_b
	.p2align	8
	.type	_ZN9rocsparseL18bsrxmvn_4x4_kernelILj128ELj32E21rocsparse_complex_numIdElldS2_S2_EEvT3_20rocsparse_direction_NS_24const_host_device_scalarIT1_EES3_PKS3_PKT2_SC_S9_PKT4_PKT5_S7_PT6_21rocsparse_index_base_b,@function
_ZN9rocsparseL18bsrxmvn_4x4_kernelILj128ELj32E21rocsparse_complex_numIdElldS2_S2_EEvT3_20rocsparse_direction_NS_24const_host_device_scalarIT1_EES3_PKS3_PKT2_SC_S9_PKT4_PKT5_S7_PT6_21rocsparse_index_base_b: ; @_ZN9rocsparseL18bsrxmvn_4x4_kernelILj128ELj32E21rocsparse_complex_numIdElldS2_S2_EEvT3_20rocsparse_direction_NS_24const_host_device_scalarIT1_EES3_PKS3_PKT2_SC_S9_PKT4_PKT5_S7_PT6_21rocsparse_index_base_b
; %bb.0:
	s_clause 0x1
	s_load_dwordx2 s[2:3], s[4:5], 0x70
	s_load_dwordx2 s[0:1], s[4:5], 0x10
	s_add_u32 s7, s4, 16
	s_addc_u32 s10, s5, 0
	s_add_u32 s11, s4, 0x58
	s_addc_u32 s12, s5, 0
	s_load_dwordx2 s[8:9], s[4:5], 0x58
	s_waitcnt lgkmcnt(0)
	s_bitcmp1_b32 s3, 0
	s_cselect_b32 s0, s7, s0
	s_cselect_b32 s1, s10, s1
	v_mov_b32_e32 v1, s0
	v_mov_b32_e32 v2, s1
	s_cselect_b32 s0, s11, s8
	s_cselect_b32 s1, s12, s9
	flat_load_dwordx4 v[5:8], v[1:2]
	v_mov_b32_e32 v1, s0
	v_mov_b32_e32 v2, s1
	flat_load_dwordx4 v[1:4], v[1:2]
	s_waitcnt vmcnt(1) lgkmcnt(1)
	v_cmp_eq_f64_e32 vcc_lo, 0, v[5:6]
	v_cmp_eq_f64_e64 s0, 0, v[7:8]
	s_and_b32 s3, vcc_lo, s0
	s_mov_b32 s0, -1
	s_and_saveexec_b32 s1, s3
	s_cbranch_execz .LBB148_2
; %bb.1:
	s_waitcnt vmcnt(0) lgkmcnt(0)
	v_cmp_neq_f64_e32 vcc_lo, 1.0, v[1:2]
	v_cmp_neq_f64_e64 s0, 0, v[3:4]
	s_or_b32 s0, vcc_lo, s0
	s_orn2_b32 s0, s0, exec_lo
.LBB148_2:
	s_or_b32 exec_lo, exec_lo, s1
	s_and_saveexec_b32 s1, s0
	s_cbranch_execz .LBB148_8
; %bb.3:
	s_load_dwordx2 s[0:1], s[4:5], 0x28
	v_lshrrev_b32_e32 v9, 5, v0
	v_mov_b32_e32 v10, 0
	v_lshl_or_b32 v9, s6, 2, v9
	s_waitcnt lgkmcnt(0)
	s_cmp_lg_u64 s[0:1], 0
	s_cbranch_scc0 .LBB148_9
; %bb.4:
	s_load_dwordx2 s[6:7], s[4:5], 0x20
                                        ; implicit-def: $vgpr41_vgpr42
                                        ; implicit-def: $vgpr43_vgpr44
	s_waitcnt lgkmcnt(0)
	v_cmp_gt_i64_e32 vcc_lo, s[6:7], v[9:10]
	s_mov_b32 s7, 0
	s_mov_b32 s6, 0
	s_and_saveexec_b32 s3, vcc_lo
	s_xor_b32 s8, exec_lo, s3
	s_cbranch_execz .LBB148_6
; %bb.5:
	v_lshlrev_b64 v[11:12], 3, v[9:10]
	s_mov_b32 s3, 0
	s_mov_b32 s6, exec_lo
	v_mov_b32_e32 v44, s3
	v_mov_b32_e32 v43, s2
	v_add_co_u32 v11, vcc_lo, s0, v11
	v_add_co_ci_u32_e64 v12, null, s1, v12, vcc_lo
	global_load_dwordx2 v[11:12], v[11:12], off
	s_waitcnt vmcnt(0)
	v_sub_co_u32 v41, vcc_lo, v11, s2
	v_subrev_co_ci_u32_e64 v42, null, 0, v12, vcc_lo
.LBB148_6:
	s_or_b32 exec_lo, exec_lo, s8
	s_and_b32 vcc_lo, exec_lo, s7
	s_cbranch_vccnz .LBB148_10
.LBB148_7:
	s_and_b32 exec_lo, exec_lo, s6
	s_cbranch_execnz .LBB148_13
.LBB148_8:
	s_endpgm
.LBB148_9:
	s_mov_b32 s6, 0
                                        ; implicit-def: $vgpr41_vgpr42
                                        ; implicit-def: $vgpr43_vgpr44
	s_cbranch_execz .LBB148_7
.LBB148_10:
	s_load_dwordx2 s[0:1], s[4:5], 0x0
	s_waitcnt lgkmcnt(0)
	v_cmp_gt_i64_e32 vcc_lo, s[0:1], v[9:10]
	s_and_saveexec_b32 s0, vcc_lo
; %bb.11:
	s_mov_b32 s3, 0
	s_or_b32 s6, s6, exec_lo
; %bb.12:
	s_or_b32 exec_lo, exec_lo, s0
	v_mov_b32_e32 v44, s3
	v_mov_b32_e32 v42, v10
	;; [unrolled: 1-line block ×4, first 2 shown]
	s_and_b32 exec_lo, exec_lo, s6
	s_cbranch_execz .LBB148_8
.LBB148_13:
	s_load_dwordx8 s[8:15], s[4:5], 0x30
	v_lshlrev_b64 v[9:10], 3, v[41:42]
	v_and_b32_e32 v0, 31, v0
	s_clause 0x1
	s_load_dword s1, s[4:5], 0x8
	s_load_dwordx2 s[2:3], s[4:5], 0x50
	s_waitcnt lgkmcnt(0)
	v_add_co_u32 v11, vcc_lo, s8, v9
	v_add_co_ci_u32_e64 v12, null, s9, v10, vcc_lo
	v_add_co_u32 v9, vcc_lo, s10, v9
	v_add_co_ci_u32_e64 v10, null, s11, v10, vcc_lo
	;; [unrolled: 2-line block ×3, first 2 shown]
	global_load_dwordx2 v[67:68], v[11:12], off
	s_cmp_eq_u64 s[10:11], 0
	s_cselect_b32 vcc_lo, -1, 0
	s_cmp_eq_u32 s1, 1
	v_cndmask_b32_e32 v10, v10, v14, vcc_lo
	v_cndmask_b32_e32 v9, v9, v13, vcc_lo
	global_load_dwordx2 v[9:10], v[9:10], off
	s_waitcnt vmcnt(1)
	v_sub_co_u32 v11, vcc_lo, v67, v43
	v_sub_co_ci_u32_e64 v12, null, v68, v44, vcc_lo
	v_add_co_u32 v45, vcc_lo, v11, v0
	v_add_co_ci_u32_e64 v46, null, 0, v12, vcc_lo
	s_waitcnt vmcnt(0)
	v_sub_co_u32 v47, vcc_lo, v9, v43
	v_sub_co_ci_u32_e64 v48, null, v10, v44, vcc_lo
	v_lshlrev_b64 v[9:10], 7, v[45:46]
	v_cmp_lt_i64_e64 s0, v[45:46], v[47:48]
	v_add_co_u32 v49, vcc_lo, s14, v9
	v_add_co_ci_u32_e64 v50, null, s15, v10, vcc_lo
	s_cbranch_scc1 .LBB148_25
; %bb.14:
	v_mov_b32_e32 v53, 0
	v_mov_b32_e32 v61, 0
	;; [unrolled: 1-line block ×16, first 2 shown]
	s_and_saveexec_b32 s6, s0
	s_cbranch_execz .LBB148_24
; %bb.15:
	v_or_b32_e32 v9, 32, v0
	v_not_b32_e32 v13, v67
	v_not_b32_e32 v11, v68
	v_mov_b32_e32 v51, 0
	v_mov_b32_e32 v55, 0
	v_sub_co_u32 v9, vcc_lo, v9, v43
	v_sub_co_ci_u32_e64 v10, null, 0, v44, vcc_lo
	v_mov_b32_e32 v57, 0
	v_add_co_u32 v9, vcc_lo, v9, v67
	v_add_co_ci_u32_e64 v10, null, v10, v68, vcc_lo
	v_sub_co_u32 v14, vcc_lo, v43, v0
	v_subrev_co_ci_u32_e64 v15, null, 0, v44, vcc_lo
	v_cmp_gt_i64_e32 vcc_lo, v[9:10], v[47:48]
	v_add_co_u32 v13, s1, v14, v13
	v_add_co_ci_u32_e64 v11, null, v15, v11, s1
	v_mov_b32_e32 v59, 0
	v_cndmask_b32_e32 v9, v47, v9, vcc_lo
	v_cndmask_b32_e32 v10, v48, v10, vcc_lo
	v_mov_b32_e32 v65, 0
	v_mov_b32_e32 v63, 0
	;; [unrolled: 1-line block ×3, first 2 shown]
	v_add_co_u32 v9, vcc_lo, v13, v9
	v_mov_b32_e32 v53, 0
	v_mov_b32_e32 v72, v50
	v_mov_b32_e32 v70, v46
	v_mov_b32_e32 v12, 0
	v_mov_b32_e32 v52, 0
	v_mov_b32_e32 v56, 0
	v_mov_b32_e32 v58, 0
	v_mov_b32_e32 v60, 0
	v_add_co_ci_u32_e64 v10, null, v11, v10, vcc_lo
	v_and_b32_e32 v11, 0x60, v9
	v_mov_b32_e32 v66, 0
	v_mov_b32_e32 v64, 0
	v_mov_b32_e32 v62, 0
	v_mov_b32_e32 v54, 0
	v_mov_b32_e32 v71, v49
	v_mov_b32_e32 v69, v45
	s_mov_b32 s7, exec_lo
	v_cmpx_ne_u64_e32 0x60, v[11:12]
	s_cbranch_execz .LBB148_19
; %bb.16:
	v_lshrrev_b32_e32 v13, 5, v9
	v_lshlrev_b64 v[11:12], 3, v[45:46]
	v_mov_b32_e32 v53, 0
	v_mov_b32_e32 v70, v46
	;; [unrolled: 1-line block ×3, first 2 shown]
	v_add_nc_u32_e32 v13, 1, v13
	v_mov_b32_e32 v63, 0
	v_add_co_u32 v11, vcc_lo, s12, v11
	v_mov_b32_e32 v65, 0
	v_and_b32_e32 v13, 3, v13
	v_mov_b32_e32 v59, 0
	v_mov_b32_e32 v57, 0
	;; [unrolled: 1-line block ×4, first 2 shown]
	v_sub_co_u32 v13, s1, 0, v13
	v_mov_b32_e32 v72, v50
	v_mov_b32_e32 v54, 0
	;; [unrolled: 1-line block ×5, first 2 shown]
	v_add_co_ci_u32_e64 v12, null, s13, v12, vcc_lo
	v_sub_co_ci_u32_e64 v14, null, 0, 0, s1
	v_mov_b32_e32 v66, 0
	v_mov_b32_e32 v60, 0
	;; [unrolled: 1-line block ×6, first 2 shown]
	s_mov_b32 s8, 0
.LBB148_17:                             ; =>This Inner Loop Header: Depth=1
	global_load_dwordx2 v[39:40], v[11:12], off
	s_clause 0x6
	global_load_dwordx4 v[15:18], v[71:72], off offset:48
	global_load_dwordx4 v[19:22], v[71:72], off offset:32
	;; [unrolled: 1-line block ×3, first 2 shown]
	global_load_dwordx4 v[27:30], v[71:72], off
	global_load_dwordx4 v[31:34], v[71:72], off offset:112
	global_load_dwordx4 v[35:38], v[71:72], off offset:96
	;; [unrolled: 1-line block ×3, first 2 shown]
	v_add_co_u32 v11, s1, 0x100, v11
	v_add_co_ci_u32_e64 v12, null, 0, v12, s1
	s_waitcnt vmcnt(7)
	v_sub_co_u32 v39, vcc_lo, v39, v43
	v_sub_co_ci_u32_e64 v40, null, v40, v44, vcc_lo
	v_lshlrev_b64 v[39:40], 6, v[39:40]
	v_add_co_u32 v39, vcc_lo, s2, v39
	v_add_co_ci_u32_e64 v40, null, s3, v40, vcc_lo
	s_clause 0x1
	global_load_dwordx4 v[77:80], v[39:40], off
	global_load_dwordx4 v[81:84], v[39:40], off offset:16
	global_load_dwordx4 v[85:88], v[71:72], off offset:80
	s_clause 0x1
	global_load_dwordx4 v[89:92], v[39:40], off offset:32
	global_load_dwordx4 v[93:96], v[39:40], off offset:48
	v_add_co_u32 v71, vcc_lo, 0x1000, v71
	v_add_co_ci_u32_e64 v72, null, 0, v72, vcc_lo
	v_add_co_u32 v13, vcc_lo, v13, 1
	v_add_co_ci_u32_e64 v14, null, 0, v14, vcc_lo
	v_add_co_u32 v69, vcc_lo, v69, 32
	v_add_co_ci_u32_e64 v70, null, 0, v70, vcc_lo
	v_cmp_eq_u64_e32 vcc_lo, 0, v[13:14]
	s_or_b32 s8, vcc_lo, s8
	s_waitcnt vmcnt(4)
	v_fma_f64 v[39:40], v[27:28], v[77:78], v[61:62]
	v_fma_f64 v[53:54], v[77:78], 0, v[53:54]
	v_fma_f64 v[61:62], v[19:20], v[77:78], v[65:66]
	v_fma_f64 v[63:64], v[77:78], 0, v[63:64]
	v_fma_f64 v[57:58], v[73:74], v[77:78], v[57:58]
	v_fma_f64 v[59:60], v[77:78], 0, v[59:60]
	v_fma_f64 v[51:52], v[35:36], v[77:78], v[51:52]
	v_fma_f64 v[55:56], v[77:78], 0, v[55:56]
	v_fma_f64 v[39:40], 0x80000000, v[79:80], v[39:40]
	v_fma_f64 v[27:28], v[27:28], v[79:80], v[53:54]
	v_fma_f64 v[53:54], 0x80000000, v[79:80], v[61:62]
	v_fma_f64 v[19:20], v[19:20], v[79:80], v[63:64]
	v_fma_f64 v[57:58], 0x80000000, v[79:80], v[57:58]
	v_fma_f64 v[59:60], v[73:74], v[79:80], v[59:60]
	v_fma_f64 v[51:52], 0x80000000, v[79:80], v[51:52]
	v_fma_f64 v[35:36], v[35:36], v[79:80], v[55:56]
	s_waitcnt vmcnt(3)
	v_fma_f64 v[39:40], v[29:30], v[81:82], v[39:40]
	v_fma_f64 v[27:28], v[81:82], 0, v[27:28]
	v_fma_f64 v[53:54], v[21:22], v[81:82], v[53:54]
	v_fma_f64 v[19:20], v[81:82], 0, v[19:20]
	v_fma_f64 v[55:56], v[75:76], v[81:82], v[57:58]
	v_fma_f64 v[57:58], v[81:82], 0, v[59:60]
	v_fma_f64 v[51:52], v[37:38], v[81:82], v[51:52]
	v_fma_f64 v[35:36], v[81:82], 0, v[35:36]
	v_fma_f64 v[39:40], 0x80000000, v[83:84], v[39:40]
	v_fma_f64 v[27:28], v[29:30], v[83:84], v[27:28]
	v_fma_f64 v[29:30], 0x80000000, v[83:84], v[53:54]
	v_fma_f64 v[19:20], v[21:22], v[83:84], v[19:20]
	v_fma_f64 v[21:22], 0x80000000, v[83:84], v[55:56]
	v_fma_f64 v[53:54], v[75:76], v[83:84], v[57:58]
	v_fma_f64 v[51:52], 0x80000000, v[83:84], v[51:52]
	v_fma_f64 v[35:36], v[37:38], v[83:84], v[35:36]
	;; [unrolled: 17-line block ×4, first 2 shown]
	s_andn2_b32 exec_lo, exec_lo, s8
	s_cbranch_execnz .LBB148_17
; %bb.18:
	s_or_b32 exec_lo, exec_lo, s8
.LBB148_19:
	s_or_b32 exec_lo, exec_lo, s7
	s_mov_b32 s7, exec_lo
	v_cmpx_lt_u64_e32 0x5f, v[9:10]
	s_cbranch_execz .LBB148_23
; %bb.20:
	v_lshlrev_b64 v[9:10], 3, v[69:70]
	s_mov_b32 s8, 0
	v_add_co_u32 v9, vcc_lo, s12, v9
	v_add_co_ci_u32_e64 v10, null, s13, v10, vcc_lo
	v_add_co_u32 v73, vcc_lo, 0x200, v9
	v_add_co_ci_u32_e64 v74, null, 0, v10, vcc_lo
.LBB148_21:                             ; =>This Inner Loop Header: Depth=1
	s_clause 0x1
	global_load_dwordx2 v[75:76], v[73:74], off offset:-512
	global_load_dwordx2 v[143:144], v[73:74], off offset:-256
	s_clause 0x7
	global_load_dwordx4 v[33:36], v[71:72], off offset:48
	global_load_dwordx4 v[79:82], v[71:72], off offset:32
	;; [unrolled: 1-line block ×3, first 2 shown]
	global_load_dwordx4 v[83:86], v[71:72], off
	global_load_dwordx4 v[13:16], v[71:72], off offset:112
	global_load_dwordx4 v[87:90], v[71:72], off offset:96
	;; [unrolled: 1-line block ×4, first 2 shown]
	s_clause 0x1
	global_load_dwordx2 v[151:152], v[73:74], off
	global_load_dwordx2 v[153:154], v[73:74], off offset:256
	v_add_co_u32 v9, vcc_lo, 0x1000, v71
	v_add_co_ci_u32_e64 v10, null, 0, v72, vcc_lo
	v_add_co_u32 v139, vcc_lo, 0x2000, v71
	v_add_co_ci_u32_e64 v140, null, 0, v72, vcc_lo
	;; [unrolled: 2-line block ×3, first 2 shown]
	s_clause 0xf
	global_load_dwordx4 v[21:24], v[9:10], off offset:48
	global_load_dwordx4 v[95:98], v[9:10], off offset:32
	global_load_dwordx4 v[99:102], v[9:10], off
	global_load_dwordx4 v[29:32], v[9:10], off offset:16
	global_load_dwordx4 v[25:28], v[9:10], off offset:112
	;; [unrolled: 1-line block ×7, first 2 shown]
	global_load_dwordx4 v[119:122], v[139:140], off
	global_load_dwordx4 v[123:126], v[139:140], off offset:16
	global_load_dwordx4 v[127:130], v[139:140], off offset:112
	;; [unrolled: 1-line block ×5, first 2 shown]
	v_add_co_u32 v71, s1, 0x4000, v71
	v_add_co_ci_u32_e64 v72, null, 0, v72, s1
	s_waitcnt vmcnt(27)
	v_sub_co_u32 v75, vcc_lo, v75, v43
	v_sub_co_ci_u32_e64 v76, null, v76, v44, vcc_lo
	s_waitcnt vmcnt(26)
	v_sub_co_u32 v143, vcc_lo, v143, v43
	v_sub_co_ci_u32_e64 v144, null, v144, v44, vcc_lo
	v_lshlrev_b64 v[75:76], 6, v[75:76]
	v_lshlrev_b64 v[143:144], 6, v[143:144]
	v_add_co_u32 v75, vcc_lo, s2, v75
	v_add_co_ci_u32_e64 v76, null, s3, v76, vcc_lo
	v_add_co_u32 v155, vcc_lo, s2, v143
	v_add_co_ci_u32_e64 v156, null, s3, v144, vcc_lo
	s_clause 0x1
	global_load_dwordx4 v[143:146], v[75:76], off
	global_load_dwordx4 v[147:150], v[75:76], off offset:16
	s_waitcnt vmcnt(1)
	v_fma_f64 v[53:54], v[143:144], 0, v[53:54]
	v_fma_f64 v[51:52], v[87:88], v[143:144], v[51:52]
	;; [unrolled: 1-line block ×10, first 2 shown]
	global_load_dwordx4 v[51:54], v[75:76], off offset:32
	v_fma_f64 v[61:62], 0x80000000, v[145:146], v[61:62]
	v_fma_f64 v[65:66], 0x80000000, v[145:146], v[65:66]
	;; [unrolled: 1-line block ×6, first 2 shown]
	s_waitcnt vmcnt(1)
	v_fma_f64 v[55:56], v[147:148], 0, v[83:84]
	v_fma_f64 v[83:84], v[85:86], v[147:148], v[61:62]
	;; [unrolled: 1-line block ×5, first 2 shown]
	global_load_dwordx4 v[55:58], v[75:76], off offset:48
	v_fma_f64 v[75:76], v[81:82], v[147:148], v[65:66]
	v_fma_f64 v[85:86], v[93:94], v[147:148], v[79:80]
	;; [unrolled: 1-line block ×4, first 2 shown]
	global_load_dwordx4 v[59:62], v[155:156], off
	v_fma_f64 v[87:88], v[89:90], v[147:148], v[143:144]
	v_fma_f64 v[91:92], v[93:94], v[149:150], v[63:64]
	global_load_dwordx4 v[63:66], v[155:156], off offset:16
	v_fma_f64 v[93:94], 0x80000000, v[149:150], v[83:84]
	v_fma_f64 v[75:76], 0x80000000, v[149:150], v[75:76]
	;; [unrolled: 1-line block ×4, first 2 shown]
	global_load_dwordx4 v[83:86], v[155:156], off offset:32
	global_load_dwordx4 v[79:82], v[77:78], off
	v_fma_f64 v[87:88], 0x80000000, v[149:150], v[87:88]
	s_waitcnt vmcnt(5)
	v_fma_f64 v[93:94], v[37:38], v[51:52], v[93:94]
	v_fma_f64 v[145:146], v[51:52], 0, v[145:146]
	;; [unrolled: 1-line block ×16, first 2 shown]
	v_sub_co_u32 v51, vcc_lo, v151, v43
	v_sub_co_ci_u32_e64 v52, null, v152, v44, vcc_lo
	global_load_dwordx4 v[87:90], v[77:78], off offset:48
	v_lshlrev_b64 v[51:52], 6, v[51:52]
	v_add_co_u32 v145, vcc_lo, s2, v51
	v_add_co_ci_u32_e64 v146, null, s3, v52, vcc_lo
	global_load_dwordx4 v[51:54], v[155:156], off offset:48
	s_waitcnt vmcnt(6)
	v_fma_f64 v[33:34], v[55:56], 0, v[33:34]
	v_fma_f64 v[75:76], v[35:36], v[55:56], v[75:76]
	;; [unrolled: 1-line block ×9, first 2 shown]
	global_load_dwordx4 v[33:36], v[145:146], off
	v_fma_f64 v[147:148], v[39:40], v[57:58], v[37:38]
	v_fma_f64 v[151:152], v[19:20], v[57:58], v[17:18]
	global_load_dwordx4 v[17:20], v[145:146], off offset:16
	v_fma_f64 v[93:94], 0x80000000, v[57:58], v[93:94]
	v_fma_f64 v[91:92], v[15:16], v[57:58], v[13:14]
	;; [unrolled: 1-line block ×5, first 2 shown]
	global_load_dwordx4 v[55:58], v[145:146], off offset:32
	s_clause 0x1
	global_load_dwordx4 v[37:40], v[77:78], off offset:32
	global_load_dwordx4 v[13:16], v[77:78], off offset:96
	s_waitcnt vmcnt(10)
	v_fma_f64 v[149:150], v[59:60], 0, v[149:150]
	v_fma_f64 v[147:148], v[59:60], 0, v[147:148]
	;; [unrolled: 1-line block ×9, first 2 shown]
	v_sub_co_u32 v149, vcc_lo, v153, v43
	v_fma_f64 v[91:92], v[99:100], v[61:62], v[147:148]
	v_sub_co_ci_u32_e64 v150, null, v154, v44, vcc_lo
	v_fma_f64 v[93:94], 0x80000000, v[61:62], v[93:94]
	v_fma_f64 v[75:76], 0x80000000, v[61:62], v[75:76]
	v_fma_f64 v[99:100], 0x80000000, v[61:62], v[143:144]
	v_fma_f64 v[111:112], v[111:112], v[61:62], v[151:152]
	v_fma_f64 v[143:144], 0x80000000, v[61:62], v[155:156]
	v_fma_f64 v[103:104], v[103:104], v[61:62], v[59:60]
	global_load_dwordx4 v[59:62], v[77:78], off offset:64
	s_waitcnt vmcnt(10)
	v_fma_f64 v[95:96], v[63:64], 0, v[95:96]
	v_fma_f64 v[91:92], v[63:64], 0, v[91:92]
	;; [unrolled: 1-line block ×9, first 2 shown]
	global_load_dwordx4 v[91:94], v[145:146], off offset:48
	v_lshlrev_b64 v[145:146], 6, v[149:150]
	v_fma_f64 v[149:150], v[97:98], v[65:66], v[95:96]
	v_fma_f64 v[103:104], 0x80000000, v[65:66], v[147:148]
	;; [unrolled: 1-line block ×5, first 2 shown]
	v_add_co_u32 v145, vcc_lo, s2, v145
	v_add_co_ci_u32_e64 v146, null, s3, v146, vcc_lo
	v_fma_f64 v[113:114], 0x80000000, v[65:66], v[143:144]
	v_fma_f64 v[105:106], v[105:106], v[65:66], v[63:64]
	v_add_co_u32 v69, vcc_lo, 0x80, v69
	s_clause 0x1
	global_load_dwordx4 v[95:98], v[145:146], off
	global_load_dwordx4 v[63:66], v[145:146], off offset:16
	v_add_co_ci_u32_e64 v70, null, 0, v70, vcc_lo
	v_add_co_u32 v73, vcc_lo, 0x400, v73
	s_waitcnt vmcnt(12)
	v_fma_f64 v[143:144], v[83:84], 0, v[101:102]
	v_add_co_ci_u32_e64 v74, null, 0, v74, vcc_lo
	v_fma_f64 v[147:148], v[83:84], 0, v[149:150]
	v_fma_f64 v[103:104], v[29:30], v[83:84], v[103:104]
	v_fma_f64 v[75:76], v[21:22], v[83:84], v[75:76]
	v_fma_f64 v[149:150], v[107:108], v[83:84], v[99:100]
	v_fma_f64 v[111:112], v[83:84], 0, v[111:112]
	global_load_dwordx4 v[99:102], v[77:78], off offset:112
	v_cmp_ge_i64_e32 vcc_lo, v[69:70], v[47:48]
	v_fma_f64 v[113:114], v[25:26], v[83:84], v[113:114]
	v_fma_f64 v[83:84], v[83:84], 0, v[105:106]
	s_or_b32 s8, vcc_lo, s8
	v_fma_f64 v[29:30], v[29:30], v[85:86], v[143:144]
	v_fma_f64 v[21:22], v[21:22], v[85:86], v[147:148]
	;; [unrolled: 1-line block ×8, first 2 shown]
	s_clause 0x1
	global_load_dwordx4 v[83:86], v[77:78], off offset:80
	global_load_dwordx4 v[75:78], v[77:78], off offset:16
	;; [unrolled: 1-line block ×3, first 2 shown]
	s_waitcnt vmcnt(13)
	v_fma_f64 v[113:114], v[31:32], v[51:52], v[151:152]
	v_fma_f64 v[29:30], v[51:52], 0, v[29:30]
	;; [unrolled: 1-line block ×16, first 2 shown]
	global_load_dwordx4 v[21:24], v[145:146], off offset:48
	s_waitcnt vmcnt(13)
	v_fma_f64 v[27:28], v[119:120], v[33:34], v[51:52]
	v_fma_f64 v[29:30], v[33:34], 0, v[29:30]
	v_fma_f64 v[31:32], v[115:116], v[33:34], v[31:32]
	v_fma_f64 v[51:52], v[33:34], 0, v[113:114]
	v_fma_f64 v[53:54], v[139:140], v[33:34], v[143:144]
	v_fma_f64 v[107:108], v[33:34], 0, v[107:108]
	v_fma_f64 v[109:110], v[131:132], v[33:34], v[109:110]
	v_fma_f64 v[25:26], v[33:34], 0, v[25:26]
	v_fma_f64 v[27:28], 0x80000000, v[35:36], v[27:28]
	v_fma_f64 v[29:30], v[119:120], v[35:36], v[29:30]
	v_fma_f64 v[31:32], 0x80000000, v[35:36], v[31:32]
	v_fma_f64 v[33:34], v[115:116], v[35:36], v[51:52]
	v_fma_f64 v[51:52], 0x80000000, v[35:36], v[53:54]
	v_fma_f64 v[53:54], v[139:140], v[35:36], v[107:108]
	v_fma_f64 v[107:108], 0x80000000, v[35:36], v[109:110]
	v_fma_f64 v[25:26], v[131:132], v[35:36], v[25:26]
	s_waitcnt vmcnt(12)
	v_fma_f64 v[27:28], v[121:122], v[17:18], v[27:28]
	v_fma_f64 v[29:30], v[17:18], 0, v[29:30]
	v_fma_f64 v[31:32], v[117:118], v[17:18], v[31:32]
	v_fma_f64 v[33:34], v[17:18], 0, v[33:34]
	v_fma_f64 v[35:36], v[141:142], v[17:18], v[51:52]
	v_fma_f64 v[51:52], v[17:18], 0, v[53:54]
	v_fma_f64 v[53:54], v[133:134], v[17:18], v[107:108]
	v_fma_f64 v[17:18], v[17:18], 0, v[25:26]
	v_fma_f64 v[25:26], 0x80000000, v[19:20], v[27:28]
	v_fma_f64 v[27:28], v[121:122], v[19:20], v[29:30]
	v_fma_f64 v[29:30], 0x80000000, v[19:20], v[31:32]
	v_fma_f64 v[31:32], v[117:118], v[19:20], v[33:34]
	v_fma_f64 v[33:34], 0x80000000, v[19:20], v[35:36]
	v_fma_f64 v[35:36], v[141:142], v[19:20], v[51:52]
	v_fma_f64 v[51:52], 0x80000000, v[19:20], v[53:54]
	v_fma_f64 v[17:18], v[133:134], v[19:20], v[17:18]
	;; [unrolled: 17-line block ×8, first 2 shown]
	s_andn2_b32 exec_lo, exec_lo, s8
	s_cbranch_execnz .LBB148_21
; %bb.22:
	s_or_b32 exec_lo, exec_lo, s8
.LBB148_23:
	s_or_b32 exec_lo, exec_lo, s7
.LBB148_24:
	s_or_b32 exec_lo, exec_lo, s6
	s_cbranch_execz .LBB148_26
	s_branch .LBB148_37
.LBB148_25:
                                        ; implicit-def: $vgpr53_vgpr54
                                        ; implicit-def: $vgpr61_vgpr62
                                        ; implicit-def: $vgpr63_vgpr64
                                        ; implicit-def: $vgpr65_vgpr66
                                        ; implicit-def: $vgpr59_vgpr60
                                        ; implicit-def: $vgpr57_vgpr58
                                        ; implicit-def: $vgpr55_vgpr56
                                        ; implicit-def: $vgpr51_vgpr52
.LBB148_26:
	v_mov_b32_e32 v53, 0
	v_mov_b32_e32 v61, 0
	;; [unrolled: 1-line block ×16, first 2 shown]
	s_and_saveexec_b32 s1, s0
	s_cbranch_execz .LBB148_36
; %bb.27:
	v_or_b32_e32 v9, 32, v0
	v_not_b32_e32 v13, v67
	v_sub_co_u32 v14, s0, v43, v0
	v_not_b32_e32 v11, v68
	v_sub_co_u32 v9, vcc_lo, v9, v43
	v_sub_co_ci_u32_e64 v10, null, 0, v44, vcc_lo
	v_subrev_co_ci_u32_e64 v15, null, 0, v44, s0
	v_add_co_u32 v9, vcc_lo, v9, v67
	v_add_co_ci_u32_e64 v10, null, v10, v68, vcc_lo
	v_add_co_u32 v13, s0, v14, v13
	v_add_co_ci_u32_e64 v11, null, v15, v11, s0
	v_cmp_gt_i64_e32 vcc_lo, v[9:10], v[47:48]
	v_mov_b32_e32 v51, 0
	v_mov_b32_e32 v55, 0
	;; [unrolled: 1-line block ×5, first 2 shown]
	v_cndmask_b32_e32 v9, v47, v9, vcc_lo
	v_cndmask_b32_e32 v10, v48, v10, vcc_lo
	v_mov_b32_e32 v63, 0
	v_mov_b32_e32 v61, 0
	v_mov_b32_e32 v53, 0
	v_add_co_u32 v9, vcc_lo, v13, v9
	v_mov_b32_e32 v12, 0
	v_mov_b32_e32 v52, 0
	;; [unrolled: 1-line block ×4, first 2 shown]
	v_add_co_ci_u32_e64 v10, null, v11, v10, vcc_lo
	v_and_b32_e32 v11, 0x60, v9
	v_mov_b32_e32 v60, 0
	v_mov_b32_e32 v66, 0
	v_mov_b32_e32 v64, 0
	v_mov_b32_e32 v62, 0
	v_mov_b32_e32 v54, 0
	s_mov_b32 s6, exec_lo
	v_cmpx_ne_u64_e32 0x60, v[11:12]
	s_cbranch_execz .LBB148_31
; %bb.28:
	v_lshrrev_b32_e32 v13, 5, v9
	v_lshlrev_b64 v[11:12], 3, v[45:46]
	v_mov_b32_e32 v53, 0
	v_mov_b32_e32 v61, 0
	;; [unrolled: 1-line block ×3, first 2 shown]
	v_add_nc_u32_e32 v13, 1, v13
	v_mov_b32_e32 v65, 0
	v_add_co_u32 v11, vcc_lo, s12, v11
	v_mov_b32_e32 v59, 0
	v_and_b32_e32 v13, 3, v13
	v_mov_b32_e32 v57, 0
	v_mov_b32_e32 v55, 0
	;; [unrolled: 1-line block ×4, first 2 shown]
	v_sub_co_u32 v13, s0, 0, v13
	v_mov_b32_e32 v62, 0
	v_mov_b32_e32 v64, 0
	v_add_co_ci_u32_e64 v12, null, s13, v12, vcc_lo
	v_mov_b32_e32 v66, 0
	v_mov_b32_e32 v60, 0
	;; [unrolled: 1-line block ×5, first 2 shown]
	v_sub_co_ci_u32_e64 v14, null, 0, 0, s0
	s_mov_b32 s7, 0
.LBB148_29:                             ; =>This Inner Loop Header: Depth=1
	global_load_dwordx2 v[23:24], v[11:12], off
	s_clause 0x1
	global_load_dwordx4 v[15:18], v[49:50], off offset:16
	global_load_dwordx4 v[19:22], v[49:50], off
	v_add_co_u32 v11, s0, 0x100, v11
	v_add_co_ci_u32_e64 v12, null, 0, v12, s0
	s_waitcnt vmcnt(2)
	v_sub_co_u32 v23, vcc_lo, v23, v43
	v_sub_co_ci_u32_e64 v24, null, v24, v44, vcc_lo
	v_lshlrev_b64 v[23:24], 6, v[23:24]
	v_add_co_u32 v39, vcc_lo, s2, v23
	v_add_co_ci_u32_e64 v40, null, s3, v24, vcc_lo
	s_clause 0x1
	global_load_dwordx4 v[23:26], v[39:40], off
	global_load_dwordx4 v[27:30], v[39:40], off offset:16
	s_clause 0x3
	global_load_dwordx4 v[31:34], v[49:50], off offset:32
	global_load_dwordx4 v[35:38], v[49:50], off offset:48
	global_load_dwordx4 v[67:70], v[49:50], off offset:80
	global_load_dwordx4 v[71:74], v[49:50], off offset:64
	s_clause 0x1
	global_load_dwordx4 v[75:78], v[39:40], off offset:32
	global_load_dwordx4 v[79:82], v[39:40], off offset:48
	s_clause 0x1
	global_load_dwordx4 v[83:86], v[49:50], off offset:96
	global_load_dwordx4 v[87:90], v[49:50], off offset:112
	v_add_co_u32 v49, vcc_lo, 0x1000, v49
	v_add_co_ci_u32_e64 v50, null, 0, v50, vcc_lo
	v_add_co_u32 v13, vcc_lo, v13, 1
	v_add_co_ci_u32_e64 v14, null, 0, v14, vcc_lo
	;; [unrolled: 2-line block ×3, first 2 shown]
	v_cmp_eq_u64_e32 vcc_lo, 0, v[13:14]
	s_or_b32 s7, vcc_lo, s7
	s_waitcnt vmcnt(9)
	v_fma_f64 v[39:40], v[19:20], v[23:24], v[61:62]
	v_fma_f64 v[53:54], v[23:24], 0, v[53:54]
	;; [unrolled: 1-line block ×16, first 2 shown]
	s_waitcnt vmcnt(7)
	v_fma_f64 v[23:24], v[31:32], v[27:28], v[39:40]
	v_fma_f64 v[19:20], v[27:28], 0, v[19:20]
	;; [unrolled: 1-line block ×4, first 2 shown]
	s_waitcnt vmcnt(6)
	v_fma_f64 v[39:40], v[35:36], v[27:28], v[55:56]
	v_fma_f64 v[15:16], v[27:28], 0, v[15:16]
	;; [unrolled: 1-line block ×12, first 2 shown]
	s_waitcnt vmcnt(3)
	v_fma_f64 v[23:24], v[71:72], v[75:76], v[23:24]
	v_fma_f64 v[19:20], v[75:76], 0, v[19:20]
	;; [unrolled: 1-line block ×16, first 2 shown]
	s_waitcnt vmcnt(1)
	v_fma_f64 v[23:24], v[83:84], v[79:80], v[23:24]
	v_fma_f64 v[19:20], v[79:80], 0, v[19:20]
	;; [unrolled: 1-line block ×4, first 2 shown]
	s_waitcnt vmcnt(0)
	v_fma_f64 v[27:28], v[87:88], v[79:80], v[27:28]
	v_fma_f64 v[15:16], v[79:80], 0, v[15:16]
	;; [unrolled: 1-line block ×12, first 2 shown]
	s_andn2_b32 exec_lo, exec_lo, s7
	s_cbranch_execnz .LBB148_29
; %bb.30:
	s_or_b32 exec_lo, exec_lo, s7
.LBB148_31:
	s_or_b32 exec_lo, exec_lo, s6
	s_mov_b32 s6, exec_lo
	v_cmpx_lt_u64_e32 0x5f, v[9:10]
	s_cbranch_execz .LBB148_35
; %bb.32:
	v_lshlrev_b64 v[9:10], 3, v[45:46]
	s_mov_b32 s7, 0
	v_add_co_u32 v9, vcc_lo, s12, v9
	v_add_co_ci_u32_e64 v10, null, s13, v10, vcc_lo
	v_add_co_u32 v37, vcc_lo, 0x200, v9
	v_add_co_ci_u32_e64 v38, null, 0, v10, vcc_lo
.LBB148_33:                             ; =>This Inner Loop Header: Depth=1
	global_load_dwordx2 v[39:40], v[37:38], off offset:-512
	s_clause 0x7
	global_load_dwordx4 v[13:16], v[49:50], off offset:48
	global_load_dwordx4 v[21:24], v[49:50], off offset:32
	;; [unrolled: 1-line block ×3, first 2 shown]
	global_load_dwordx4 v[67:70], v[49:50], off
	global_load_dwordx4 v[9:12], v[49:50], off offset:112
	global_load_dwordx4 v[17:20], v[49:50], off offset:96
	;; [unrolled: 1-line block ×4, first 2 shown]
	v_add_co_u32 v99, vcc_lo, 0x1000, v49
	v_add_co_ci_u32_e64 v100, null, 0, v50, vcc_lo
	v_add_co_u32 v123, vcc_lo, 0x2000, v49
	v_add_co_ci_u32_e64 v124, null, 0, v50, vcc_lo
	;; [unrolled: 2-line block ×3, first 2 shown]
	s_clause 0x2
	global_load_dwordx2 v[125:126], v[37:38], off offset:-256
	global_load_dwordx2 v[127:128], v[37:38], off
	global_load_dwordx2 v[129:130], v[37:38], off offset:256
	s_clause 0xa
	global_load_dwordx4 v[71:74], v[99:100], off offset:48
	global_load_dwordx4 v[75:78], v[99:100], off offset:32
	global_load_dwordx4 v[79:82], v[99:100], off
	global_load_dwordx4 v[83:86], v[99:100], off offset:16
	global_load_dwordx4 v[87:90], v[99:100], off offset:112
	;; [unrolled: 1-line block ×5, first 2 shown]
	global_load_dwordx4 v[103:106], v[123:124], off
	global_load_dwordx4 v[107:110], v[123:124], off offset:48
	global_load_dwordx4 v[111:114], v[123:124], off offset:32
	v_add_co_u32 v49, s0, 0x4000, v49
	v_add_co_ci_u32_e64 v50, null, 0, v50, s0
	s_waitcnt vmcnt(22)
	v_sub_co_u32 v39, vcc_lo, v39, v43
	v_sub_co_ci_u32_e64 v40, null, v40, v44, vcc_lo
	v_lshlrev_b64 v[39:40], 6, v[39:40]
	v_add_co_u32 v39, vcc_lo, s2, v39
	v_add_co_ci_u32_e64 v40, null, s3, v40, vcc_lo
	s_clause 0x1
	global_load_dwordx4 v[115:118], v[39:40], off
	global_load_dwordx4 v[119:122], v[39:40], off offset:16
	s_waitcnt vmcnt(1)
	v_fma_f64 v[53:54], v[115:116], 0, v[53:54]
	v_fma_f64 v[133:134], v[67:68], v[115:116], v[61:62]
	;; [unrolled: 1-line block ×10, first 2 shown]
	global_load_dwordx4 v[61:64], v[123:124], off offset:16
	v_fma_f64 v[115:116], v[35:36], v[117:118], v[55:56]
	v_fma_f64 v[133:134], 0x80000000, v[117:118], v[133:134]
	v_fma_f64 v[65:66], 0x80000000, v[117:118], v[65:66]
	v_fma_f64 v[135:136], 0x80000000, v[117:118], v[57:58]
	v_fma_f64 v[59:60], v[33:34], v[117:118], v[53:54]
	v_sub_co_u32 v53, vcc_lo, v125, v43
	v_sub_co_ci_u32_e64 v54, null, v126, v44, vcc_lo
	global_load_dwordx4 v[33:36], v[123:124], off offset:112
	v_fma_f64 v[117:118], 0x80000000, v[117:118], v[51:52]
	s_waitcnt vmcnt(2)
	v_fma_f64 v[65:66], v[23:24], v[119:120], v[65:66]
	v_lshlrev_b64 v[53:54], 6, v[53:54]
	v_add_co_u32 v125, vcc_lo, s2, v53
	v_add_co_ci_u32_e64 v126, null, s3, v54, vcc_lo
	s_clause 0x1
	global_load_dwordx4 v[51:54], v[39:40], off offset:32
	global_load_dwordx4 v[55:58], v[39:40], off offset:48
	v_fma_f64 v[39:40], v[119:120], 0, v[67:68]
	v_fma_f64 v[67:68], v[119:120], 0, v[69:70]
	;; [unrolled: 1-line block ×7, first 2 shown]
	global_load_dwordx4 v[21:24], v[125:126], off
	v_fma_f64 v[67:68], v[119:120], 0, v[115:116]
	v_fma_f64 v[115:116], v[13:14], v[119:120], v[135:136]
	;; [unrolled: 1-line block ×7, first 2 shown]
	s_clause 0x1
	global_load_dwordx4 v[13:16], v[125:126], off offset:16
	global_load_dwordx4 v[65:68], v[125:126], off offset:32
	v_fma_f64 v[115:116], 0x80000000, v[121:122], v[115:116]
	s_waitcnt vmcnt(4)
	v_fma_f64 v[39:40], v[51:52], 0, v[39:40]
	v_fma_f64 v[121:122], v[51:52], 0, v[133:134]
	;; [unrolled: 1-line block ×10, first 2 shown]
	global_load_dwordx4 v[29:32], v[125:126], off offset:48
	v_fma_f64 v[69:70], 0x80000000, v[53:54], v[69:70]
	v_fma_f64 v[117:118], v[27:28], v[53:54], v[119:120]
	v_sub_co_u32 v119, vcc_lo, v127, v43
	v_sub_co_ci_u32_e64 v120, null, v128, v44, vcc_lo
	v_fma_f64 v[59:60], v[25:26], v[53:54], v[59:60]
	v_fma_f64 v[125:126], 0x80000000, v[53:54], v[133:134]
	;; [unrolled: 1-line block ×3, first 2 shown]
	v_lshlrev_b64 v[119:120], 6, v[119:120]
	v_fma_f64 v[127:128], 0x80000000, v[53:54], v[51:52]
	global_load_dwordx4 v[25:28], v[123:124], off offset:96
	v_add_co_u32 v119, vcc_lo, s2, v119
	v_add_co_ci_u32_e64 v120, null, s3, v120, vcc_lo
	s_waitcnt vmcnt(5)
	v_fma_f64 v[39:40], v[55:56], 0, v[39:40]
	v_fma_f64 v[121:122], v[55:56], 0, v[121:122]
	global_load_dwordx4 v[51:54], v[119:120], off
	v_fma_f64 v[117:118], v[55:56], 0, v[117:118]
	v_fma_f64 v[69:70], v[17:18], v[55:56], v[69:70]
	;; [unrolled: 1-line block ×5, first 2 shown]
	v_sub_co_u32 v115, vcc_lo, v129, v43
	v_fma_f64 v[55:56], v[11:12], v[55:56], v[127:128]
	v_sub_co_ci_u32_e64 v116, null, v130, v44, vcc_lo
	v_lshlrev_b64 v[115:116], 6, v[115:116]
	v_fma_f64 v[39:40], v[17:18], v[57:58], v[39:40]
	v_fma_f64 v[121:122], v[19:20], v[57:58], v[121:122]
	global_load_dwordx4 v[17:20], v[123:124], off offset:80
	v_fma_f64 v[127:128], v[11:12], v[57:58], v[117:118]
	v_add_co_u32 v129, vcc_lo, s2, v115
	v_add_co_ci_u32_e64 v130, null, s3, v116, vcc_lo
	v_fma_f64 v[59:60], v[9:10], v[57:58], v[59:60]
	global_load_dwordx4 v[9:12], v[119:120], off offset:16
	global_load_dwordx4 v[115:118], v[123:124], off offset:64
	v_fma_f64 v[69:70], 0x80000000, v[57:58], v[69:70]
	v_fma_f64 v[123:124], 0x80000000, v[57:58], v[125:126]
	;; [unrolled: 1-line block ×4, first 2 shown]
	global_load_dwordx4 v[55:58], v[119:120], off offset:32
	v_add_co_u32 v45, vcc_lo, 0x80, v45
	v_add_co_ci_u32_e64 v46, null, 0, v46, vcc_lo
	v_add_co_u32 v37, vcc_lo, 0x400, v37
	s_waitcnt vmcnt(9)
	v_fma_f64 v[39:40], v[21:22], 0, v[39:40]
	v_fma_f64 v[121:122], v[21:22], 0, v[121:122]
	v_add_co_ci_u32_e64 v38, null, 0, v38, vcc_lo
	v_fma_f64 v[127:128], v[21:22], 0, v[127:128]
	v_cmp_ge_i64_e32 vcc_lo, v[45:46], v[47:48]
	v_fma_f64 v[59:60], v[21:22], 0, v[59:60]
	v_fma_f64 v[69:70], v[79:80], v[21:22], v[69:70]
	;; [unrolled: 1-line block ×5, first 2 shown]
	s_or_b32 s7, vcc_lo, s7
	v_fma_f64 v[39:40], v[79:80], v[23:24], v[39:40]
	v_fma_f64 v[121:122], v[81:82], v[23:24], v[121:122]
	global_load_dwordx4 v[79:82], v[131:132], off
	v_fma_f64 v[127:128], v[85:86], v[23:24], v[127:128]
	v_fma_f64 v[59:60], v[83:84], v[23:24], v[59:60]
	global_load_dwordx4 v[83:86], v[131:132], off offset:16
	v_fma_f64 v[69:70], 0x80000000, v[23:24], v[69:70]
	v_fma_f64 v[123:124], 0x80000000, v[23:24], v[123:124]
	;; [unrolled: 1-line block ×4, first 2 shown]
	global_load_dwordx4 v[21:24], v[119:120], off offset:48
	s_waitcnt vmcnt(11)
	v_fma_f64 v[39:40], v[13:14], 0, v[39:40]
	v_fma_f64 v[119:120], v[13:14], 0, v[121:122]
	;; [unrolled: 1-line block ×10, first 2 shown]
	global_load_dwordx4 v[75:78], v[129:130], off
	v_fma_f64 v[59:60], v[71:72], v[15:16], v[59:60]
	v_fma_f64 v[121:122], 0x80000000, v[15:16], v[121:122]
	;; [unrolled: 1-line block ×6, first 2 shown]
	global_load_dwordx4 v[69:72], v[129:130], off offset:16
	global_load_dwordx4 v[13:16], v[131:132], off offset:48
	s_waitcnt vmcnt(13)
	v_fma_f64 v[39:40], v[65:66], 0, v[39:40]
	v_fma_f64 v[119:120], v[65:66], 0, v[119:120]
	;; [unrolled: 1-line block ×10, first 2 shown]
	global_load_dwordx4 v[99:102], v[131:132], off offset:32
	v_fma_f64 v[59:60], v[95:96], v[67:68], v[59:60]
	v_fma_f64 v[121:122], 0x80000000, v[67:68], v[121:122]
	;; [unrolled: 1-line block ×6, first 2 shown]
	s_clause 0x1
	global_load_dwordx4 v[95:98], v[131:132], off offset:80
	global_load_dwordx4 v[65:68], v[131:132], off offset:64
	s_waitcnt vmcnt(15)
	v_fma_f64 v[39:40], v[29:30], 0, v[39:40]
	v_fma_f64 v[119:120], v[29:30], 0, v[119:120]
	;; [unrolled: 1-line block ×10, first 2 shown]
	s_clause 0x1
	global_load_dwordx4 v[91:94], v[129:130], off offset:32
	global_load_dwordx4 v[119:122], v[129:130], off offset:48
	v_fma_f64 v[73:74], 0x80000000, v[31:32], v[133:134]
	v_fma_f64 v[123:124], 0x80000000, v[31:32], v[123:124]
	v_fma_f64 v[125:126], 0x80000000, v[31:32], v[125:126]
	v_fma_f64 v[59:60], v[87:88], v[31:32], v[59:60]
	v_fma_f64 v[127:128], 0x80000000, v[31:32], v[127:128]
	v_fma_f64 v[129:130], v[89:90], v[31:32], v[29:30]
	s_clause 0x1
	global_load_dwordx4 v[29:32], v[131:132], off offset:96
	global_load_dwordx4 v[87:90], v[131:132], off offset:112
	s_waitcnt vmcnt(17)
	v_fma_f64 v[39:40], v[51:52], 0, v[39:40]
	v_fma_f64 v[131:132], v[51:52], 0, v[135:136]
	v_fma_f64 v[73:74], v[103:104], v[51:52], v[73:74]
	v_fma_f64 v[123:124], v[105:106], v[51:52], v[123:124]
	v_fma_f64 v[125:126], v[61:62], v[51:52], v[125:126]
	v_fma_f64 v[59:60], v[51:52], 0, v[59:60]
	v_fma_f64 v[127:128], v[63:64], v[51:52], v[127:128]
	v_fma_f64 v[51:52], v[51:52], 0, v[129:130]
	v_fma_f64 v[39:40], v[103:104], v[53:54], v[39:40]
	v_fma_f64 v[105:106], v[105:106], v[53:54], v[131:132]
	v_fma_f64 v[73:74], 0x80000000, v[53:54], v[73:74]
	v_fma_f64 v[103:104], 0x80000000, v[53:54], v[123:124]
	v_fma_f64 v[123:124], 0x80000000, v[53:54], v[125:126]
	v_fma_f64 v[59:60], v[61:62], v[53:54], v[59:60]
	v_fma_f64 v[61:62], 0x80000000, v[53:54], v[127:128]
	v_fma_f64 v[51:52], v[63:64], v[53:54], v[51:52]
	s_waitcnt vmcnt(15)
	v_fma_f64 v[39:40], v[9:10], 0, v[39:40]
	v_fma_f64 v[53:54], v[111:112], v[9:10], v[73:74]
	v_fma_f64 v[63:64], v[113:114], v[9:10], v[103:104]
	v_fma_f64 v[73:74], v[9:10], 0, v[105:106]
	v_fma_f64 v[103:104], v[107:108], v[9:10], v[123:124]
	v_fma_f64 v[59:60], v[9:10], 0, v[59:60]
	v_fma_f64 v[61:62], v[109:110], v[9:10], v[61:62]
	v_fma_f64 v[9:10], v[9:10], 0, v[51:52]
	v_fma_f64 v[39:40], v[111:112], v[11:12], v[39:40]
	v_fma_f64 v[51:52], 0x80000000, v[11:12], v[53:54]
	v_fma_f64 v[53:54], 0x80000000, v[11:12], v[63:64]
	v_fma_f64 v[63:64], v[113:114], v[11:12], v[73:74]
	v_fma_f64 v[73:74], 0x80000000, v[11:12], v[103:104]
	v_fma_f64 v[59:60], v[107:108], v[11:12], v[59:60]
	v_fma_f64 v[61:62], 0x80000000, v[11:12], v[61:62]
	v_fma_f64 v[9:10], v[109:110], v[11:12], v[9:10]
	;; [unrolled: 17-line block ×5, first 2 shown]
	s_waitcnt vmcnt(8)
	v_fma_f64 v[19:20], v[69:70], 0, v[19:20]
	s_waitcnt vmcnt(6)
	v_fma_f64 v[11:12], v[99:100], v[69:70], v[11:12]
	v_fma_f64 v[21:22], v[101:102], v[69:70], v[21:22]
	;; [unrolled: 1-line block ×15, first 2 shown]
	s_waitcnt vmcnt(3)
	v_fma_f64 v[11:12], v[65:66], v[91:92], v[11:12]
	v_fma_f64 v[15:16], v[91:92], 0, v[19:20]
	;; [unrolled: 1-line block ×16, first 2 shown]
	s_waitcnt vmcnt(1)
	v_fma_f64 v[11:12], v[29:30], v[119:120], v[11:12]
	v_fma_f64 v[15:16], v[119:120], 0, v[15:16]
	;; [unrolled: 1-line block ×4, first 2 shown]
	s_waitcnt vmcnt(0)
	v_fma_f64 v[23:24], v[87:88], v[119:120], v[23:24]
	v_fma_f64 v[13:14], v[119:120], 0, v[13:14]
	;; [unrolled: 1-line block ×12, first 2 shown]
	s_andn2_b32 exec_lo, exec_lo, s7
	s_cbranch_execnz .LBB148_33
; %bb.34:
	s_or_b32 exec_lo, exec_lo, s7
.LBB148_35:
	s_or_b32 exec_lo, exec_lo, s6
.LBB148_36:
	s_or_b32 exec_lo, exec_lo, s1
.LBB148_37:
	v_mbcnt_lo_u32_b32 v43, -1, 0
	v_xor_b32_e32 v9, 16, v43
	v_xor_b32_e32 v25, 8, v43
	v_cmp_gt_i32_e32 vcc_lo, 32, v9
	v_cndmask_b32_e32 v9, v43, v9, vcc_lo
	v_cmp_gt_i32_e32 vcc_lo, 32, v25
	v_lshlrev_b32_e32 v24, 2, v9
	v_cndmask_b32_e32 v25, v43, v25, vcc_lo
	ds_bpermute_b32 v9, v24, v61
	ds_bpermute_b32 v10, v24, v62
	;; [unrolled: 1-line block ×16, first 2 shown]
	v_lshlrev_b32_e32 v40, 2, v25
	s_waitcnt lgkmcnt(14)
	v_add_f64 v[9:10], v[61:62], v[9:10]
	s_waitcnt lgkmcnt(12)
	v_add_f64 v[11:12], v[53:54], v[11:12]
	;; [unrolled: 2-line block ×8, first 2 shown]
	ds_bpermute_b32 v25, v40, v9
	ds_bpermute_b32 v26, v40, v10
	;; [unrolled: 1-line block ×16, first 2 shown]
	s_waitcnt lgkmcnt(14)
	v_add_f64 v[9:10], v[9:10], v[25:26]
	v_xor_b32_e32 v25, 4, v43
	s_waitcnt lgkmcnt(12)
	v_add_f64 v[11:12], v[11:12], v[27:28]
	s_waitcnt lgkmcnt(10)
	v_add_f64 v[13:14], v[13:14], v[29:30]
	v_cmp_gt_i32_e32 vcc_lo, 32, v25
	s_waitcnt lgkmcnt(8)
	v_add_f64 v[15:16], v[15:16], v[31:32]
	s_waitcnt lgkmcnt(6)
	v_add_f64 v[17:18], v[17:18], v[33:34]
	;; [unrolled: 2-line block ×3, first 2 shown]
	v_cndmask_b32_e32 v25, v43, v25, vcc_lo
	s_waitcnt lgkmcnt(2)
	v_add_f64 v[21:22], v[21:22], v[37:38]
	s_waitcnt lgkmcnt(0)
	v_add_f64 v[23:24], v[23:24], v[39:40]
	v_lshlrev_b32_e32 v40, 2, v25
	ds_bpermute_b32 v25, v40, v9
	ds_bpermute_b32 v26, v40, v10
	;; [unrolled: 1-line block ×16, first 2 shown]
	s_waitcnt lgkmcnt(14)
	v_add_f64 v[9:10], v[9:10], v[25:26]
	v_xor_b32_e32 v25, 2, v43
	s_waitcnt lgkmcnt(12)
	v_add_f64 v[11:12], v[11:12], v[27:28]
	s_waitcnt lgkmcnt(10)
	v_add_f64 v[13:14], v[13:14], v[29:30]
	v_cmp_gt_i32_e32 vcc_lo, 32, v25
	s_waitcnt lgkmcnt(8)
	v_add_f64 v[15:16], v[15:16], v[31:32]
	s_waitcnt lgkmcnt(6)
	v_add_f64 v[17:18], v[17:18], v[33:34]
	;; [unrolled: 2-line block ×3, first 2 shown]
	v_cndmask_b32_e32 v27, v43, v25, vcc_lo
	s_waitcnt lgkmcnt(2)
	v_add_f64 v[21:22], v[21:22], v[37:38]
	s_waitcnt lgkmcnt(0)
	v_add_f64 v[25:26], v[23:24], v[39:40]
	v_lshlrev_b32_e32 v40, 2, v27
	ds_bpermute_b32 v23, v40, v9
	ds_bpermute_b32 v24, v40, v10
	;; [unrolled: 1-line block ×16, first 2 shown]
	s_waitcnt lgkmcnt(14)
	v_add_f64 v[9:10], v[9:10], v[23:24]
	s_waitcnt lgkmcnt(12)
	v_add_f64 v[27:28], v[11:12], v[27:28]
	;; [unrolled: 2-line block ×3, first 2 shown]
	v_xor_b32_e32 v29, 1, v43
	s_waitcnt lgkmcnt(8)
	v_add_f64 v[23:24], v[15:16], v[31:32]
	s_waitcnt lgkmcnt(6)
	v_add_f64 v[13:14], v[17:18], v[33:34]
	v_cmp_gt_i32_e32 vcc_lo, 32, v29
	s_waitcnt lgkmcnt(4)
	v_add_f64 v[17:18], v[19:20], v[35:36]
	s_waitcnt lgkmcnt(2)
	v_add_f64 v[15:16], v[21:22], v[37:38]
	;; [unrolled: 2-line block ×3, first 2 shown]
	v_cndmask_b32_e32 v29, v43, v29, vcc_lo
	v_cmp_eq_u32_e32 vcc_lo, 31, v0
	v_lshlrev_b32_e32 v34, 2, v29
	ds_bpermute_b32 v21, v34, v9
	ds_bpermute_b32 v22, v34, v10
	;; [unrolled: 1-line block ×16, first 2 shown]
	s_and_b32 exec_lo, exec_lo, vcc_lo
	s_cbranch_execz .LBB148_8
; %bb.38:
	s_waitcnt lgkmcnt(12)
	v_add_f64 v[27:28], v[27:28], v[39:40]
	s_waitcnt lgkmcnt(8)
	v_add_f64 v[23:24], v[23:24], v[37:38]
	;; [unrolled: 2-line block ×4, first 2 shown]
	v_add_f64 v[9:10], v[9:10], v[21:22]
	v_add_f64 v[11:12], v[11:12], v[25:26]
	;; [unrolled: 1-line block ×4, first 2 shown]
	v_cmp_eq_f64_e32 vcc_lo, 0, v[1:2]
	v_cmp_eq_f64_e64 s0, 0, v[3:4]
	s_load_dwordx2 s[2:3], s[4:5], 0x68
	v_mul_f64 v[13:14], v[27:28], -v[7:8]
	v_mul_f64 v[15:16], v[5:6], v[27:28]
	v_mul_f64 v[27:28], v[23:24], -v[7:8]
	v_mul_f64 v[23:24], v[5:6], v[23:24]
	;; [unrolled: 2-line block ×4, first 2 shown]
	s_and_b32 s0, vcc_lo, s0
	v_fma_f64 v[17:18], v[5:6], v[9:10], v[13:14]
	v_fma_f64 v[19:20], v[7:8], v[9:10], v[15:16]
	;; [unrolled: 1-line block ×8, first 2 shown]
	v_lshlrev_b64 v[21:22], 6, v[41:42]
	s_and_saveexec_b32 s1, s0
	s_xor_b32 s0, exec_lo, s1
	s_cbranch_execz .LBB148_40
; %bb.39:
	s_waitcnt lgkmcnt(0)
	v_add_co_u32 v0, vcc_lo, s2, v21
	v_add_co_ci_u32_e64 v1, null, s3, v22, vcc_lo
                                        ; implicit-def: $vgpr21_vgpr22
	global_store_dwordx4 v[0:1], v[17:20], off
	global_store_dwordx4 v[0:1], v[13:16], off offset:16
	global_store_dwordx4 v[0:1], v[9:12], off offset:32
	;; [unrolled: 1-line block ×3, first 2 shown]
                                        ; implicit-def: $vgpr3_vgpr4
                                        ; implicit-def: $vgpr17_vgpr18
                                        ; implicit-def: $vgpr13_vgpr14
                                        ; implicit-def: $vgpr9_vgpr10
                                        ; implicit-def: $vgpr5_vgpr6
.LBB148_40:
	s_andn2_saveexec_b32 s0, s0
	s_cbranch_execz .LBB148_8
; %bb.41:
	s_waitcnt lgkmcnt(0)
	v_add_co_u32 v37, vcc_lo, s2, v21
	v_add_co_ci_u32_e64 v38, null, s3, v22, vcc_lo
	s_clause 0x3
	global_load_dwordx4 v[21:24], v[37:38], off
	global_load_dwordx4 v[25:28], v[37:38], off offset:16
	global_load_dwordx4 v[29:32], v[37:38], off offset:32
	;; [unrolled: 1-line block ×3, first 2 shown]
	s_waitcnt vmcnt(3)
	v_fma_f64 v[17:18], v[1:2], v[21:22], v[17:18]
	v_fma_f64 v[19:20], v[3:4], v[21:22], v[19:20]
	s_waitcnt vmcnt(2)
	v_fma_f64 v[13:14], v[1:2], v[25:26], v[13:14]
	v_fma_f64 v[15:16], v[3:4], v[25:26], v[15:16]
	;; [unrolled: 3-line block ×4, first 2 shown]
	v_fma_f64 v[5:6], -v[3:4], v[23:24], v[17:18]
	v_fma_f64 v[7:8], v[1:2], v[23:24], v[19:20]
	v_fma_f64 v[9:10], -v[3:4], v[27:28], v[13:14]
	v_fma_f64 v[11:12], v[1:2], v[27:28], v[15:16]
	;; [unrolled: 2-line block ×4, first 2 shown]
	global_store_dwordx4 v[37:38], v[5:8], off
	global_store_dwordx4 v[37:38], v[9:12], off offset:16
	global_store_dwordx4 v[37:38], v[13:16], off offset:32
	;; [unrolled: 1-line block ×3, first 2 shown]
	s_endpgm
	.section	.rodata,"a",@progbits
	.p2align	6, 0x0
	.amdhsa_kernel _ZN9rocsparseL18bsrxmvn_4x4_kernelILj128ELj32E21rocsparse_complex_numIdElldS2_S2_EEvT3_20rocsparse_direction_NS_24const_host_device_scalarIT1_EES3_PKS3_PKT2_SC_S9_PKT4_PKT5_S7_PT6_21rocsparse_index_base_b
		.amdhsa_group_segment_fixed_size 0
		.amdhsa_private_segment_fixed_size 0
		.amdhsa_kernarg_size 120
		.amdhsa_user_sgpr_count 6
		.amdhsa_user_sgpr_private_segment_buffer 1
		.amdhsa_user_sgpr_dispatch_ptr 0
		.amdhsa_user_sgpr_queue_ptr 0
		.amdhsa_user_sgpr_kernarg_segment_ptr 1
		.amdhsa_user_sgpr_dispatch_id 0
		.amdhsa_user_sgpr_flat_scratch_init 0
		.amdhsa_user_sgpr_private_segment_size 0
		.amdhsa_wavefront_size32 1
		.amdhsa_uses_dynamic_stack 0
		.amdhsa_system_sgpr_private_segment_wavefront_offset 0
		.amdhsa_system_sgpr_workgroup_id_x 1
		.amdhsa_system_sgpr_workgroup_id_y 0
		.amdhsa_system_sgpr_workgroup_id_z 0
		.amdhsa_system_sgpr_workgroup_info 0
		.amdhsa_system_vgpr_workitem_id 0
		.amdhsa_next_free_vgpr 159
		.amdhsa_next_free_sgpr 16
		.amdhsa_reserve_vcc 1
		.amdhsa_reserve_flat_scratch 0
		.amdhsa_float_round_mode_32 0
		.amdhsa_float_round_mode_16_64 0
		.amdhsa_float_denorm_mode_32 3
		.amdhsa_float_denorm_mode_16_64 3
		.amdhsa_dx10_clamp 1
		.amdhsa_ieee_mode 1
		.amdhsa_fp16_overflow 0
		.amdhsa_workgroup_processor_mode 1
		.amdhsa_memory_ordered 1
		.amdhsa_forward_progress 1
		.amdhsa_shared_vgpr_count 0
		.amdhsa_exception_fp_ieee_invalid_op 0
		.amdhsa_exception_fp_denorm_src 0
		.amdhsa_exception_fp_ieee_div_zero 0
		.amdhsa_exception_fp_ieee_overflow 0
		.amdhsa_exception_fp_ieee_underflow 0
		.amdhsa_exception_fp_ieee_inexact 0
		.amdhsa_exception_int_div_zero 0
	.end_amdhsa_kernel
	.section	.text._ZN9rocsparseL18bsrxmvn_4x4_kernelILj128ELj32E21rocsparse_complex_numIdElldS2_S2_EEvT3_20rocsparse_direction_NS_24const_host_device_scalarIT1_EES3_PKS3_PKT2_SC_S9_PKT4_PKT5_S7_PT6_21rocsparse_index_base_b,"axG",@progbits,_ZN9rocsparseL18bsrxmvn_4x4_kernelILj128ELj32E21rocsparse_complex_numIdElldS2_S2_EEvT3_20rocsparse_direction_NS_24const_host_device_scalarIT1_EES3_PKS3_PKT2_SC_S9_PKT4_PKT5_S7_PT6_21rocsparse_index_base_b,comdat
.Lfunc_end148:
	.size	_ZN9rocsparseL18bsrxmvn_4x4_kernelILj128ELj32E21rocsparse_complex_numIdElldS2_S2_EEvT3_20rocsparse_direction_NS_24const_host_device_scalarIT1_EES3_PKS3_PKT2_SC_S9_PKT4_PKT5_S7_PT6_21rocsparse_index_base_b, .Lfunc_end148-_ZN9rocsparseL18bsrxmvn_4x4_kernelILj128ELj32E21rocsparse_complex_numIdElldS2_S2_EEvT3_20rocsparse_direction_NS_24const_host_device_scalarIT1_EES3_PKS3_PKT2_SC_S9_PKT4_PKT5_S7_PT6_21rocsparse_index_base_b
                                        ; -- End function
	.set _ZN9rocsparseL18bsrxmvn_4x4_kernelILj128ELj32E21rocsparse_complex_numIdElldS2_S2_EEvT3_20rocsparse_direction_NS_24const_host_device_scalarIT1_EES3_PKS3_PKT2_SC_S9_PKT4_PKT5_S7_PT6_21rocsparse_index_base_b.num_vgpr, 159
	.set _ZN9rocsparseL18bsrxmvn_4x4_kernelILj128ELj32E21rocsparse_complex_numIdElldS2_S2_EEvT3_20rocsparse_direction_NS_24const_host_device_scalarIT1_EES3_PKS3_PKT2_SC_S9_PKT4_PKT5_S7_PT6_21rocsparse_index_base_b.num_agpr, 0
	.set _ZN9rocsparseL18bsrxmvn_4x4_kernelILj128ELj32E21rocsparse_complex_numIdElldS2_S2_EEvT3_20rocsparse_direction_NS_24const_host_device_scalarIT1_EES3_PKS3_PKT2_SC_S9_PKT4_PKT5_S7_PT6_21rocsparse_index_base_b.numbered_sgpr, 16
	.set _ZN9rocsparseL18bsrxmvn_4x4_kernelILj128ELj32E21rocsparse_complex_numIdElldS2_S2_EEvT3_20rocsparse_direction_NS_24const_host_device_scalarIT1_EES3_PKS3_PKT2_SC_S9_PKT4_PKT5_S7_PT6_21rocsparse_index_base_b.num_named_barrier, 0
	.set _ZN9rocsparseL18bsrxmvn_4x4_kernelILj128ELj32E21rocsparse_complex_numIdElldS2_S2_EEvT3_20rocsparse_direction_NS_24const_host_device_scalarIT1_EES3_PKS3_PKT2_SC_S9_PKT4_PKT5_S7_PT6_21rocsparse_index_base_b.private_seg_size, 0
	.set _ZN9rocsparseL18bsrxmvn_4x4_kernelILj128ELj32E21rocsparse_complex_numIdElldS2_S2_EEvT3_20rocsparse_direction_NS_24const_host_device_scalarIT1_EES3_PKS3_PKT2_SC_S9_PKT4_PKT5_S7_PT6_21rocsparse_index_base_b.uses_vcc, 1
	.set _ZN9rocsparseL18bsrxmvn_4x4_kernelILj128ELj32E21rocsparse_complex_numIdElldS2_S2_EEvT3_20rocsparse_direction_NS_24const_host_device_scalarIT1_EES3_PKS3_PKT2_SC_S9_PKT4_PKT5_S7_PT6_21rocsparse_index_base_b.uses_flat_scratch, 0
	.set _ZN9rocsparseL18bsrxmvn_4x4_kernelILj128ELj32E21rocsparse_complex_numIdElldS2_S2_EEvT3_20rocsparse_direction_NS_24const_host_device_scalarIT1_EES3_PKS3_PKT2_SC_S9_PKT4_PKT5_S7_PT6_21rocsparse_index_base_b.has_dyn_sized_stack, 0
	.set _ZN9rocsparseL18bsrxmvn_4x4_kernelILj128ELj32E21rocsparse_complex_numIdElldS2_S2_EEvT3_20rocsparse_direction_NS_24const_host_device_scalarIT1_EES3_PKS3_PKT2_SC_S9_PKT4_PKT5_S7_PT6_21rocsparse_index_base_b.has_recursion, 0
	.set _ZN9rocsparseL18bsrxmvn_4x4_kernelILj128ELj32E21rocsparse_complex_numIdElldS2_S2_EEvT3_20rocsparse_direction_NS_24const_host_device_scalarIT1_EES3_PKS3_PKT2_SC_S9_PKT4_PKT5_S7_PT6_21rocsparse_index_base_b.has_indirect_call, 0
	.section	.AMDGPU.csdata,"",@progbits
; Kernel info:
; codeLenInByte = 11220
; TotalNumSgprs: 18
; NumVgprs: 159
; ScratchSize: 0
; MemoryBound: 0
; FloatMode: 240
; IeeeMode: 1
; LDSByteSize: 0 bytes/workgroup (compile time only)
; SGPRBlocks: 0
; VGPRBlocks: 19
; NumSGPRsForWavesPerEU: 18
; NumVGPRsForWavesPerEU: 159
; Occupancy: 6
; WaveLimiterHint : 1
; COMPUTE_PGM_RSRC2:SCRATCH_EN: 0
; COMPUTE_PGM_RSRC2:USER_SGPR: 6
; COMPUTE_PGM_RSRC2:TRAP_HANDLER: 0
; COMPUTE_PGM_RSRC2:TGID_X_EN: 1
; COMPUTE_PGM_RSRC2:TGID_Y_EN: 0
; COMPUTE_PGM_RSRC2:TGID_Z_EN: 0
; COMPUTE_PGM_RSRC2:TIDIG_COMP_CNT: 0
	.section	.text._ZN9rocsparseL18bsrxmvn_4x4_kernelILj128ELj64E21rocsparse_complex_numIdElldS2_S2_EEvT3_20rocsparse_direction_NS_24const_host_device_scalarIT1_EES3_PKS3_PKT2_SC_S9_PKT4_PKT5_S7_PT6_21rocsparse_index_base_b,"axG",@progbits,_ZN9rocsparseL18bsrxmvn_4x4_kernelILj128ELj64E21rocsparse_complex_numIdElldS2_S2_EEvT3_20rocsparse_direction_NS_24const_host_device_scalarIT1_EES3_PKS3_PKT2_SC_S9_PKT4_PKT5_S7_PT6_21rocsparse_index_base_b,comdat
	.globl	_ZN9rocsparseL18bsrxmvn_4x4_kernelILj128ELj64E21rocsparse_complex_numIdElldS2_S2_EEvT3_20rocsparse_direction_NS_24const_host_device_scalarIT1_EES3_PKS3_PKT2_SC_S9_PKT4_PKT5_S7_PT6_21rocsparse_index_base_b ; -- Begin function _ZN9rocsparseL18bsrxmvn_4x4_kernelILj128ELj64E21rocsparse_complex_numIdElldS2_S2_EEvT3_20rocsparse_direction_NS_24const_host_device_scalarIT1_EES3_PKS3_PKT2_SC_S9_PKT4_PKT5_S7_PT6_21rocsparse_index_base_b
	.p2align	8
	.type	_ZN9rocsparseL18bsrxmvn_4x4_kernelILj128ELj64E21rocsparse_complex_numIdElldS2_S2_EEvT3_20rocsparse_direction_NS_24const_host_device_scalarIT1_EES3_PKS3_PKT2_SC_S9_PKT4_PKT5_S7_PT6_21rocsparse_index_base_b,@function
_ZN9rocsparseL18bsrxmvn_4x4_kernelILj128ELj64E21rocsparse_complex_numIdElldS2_S2_EEvT3_20rocsparse_direction_NS_24const_host_device_scalarIT1_EES3_PKS3_PKT2_SC_S9_PKT4_PKT5_S7_PT6_21rocsparse_index_base_b: ; @_ZN9rocsparseL18bsrxmvn_4x4_kernelILj128ELj64E21rocsparse_complex_numIdElldS2_S2_EEvT3_20rocsparse_direction_NS_24const_host_device_scalarIT1_EES3_PKS3_PKT2_SC_S9_PKT4_PKT5_S7_PT6_21rocsparse_index_base_b
; %bb.0:
	s_clause 0x1
	s_load_dwordx2 s[2:3], s[4:5], 0x70
	s_load_dwordx2 s[0:1], s[4:5], 0x10
	s_add_u32 s7, s4, 16
	s_addc_u32 s10, s5, 0
	s_add_u32 s11, s4, 0x58
	s_addc_u32 s12, s5, 0
	s_load_dwordx2 s[8:9], s[4:5], 0x58
	s_waitcnt lgkmcnt(0)
	s_bitcmp1_b32 s3, 0
	s_cselect_b32 s0, s7, s0
	s_cselect_b32 s1, s10, s1
	v_mov_b32_e32 v1, s0
	v_mov_b32_e32 v2, s1
	s_cselect_b32 s0, s11, s8
	s_cselect_b32 s1, s12, s9
	flat_load_dwordx4 v[5:8], v[1:2]
	v_mov_b32_e32 v1, s0
	v_mov_b32_e32 v2, s1
	flat_load_dwordx4 v[1:4], v[1:2]
	s_waitcnt vmcnt(1) lgkmcnt(1)
	v_cmp_eq_f64_e32 vcc_lo, 0, v[5:6]
	v_cmp_eq_f64_e64 s0, 0, v[7:8]
	s_and_b32 s3, vcc_lo, s0
	s_mov_b32 s0, -1
	s_and_saveexec_b32 s1, s3
	s_cbranch_execz .LBB149_2
; %bb.1:
	s_waitcnt vmcnt(0) lgkmcnt(0)
	v_cmp_neq_f64_e32 vcc_lo, 1.0, v[1:2]
	v_cmp_neq_f64_e64 s0, 0, v[3:4]
	s_or_b32 s0, vcc_lo, s0
	s_orn2_b32 s0, s0, exec_lo
.LBB149_2:
	s_or_b32 exec_lo, exec_lo, s1
	s_and_saveexec_b32 s1, s0
	s_cbranch_execz .LBB149_8
; %bb.3:
	s_load_dwordx2 s[0:1], s[4:5], 0x28
	v_lshrrev_b32_e32 v9, 6, v0
	v_mov_b32_e32 v10, 0
	v_lshl_or_b32 v9, s6, 1, v9
	s_waitcnt lgkmcnt(0)
	s_cmp_lg_u64 s[0:1], 0
	s_cbranch_scc0 .LBB149_9
; %bb.4:
	s_load_dwordx2 s[6:7], s[4:5], 0x20
                                        ; implicit-def: $vgpr41_vgpr42
                                        ; implicit-def: $vgpr43_vgpr44
	s_waitcnt lgkmcnt(0)
	v_cmp_gt_i64_e32 vcc_lo, s[6:7], v[9:10]
	s_mov_b32 s7, 0
	s_mov_b32 s6, 0
	s_and_saveexec_b32 s3, vcc_lo
	s_xor_b32 s8, exec_lo, s3
	s_cbranch_execz .LBB149_6
; %bb.5:
	v_lshlrev_b64 v[11:12], 3, v[9:10]
	s_mov_b32 s3, 0
	s_mov_b32 s6, exec_lo
	v_mov_b32_e32 v44, s3
	v_mov_b32_e32 v43, s2
	v_add_co_u32 v11, vcc_lo, s0, v11
	v_add_co_ci_u32_e64 v12, null, s1, v12, vcc_lo
	global_load_dwordx2 v[11:12], v[11:12], off
	s_waitcnt vmcnt(0)
	v_sub_co_u32 v41, vcc_lo, v11, s2
	v_subrev_co_ci_u32_e64 v42, null, 0, v12, vcc_lo
.LBB149_6:
	s_or_b32 exec_lo, exec_lo, s8
	s_and_b32 vcc_lo, exec_lo, s7
	s_cbranch_vccnz .LBB149_10
.LBB149_7:
	s_and_b32 exec_lo, exec_lo, s6
	s_cbranch_execnz .LBB149_13
.LBB149_8:
	s_endpgm
.LBB149_9:
	s_mov_b32 s6, 0
                                        ; implicit-def: $vgpr41_vgpr42
                                        ; implicit-def: $vgpr43_vgpr44
	s_cbranch_execz .LBB149_7
.LBB149_10:
	s_load_dwordx2 s[0:1], s[4:5], 0x0
	s_waitcnt lgkmcnt(0)
	v_cmp_gt_i64_e32 vcc_lo, s[0:1], v[9:10]
	s_and_saveexec_b32 s0, vcc_lo
; %bb.11:
	s_mov_b32 s3, 0
	s_or_b32 s6, s6, exec_lo
; %bb.12:
	s_or_b32 exec_lo, exec_lo, s0
	v_mov_b32_e32 v44, s3
	v_mov_b32_e32 v42, v10
	;; [unrolled: 1-line block ×4, first 2 shown]
	s_and_b32 exec_lo, exec_lo, s6
	s_cbranch_execz .LBB149_8
.LBB149_13:
	s_load_dwordx8 s[8:15], s[4:5], 0x30
	v_lshlrev_b64 v[9:10], 3, v[41:42]
	v_and_b32_e32 v0, 63, v0
	s_clause 0x1
	s_load_dword s1, s[4:5], 0x8
	s_load_dwordx2 s[2:3], s[4:5], 0x50
	s_waitcnt lgkmcnt(0)
	v_add_co_u32 v11, vcc_lo, s8, v9
	v_add_co_ci_u32_e64 v12, null, s9, v10, vcc_lo
	v_add_co_u32 v9, vcc_lo, s10, v9
	v_add_co_ci_u32_e64 v10, null, s11, v10, vcc_lo
	;; [unrolled: 2-line block ×3, first 2 shown]
	global_load_dwordx2 v[67:68], v[11:12], off
	s_cmp_eq_u64 s[10:11], 0
	s_cselect_b32 vcc_lo, -1, 0
	s_cmp_eq_u32 s1, 1
	v_cndmask_b32_e32 v10, v10, v14, vcc_lo
	v_cndmask_b32_e32 v9, v9, v13, vcc_lo
	global_load_dwordx2 v[9:10], v[9:10], off
	s_waitcnt vmcnt(1)
	v_sub_co_u32 v11, vcc_lo, v67, v43
	v_sub_co_ci_u32_e64 v12, null, v68, v44, vcc_lo
	v_add_co_u32 v45, vcc_lo, v11, v0
	v_add_co_ci_u32_e64 v46, null, 0, v12, vcc_lo
	s_waitcnt vmcnt(0)
	v_sub_co_u32 v47, vcc_lo, v9, v43
	v_sub_co_ci_u32_e64 v48, null, v10, v44, vcc_lo
	v_lshlrev_b64 v[9:10], 7, v[45:46]
	v_cmp_lt_i64_e64 s0, v[45:46], v[47:48]
	v_add_co_u32 v49, vcc_lo, s14, v9
	v_add_co_ci_u32_e64 v50, null, s15, v10, vcc_lo
	s_cbranch_scc1 .LBB149_25
; %bb.14:
	v_mov_b32_e32 v53, 0
	v_mov_b32_e32 v61, 0
	;; [unrolled: 1-line block ×16, first 2 shown]
	s_and_saveexec_b32 s6, s0
	s_cbranch_execz .LBB149_24
; %bb.15:
	v_or_b32_e32 v9, 64, v0
	v_not_b32_e32 v13, v67
	v_not_b32_e32 v11, v68
	v_mov_b32_e32 v51, 0
	v_mov_b32_e32 v55, 0
	v_sub_co_u32 v9, vcc_lo, v9, v43
	v_sub_co_ci_u32_e64 v10, null, 0, v44, vcc_lo
	v_mov_b32_e32 v57, 0
	v_add_co_u32 v9, vcc_lo, v9, v67
	v_add_co_ci_u32_e64 v10, null, v10, v68, vcc_lo
	v_sub_co_u32 v14, vcc_lo, v43, v0
	v_subrev_co_ci_u32_e64 v15, null, 0, v44, vcc_lo
	v_cmp_gt_i64_e32 vcc_lo, v[9:10], v[47:48]
	v_add_co_u32 v13, s1, v14, v13
	v_add_co_ci_u32_e64 v11, null, v15, v11, s1
	v_mov_b32_e32 v59, 0
	v_cndmask_b32_e32 v9, v47, v9, vcc_lo
	v_cndmask_b32_e32 v10, v48, v10, vcc_lo
	v_mov_b32_e32 v65, 0
	v_mov_b32_e32 v63, 0
	;; [unrolled: 1-line block ×3, first 2 shown]
	v_add_co_u32 v9, vcc_lo, v13, v9
	v_mov_b32_e32 v53, 0
	v_mov_b32_e32 v72, v50
	;; [unrolled: 1-line block ×8, first 2 shown]
	v_add_co_ci_u32_e64 v10, null, v11, v10, vcc_lo
	v_and_b32_e32 v11, 0xc0, v9
	v_mov_b32_e32 v66, 0
	v_mov_b32_e32 v64, 0
	;; [unrolled: 1-line block ×6, first 2 shown]
	s_mov_b32 s7, exec_lo
	v_cmpx_ne_u64_e32 0xc0, v[11:12]
	s_cbranch_execz .LBB149_19
; %bb.16:
	v_lshrrev_b32_e32 v13, 6, v9
	v_lshlrev_b64 v[11:12], 3, v[45:46]
	v_mov_b32_e32 v53, 0
	v_mov_b32_e32 v70, v46
	;; [unrolled: 1-line block ×3, first 2 shown]
	v_add_nc_u32_e32 v13, 1, v13
	v_mov_b32_e32 v63, 0
	v_add_co_u32 v11, vcc_lo, s12, v11
	v_mov_b32_e32 v65, 0
	v_and_b32_e32 v13, 3, v13
	v_mov_b32_e32 v59, 0
	v_mov_b32_e32 v57, 0
	;; [unrolled: 1-line block ×4, first 2 shown]
	v_sub_co_u32 v13, s1, 0, v13
	v_mov_b32_e32 v72, v50
	v_mov_b32_e32 v54, 0
	v_mov_b32_e32 v69, v45
	v_mov_b32_e32 v62, 0
	v_mov_b32_e32 v64, 0
	v_add_co_ci_u32_e64 v12, null, s13, v12, vcc_lo
	v_sub_co_ci_u32_e64 v14, null, 0, 0, s1
	v_mov_b32_e32 v66, 0
	v_mov_b32_e32 v60, 0
	;; [unrolled: 1-line block ×6, first 2 shown]
	s_mov_b32 s8, 0
.LBB149_17:                             ; =>This Inner Loop Header: Depth=1
	global_load_dwordx2 v[39:40], v[11:12], off
	s_clause 0x6
	global_load_dwordx4 v[15:18], v[71:72], off offset:48
	global_load_dwordx4 v[19:22], v[71:72], off offset:32
	;; [unrolled: 1-line block ×3, first 2 shown]
	global_load_dwordx4 v[27:30], v[71:72], off
	global_load_dwordx4 v[31:34], v[71:72], off offset:112
	global_load_dwordx4 v[35:38], v[71:72], off offset:96
	;; [unrolled: 1-line block ×3, first 2 shown]
	v_add_co_u32 v11, s1, 0x200, v11
	v_add_co_ci_u32_e64 v12, null, 0, v12, s1
	s_waitcnt vmcnt(7)
	v_sub_co_u32 v39, vcc_lo, v39, v43
	v_sub_co_ci_u32_e64 v40, null, v40, v44, vcc_lo
	v_lshlrev_b64 v[39:40], 6, v[39:40]
	v_add_co_u32 v39, vcc_lo, s2, v39
	v_add_co_ci_u32_e64 v40, null, s3, v40, vcc_lo
	s_clause 0x1
	global_load_dwordx4 v[77:80], v[39:40], off
	global_load_dwordx4 v[81:84], v[39:40], off offset:16
	global_load_dwordx4 v[85:88], v[71:72], off offset:80
	s_clause 0x1
	global_load_dwordx4 v[89:92], v[39:40], off offset:32
	global_load_dwordx4 v[93:96], v[39:40], off offset:48
	v_add_co_u32 v71, vcc_lo, 0x2000, v71
	v_add_co_ci_u32_e64 v72, null, 0, v72, vcc_lo
	v_add_co_u32 v13, vcc_lo, v13, 1
	v_add_co_ci_u32_e64 v14, null, 0, v14, vcc_lo
	;; [unrolled: 2-line block ×3, first 2 shown]
	v_cmp_eq_u64_e32 vcc_lo, 0, v[13:14]
	s_or_b32 s8, vcc_lo, s8
	s_waitcnt vmcnt(4)
	v_fma_f64 v[39:40], v[27:28], v[77:78], v[61:62]
	v_fma_f64 v[53:54], v[77:78], 0, v[53:54]
	v_fma_f64 v[61:62], v[19:20], v[77:78], v[65:66]
	v_fma_f64 v[63:64], v[77:78], 0, v[63:64]
	v_fma_f64 v[57:58], v[73:74], v[77:78], v[57:58]
	v_fma_f64 v[59:60], v[77:78], 0, v[59:60]
	v_fma_f64 v[51:52], v[35:36], v[77:78], v[51:52]
	v_fma_f64 v[55:56], v[77:78], 0, v[55:56]
	v_fma_f64 v[39:40], 0x80000000, v[79:80], v[39:40]
	v_fma_f64 v[27:28], v[27:28], v[79:80], v[53:54]
	v_fma_f64 v[53:54], 0x80000000, v[79:80], v[61:62]
	v_fma_f64 v[19:20], v[19:20], v[79:80], v[63:64]
	v_fma_f64 v[57:58], 0x80000000, v[79:80], v[57:58]
	v_fma_f64 v[59:60], v[73:74], v[79:80], v[59:60]
	v_fma_f64 v[51:52], 0x80000000, v[79:80], v[51:52]
	v_fma_f64 v[35:36], v[35:36], v[79:80], v[55:56]
	s_waitcnt vmcnt(3)
	v_fma_f64 v[39:40], v[29:30], v[81:82], v[39:40]
	v_fma_f64 v[27:28], v[81:82], 0, v[27:28]
	v_fma_f64 v[53:54], v[21:22], v[81:82], v[53:54]
	v_fma_f64 v[19:20], v[81:82], 0, v[19:20]
	v_fma_f64 v[55:56], v[75:76], v[81:82], v[57:58]
	v_fma_f64 v[57:58], v[81:82], 0, v[59:60]
	v_fma_f64 v[51:52], v[37:38], v[81:82], v[51:52]
	v_fma_f64 v[35:36], v[81:82], 0, v[35:36]
	v_fma_f64 v[39:40], 0x80000000, v[83:84], v[39:40]
	v_fma_f64 v[27:28], v[29:30], v[83:84], v[27:28]
	v_fma_f64 v[29:30], 0x80000000, v[83:84], v[53:54]
	v_fma_f64 v[19:20], v[21:22], v[83:84], v[19:20]
	v_fma_f64 v[21:22], 0x80000000, v[83:84], v[55:56]
	v_fma_f64 v[53:54], v[75:76], v[83:84], v[57:58]
	v_fma_f64 v[51:52], 0x80000000, v[83:84], v[51:52]
	v_fma_f64 v[35:36], v[37:38], v[83:84], v[35:36]
	;; [unrolled: 17-line block ×4, first 2 shown]
	s_andn2_b32 exec_lo, exec_lo, s8
	s_cbranch_execnz .LBB149_17
; %bb.18:
	s_or_b32 exec_lo, exec_lo, s8
.LBB149_19:
	s_or_b32 exec_lo, exec_lo, s7
	s_mov_b32 s7, exec_lo
	v_cmpx_lt_u64_e32 0xbf, v[9:10]
	s_cbranch_execz .LBB149_23
; %bb.20:
	v_lshlrev_b64 v[9:10], 3, v[69:70]
	s_mov_b32 s8, 0
	v_add_co_u32 v9, vcc_lo, s12, v9
	v_add_co_ci_u32_e64 v10, null, s13, v10, vcc_lo
	v_add_co_u32 v73, vcc_lo, 0x400, v9
	v_add_co_ci_u32_e64 v74, null, 0, v10, vcc_lo
.LBB149_21:                             ; =>This Inner Loop Header: Depth=1
	s_clause 0x1
	global_load_dwordx2 v[75:76], v[73:74], off offset:-1024
	global_load_dwordx2 v[143:144], v[73:74], off offset:-512
	s_clause 0x7
	global_load_dwordx4 v[33:36], v[71:72], off offset:48
	global_load_dwordx4 v[79:82], v[71:72], off offset:32
	;; [unrolled: 1-line block ×3, first 2 shown]
	global_load_dwordx4 v[83:86], v[71:72], off
	global_load_dwordx4 v[13:16], v[71:72], off offset:112
	global_load_dwordx4 v[87:90], v[71:72], off offset:96
	;; [unrolled: 1-line block ×4, first 2 shown]
	s_clause 0x1
	global_load_dwordx2 v[151:152], v[73:74], off
	global_load_dwordx2 v[153:154], v[73:74], off offset:512
	v_add_co_u32 v9, vcc_lo, 0x2000, v71
	v_add_co_ci_u32_e64 v10, null, 0, v72, vcc_lo
	v_add_co_u32 v139, vcc_lo, 0x4000, v71
	v_add_co_ci_u32_e64 v140, null, 0, v72, vcc_lo
	v_add_co_u32 v77, vcc_lo, 0x6000, v71
	v_add_co_ci_u32_e64 v78, null, 0, v72, vcc_lo
	s_clause 0xf
	global_load_dwordx4 v[21:24], v[9:10], off offset:48
	global_load_dwordx4 v[95:98], v[9:10], off offset:32
	global_load_dwordx4 v[99:102], v[9:10], off
	global_load_dwordx4 v[29:32], v[9:10], off offset:16
	global_load_dwordx4 v[25:28], v[9:10], off offset:112
	;; [unrolled: 1-line block ×7, first 2 shown]
	global_load_dwordx4 v[119:122], v[139:140], off
	global_load_dwordx4 v[123:126], v[139:140], off offset:16
	global_load_dwordx4 v[127:130], v[139:140], off offset:112
	;; [unrolled: 1-line block ×5, first 2 shown]
	v_add_co_u32 v71, s1, 0x8000, v71
	v_add_co_ci_u32_e64 v72, null, 0, v72, s1
	s_waitcnt vmcnt(27)
	v_sub_co_u32 v75, vcc_lo, v75, v43
	v_sub_co_ci_u32_e64 v76, null, v76, v44, vcc_lo
	s_waitcnt vmcnt(26)
	v_sub_co_u32 v143, vcc_lo, v143, v43
	v_sub_co_ci_u32_e64 v144, null, v144, v44, vcc_lo
	v_lshlrev_b64 v[75:76], 6, v[75:76]
	v_lshlrev_b64 v[143:144], 6, v[143:144]
	v_add_co_u32 v75, vcc_lo, s2, v75
	v_add_co_ci_u32_e64 v76, null, s3, v76, vcc_lo
	v_add_co_u32 v155, vcc_lo, s2, v143
	v_add_co_ci_u32_e64 v156, null, s3, v144, vcc_lo
	s_clause 0x1
	global_load_dwordx4 v[143:146], v[75:76], off
	global_load_dwordx4 v[147:150], v[75:76], off offset:16
	s_waitcnt vmcnt(1)
	v_fma_f64 v[53:54], v[143:144], 0, v[53:54]
	v_fma_f64 v[51:52], v[87:88], v[143:144], v[51:52]
	v_fma_f64 v[61:62], v[83:84], v[143:144], v[61:62]
	v_fma_f64 v[65:66], v[79:80], v[143:144], v[65:66]
	v_fma_f64 v[63:64], v[143:144], 0, v[63:64]
	v_fma_f64 v[57:58], v[91:92], v[143:144], v[57:58]
	v_fma_f64 v[59:60], v[143:144], 0, v[59:60]
	v_fma_f64 v[55:56], v[143:144], 0, v[55:56]
	v_fma_f64 v[83:84], v[83:84], v[145:146], v[53:54]
	v_fma_f64 v[143:144], 0x80000000, v[145:146], v[51:52]
	global_load_dwordx4 v[51:54], v[75:76], off offset:32
	v_fma_f64 v[61:62], 0x80000000, v[145:146], v[61:62]
	v_fma_f64 v[65:66], 0x80000000, v[145:146], v[65:66]
	;; [unrolled: 1-line block ×6, first 2 shown]
	s_waitcnt vmcnt(1)
	v_fma_f64 v[55:56], v[147:148], 0, v[83:84]
	v_fma_f64 v[83:84], v[85:86], v[147:148], v[61:62]
	;; [unrolled: 1-line block ×5, first 2 shown]
	global_load_dwordx4 v[55:58], v[75:76], off offset:48
	v_fma_f64 v[75:76], v[81:82], v[147:148], v[65:66]
	v_fma_f64 v[85:86], v[93:94], v[147:148], v[79:80]
	;; [unrolled: 1-line block ×4, first 2 shown]
	global_load_dwordx4 v[59:62], v[155:156], off
	v_fma_f64 v[87:88], v[89:90], v[147:148], v[143:144]
	v_fma_f64 v[91:92], v[93:94], v[149:150], v[63:64]
	global_load_dwordx4 v[63:66], v[155:156], off offset:16
	v_fma_f64 v[93:94], 0x80000000, v[149:150], v[83:84]
	v_fma_f64 v[75:76], 0x80000000, v[149:150], v[75:76]
	;; [unrolled: 1-line block ×4, first 2 shown]
	global_load_dwordx4 v[83:86], v[155:156], off offset:32
	global_load_dwordx4 v[79:82], v[77:78], off
	v_fma_f64 v[87:88], 0x80000000, v[149:150], v[87:88]
	s_waitcnt vmcnt(5)
	v_fma_f64 v[93:94], v[37:38], v[51:52], v[93:94]
	v_fma_f64 v[145:146], v[51:52], 0, v[145:146]
	;; [unrolled: 1-line block ×16, first 2 shown]
	v_sub_co_u32 v51, vcc_lo, v151, v43
	v_sub_co_ci_u32_e64 v52, null, v152, v44, vcc_lo
	global_load_dwordx4 v[87:90], v[77:78], off offset:48
	v_lshlrev_b64 v[51:52], 6, v[51:52]
	v_add_co_u32 v145, vcc_lo, s2, v51
	v_add_co_ci_u32_e64 v146, null, s3, v52, vcc_lo
	global_load_dwordx4 v[51:54], v[155:156], off offset:48
	s_waitcnt vmcnt(6)
	v_fma_f64 v[33:34], v[55:56], 0, v[33:34]
	v_fma_f64 v[75:76], v[35:36], v[55:56], v[75:76]
	;; [unrolled: 1-line block ×9, first 2 shown]
	global_load_dwordx4 v[33:36], v[145:146], off
	v_fma_f64 v[147:148], v[39:40], v[57:58], v[37:38]
	v_fma_f64 v[151:152], v[19:20], v[57:58], v[17:18]
	global_load_dwordx4 v[17:20], v[145:146], off offset:16
	v_fma_f64 v[93:94], 0x80000000, v[57:58], v[93:94]
	v_fma_f64 v[91:92], v[15:16], v[57:58], v[13:14]
	;; [unrolled: 1-line block ×5, first 2 shown]
	global_load_dwordx4 v[55:58], v[145:146], off offset:32
	s_clause 0x1
	global_load_dwordx4 v[37:40], v[77:78], off offset:32
	global_load_dwordx4 v[13:16], v[77:78], off offset:96
	s_waitcnt vmcnt(10)
	v_fma_f64 v[149:150], v[59:60], 0, v[149:150]
	v_fma_f64 v[147:148], v[59:60], 0, v[147:148]
	;; [unrolled: 1-line block ×9, first 2 shown]
	v_sub_co_u32 v149, vcc_lo, v153, v43
	v_fma_f64 v[91:92], v[99:100], v[61:62], v[147:148]
	v_sub_co_ci_u32_e64 v150, null, v154, v44, vcc_lo
	v_fma_f64 v[93:94], 0x80000000, v[61:62], v[93:94]
	v_fma_f64 v[75:76], 0x80000000, v[61:62], v[75:76]
	;; [unrolled: 1-line block ×6, first 2 shown]
	global_load_dwordx4 v[59:62], v[77:78], off offset:64
	s_waitcnt vmcnt(10)
	v_fma_f64 v[95:96], v[63:64], 0, v[95:96]
	v_fma_f64 v[91:92], v[63:64], 0, v[91:92]
	;; [unrolled: 1-line block ×9, first 2 shown]
	global_load_dwordx4 v[91:94], v[145:146], off offset:48
	v_lshlrev_b64 v[145:146], 6, v[149:150]
	v_fma_f64 v[149:150], v[97:98], v[65:66], v[95:96]
	v_fma_f64 v[103:104], 0x80000000, v[65:66], v[147:148]
	;; [unrolled: 1-line block ×5, first 2 shown]
	v_add_co_u32 v145, vcc_lo, s2, v145
	v_add_co_ci_u32_e64 v146, null, s3, v146, vcc_lo
	v_fma_f64 v[113:114], 0x80000000, v[65:66], v[143:144]
	v_fma_f64 v[105:106], v[105:106], v[65:66], v[63:64]
	v_add_co_u32 v69, vcc_lo, 0x100, v69
	s_clause 0x1
	global_load_dwordx4 v[95:98], v[145:146], off
	global_load_dwordx4 v[63:66], v[145:146], off offset:16
	v_add_co_ci_u32_e64 v70, null, 0, v70, vcc_lo
	v_add_co_u32 v73, vcc_lo, 0x800, v73
	s_waitcnt vmcnt(12)
	v_fma_f64 v[143:144], v[83:84], 0, v[101:102]
	v_add_co_ci_u32_e64 v74, null, 0, v74, vcc_lo
	v_fma_f64 v[147:148], v[83:84], 0, v[149:150]
	v_fma_f64 v[103:104], v[29:30], v[83:84], v[103:104]
	;; [unrolled: 1-line block ×5, first 2 shown]
	global_load_dwordx4 v[99:102], v[77:78], off offset:112
	v_cmp_ge_i64_e32 vcc_lo, v[69:70], v[47:48]
	v_fma_f64 v[113:114], v[25:26], v[83:84], v[113:114]
	v_fma_f64 v[83:84], v[83:84], 0, v[105:106]
	s_or_b32 s8, vcc_lo, s8
	v_fma_f64 v[29:30], v[29:30], v[85:86], v[143:144]
	v_fma_f64 v[21:22], v[21:22], v[85:86], v[147:148]
	;; [unrolled: 1-line block ×8, first 2 shown]
	s_clause 0x1
	global_load_dwordx4 v[83:86], v[77:78], off offset:80
	global_load_dwordx4 v[75:78], v[77:78], off offset:16
	;; [unrolled: 1-line block ×3, first 2 shown]
	s_waitcnt vmcnt(13)
	v_fma_f64 v[113:114], v[31:32], v[51:52], v[151:152]
	v_fma_f64 v[29:30], v[51:52], 0, v[29:30]
	;; [unrolled: 1-line block ×16, first 2 shown]
	global_load_dwordx4 v[21:24], v[145:146], off offset:48
	s_waitcnt vmcnt(13)
	v_fma_f64 v[27:28], v[119:120], v[33:34], v[51:52]
	v_fma_f64 v[29:30], v[33:34], 0, v[29:30]
	v_fma_f64 v[31:32], v[115:116], v[33:34], v[31:32]
	v_fma_f64 v[51:52], v[33:34], 0, v[113:114]
	v_fma_f64 v[53:54], v[139:140], v[33:34], v[143:144]
	v_fma_f64 v[107:108], v[33:34], 0, v[107:108]
	v_fma_f64 v[109:110], v[131:132], v[33:34], v[109:110]
	v_fma_f64 v[25:26], v[33:34], 0, v[25:26]
	v_fma_f64 v[27:28], 0x80000000, v[35:36], v[27:28]
	v_fma_f64 v[29:30], v[119:120], v[35:36], v[29:30]
	v_fma_f64 v[31:32], 0x80000000, v[35:36], v[31:32]
	v_fma_f64 v[33:34], v[115:116], v[35:36], v[51:52]
	v_fma_f64 v[51:52], 0x80000000, v[35:36], v[53:54]
	v_fma_f64 v[53:54], v[139:140], v[35:36], v[107:108]
	v_fma_f64 v[107:108], 0x80000000, v[35:36], v[109:110]
	v_fma_f64 v[25:26], v[131:132], v[35:36], v[25:26]
	s_waitcnt vmcnt(12)
	v_fma_f64 v[27:28], v[121:122], v[17:18], v[27:28]
	v_fma_f64 v[29:30], v[17:18], 0, v[29:30]
	v_fma_f64 v[31:32], v[117:118], v[17:18], v[31:32]
	v_fma_f64 v[33:34], v[17:18], 0, v[33:34]
	v_fma_f64 v[35:36], v[141:142], v[17:18], v[51:52]
	v_fma_f64 v[51:52], v[17:18], 0, v[53:54]
	v_fma_f64 v[53:54], v[133:134], v[17:18], v[107:108]
	v_fma_f64 v[17:18], v[17:18], 0, v[25:26]
	v_fma_f64 v[25:26], 0x80000000, v[19:20], v[27:28]
	v_fma_f64 v[27:28], v[121:122], v[19:20], v[29:30]
	v_fma_f64 v[29:30], 0x80000000, v[19:20], v[31:32]
	v_fma_f64 v[31:32], v[117:118], v[19:20], v[33:34]
	v_fma_f64 v[33:34], 0x80000000, v[19:20], v[35:36]
	v_fma_f64 v[35:36], v[141:142], v[19:20], v[51:52]
	v_fma_f64 v[51:52], 0x80000000, v[19:20], v[53:54]
	v_fma_f64 v[17:18], v[133:134], v[19:20], v[17:18]
	s_waitcnt vmcnt(11)
	v_fma_f64 v[19:20], v[123:124], v[55:56], v[25:26]
	v_fma_f64 v[25:26], v[55:56], 0, v[27:28]
	v_fma_f64 v[27:28], v[9:10], v[55:56], v[29:30]
	v_fma_f64 v[29:30], v[55:56], 0, v[31:32]
	v_fma_f64 v[31:32], v[135:136], v[55:56], v[33:34]
	v_fma_f64 v[33:34], v[55:56], 0, v[35:36]
	v_fma_f64 v[35:36], v[127:128], v[55:56], v[51:52]
	v_fma_f64 v[17:18], v[55:56], 0, v[17:18]
	v_fma_f64 v[19:20], 0x80000000, v[57:58], v[19:20]
	v_fma_f64 v[25:26], v[123:124], v[57:58], v[25:26]
	v_fma_f64 v[27:28], 0x80000000, v[57:58], v[27:28]
	v_fma_f64 v[9:10], v[9:10], v[57:58], v[29:30]
	v_fma_f64 v[29:30], 0x80000000, v[57:58], v[31:32]
	v_fma_f64 v[31:32], v[135:136], v[57:58], v[33:34]
	v_fma_f64 v[33:34], 0x80000000, v[57:58], v[35:36]
	v_fma_f64 v[17:18], v[127:128], v[57:58], v[17:18]
	s_waitcnt vmcnt(7)
	v_fma_f64 v[19:20], v[125:126], v[91:92], v[19:20]
	v_fma_f64 v[25:26], v[91:92], 0, v[25:26]
	v_fma_f64 v[27:28], v[11:12], v[91:92], v[27:28]
	v_fma_f64 v[9:10], v[91:92], 0, v[9:10]
	v_fma_f64 v[29:30], v[137:138], v[91:92], v[29:30]
	v_fma_f64 v[31:32], v[91:92], 0, v[31:32]
	v_fma_f64 v[33:34], v[129:130], v[91:92], v[33:34]
	v_fma_f64 v[17:18], v[91:92], 0, v[17:18]
	v_fma_f64 v[19:20], 0x80000000, v[93:94], v[19:20]
	v_fma_f64 v[25:26], v[125:126], v[93:94], v[25:26]
	v_fma_f64 v[27:28], 0x80000000, v[93:94], v[27:28]
	v_fma_f64 v[9:10], v[11:12], v[93:94], v[9:10]
	v_fma_f64 v[11:12], 0x80000000, v[93:94], v[29:30]
	v_fma_f64 v[29:30], v[137:138], v[93:94], v[31:32]
	v_fma_f64 v[31:32], 0x80000000, v[93:94], v[33:34]
	v_fma_f64 v[17:18], v[129:130], v[93:94], v[17:18]
	s_waitcnt vmcnt(6)
	v_fma_f64 v[19:20], v[79:80], v[95:96], v[19:20]
	v_fma_f64 v[25:26], v[95:96], 0, v[25:26]
	v_fma_f64 v[27:28], v[37:38], v[95:96], v[27:28]
	v_fma_f64 v[9:10], v[95:96], 0, v[9:10]
	v_fma_f64 v[11:12], v[59:60], v[95:96], v[11:12]
	v_fma_f64 v[29:30], v[95:96], 0, v[29:30]
	v_fma_f64 v[31:32], v[13:14], v[95:96], v[31:32]
	v_fma_f64 v[17:18], v[95:96], 0, v[17:18]
	v_fma_f64 v[19:20], 0x80000000, v[97:98], v[19:20]
	v_fma_f64 v[25:26], v[79:80], v[97:98], v[25:26]
	v_fma_f64 v[27:28], 0x80000000, v[97:98], v[27:28]
	v_fma_f64 v[9:10], v[37:38], v[97:98], v[9:10]
	v_fma_f64 v[11:12], 0x80000000, v[97:98], v[11:12]
	v_fma_f64 v[29:30], v[59:60], v[97:98], v[29:30]
	v_fma_f64 v[31:32], 0x80000000, v[97:98], v[31:32]
	v_fma_f64 v[13:14], v[13:14], v[97:98], v[17:18]
	s_waitcnt vmcnt(5)
	v_fma_f64 v[17:18], v[81:82], v[63:64], v[19:20]
	v_fma_f64 v[19:20], v[63:64], 0, v[25:26]
	v_fma_f64 v[25:26], v[39:40], v[63:64], v[27:28]
	v_fma_f64 v[9:10], v[63:64], 0, v[9:10]
	v_fma_f64 v[11:12], v[61:62], v[63:64], v[11:12]
	v_fma_f64 v[27:28], v[63:64], 0, v[29:30]
	v_fma_f64 v[29:30], v[15:16], v[63:64], v[31:32]
	v_fma_f64 v[13:14], v[63:64], 0, v[13:14]
	v_fma_f64 v[17:18], 0x80000000, v[65:66], v[17:18]
	v_fma_f64 v[19:20], v[81:82], v[65:66], v[19:20]
	v_fma_f64 v[25:26], 0x80000000, v[65:66], v[25:26]
	v_fma_f64 v[9:10], v[39:40], v[65:66], v[9:10]
	v_fma_f64 v[11:12], 0x80000000, v[65:66], v[11:12]
	v_fma_f64 v[27:28], v[61:62], v[65:66], v[27:28]
	v_fma_f64 v[29:30], 0x80000000, v[65:66], v[29:30]
	v_fma_f64 v[13:14], v[15:16], v[65:66], v[13:14]
	s_waitcnt vmcnt(1)
	v_fma_f64 v[15:16], v[75:76], v[103:104], v[17:18]
	v_fma_f64 v[17:18], v[103:104], 0, v[19:20]
	v_fma_f64 v[19:20], v[87:88], v[103:104], v[25:26]
	v_fma_f64 v[9:10], v[103:104], 0, v[9:10]
	v_fma_f64 v[11:12], v[83:84], v[103:104], v[11:12]
	v_fma_f64 v[25:26], v[103:104], 0, v[27:28]
	v_fma_f64 v[27:28], v[99:100], v[103:104], v[29:30]
	v_fma_f64 v[13:14], v[103:104], 0, v[13:14]
	v_fma_f64 v[15:16], 0x80000000, v[105:106], v[15:16]
	v_fma_f64 v[17:18], v[75:76], v[105:106], v[17:18]
	v_fma_f64 v[19:20], 0x80000000, v[105:106], v[19:20]
	v_fma_f64 v[9:10], v[87:88], v[105:106], v[9:10]
	v_fma_f64 v[11:12], 0x80000000, v[105:106], v[11:12]
	v_fma_f64 v[25:26], v[83:84], v[105:106], v[25:26]
	v_fma_f64 v[27:28], 0x80000000, v[105:106], v[27:28]
	v_fma_f64 v[13:14], v[99:100], v[105:106], v[13:14]
	s_waitcnt vmcnt(0)
	v_fma_f64 v[15:16], v[77:78], v[21:22], v[15:16]
	v_fma_f64 v[17:18], v[21:22], 0, v[17:18]
	v_fma_f64 v[19:20], v[89:90], v[21:22], v[19:20]
	v_fma_f64 v[9:10], v[21:22], 0, v[9:10]
	v_fma_f64 v[11:12], v[85:86], v[21:22], v[11:12]
	v_fma_f64 v[25:26], v[21:22], 0, v[25:26]
	v_fma_f64 v[27:28], v[101:102], v[21:22], v[27:28]
	v_fma_f64 v[13:14], v[21:22], 0, v[13:14]
	v_fma_f64 v[61:62], 0x80000000, v[23:24], v[15:16]
	v_fma_f64 v[53:54], v[77:78], v[23:24], v[17:18]
	v_fma_f64 v[65:66], 0x80000000, v[23:24], v[19:20]
	v_fma_f64 v[63:64], v[89:90], v[23:24], v[9:10]
	v_fma_f64 v[57:58], 0x80000000, v[23:24], v[11:12]
	v_fma_f64 v[59:60], v[85:86], v[23:24], v[25:26]
	v_fma_f64 v[51:52], 0x80000000, v[23:24], v[27:28]
	v_fma_f64 v[55:56], v[101:102], v[23:24], v[13:14]
	s_andn2_b32 exec_lo, exec_lo, s8
	s_cbranch_execnz .LBB149_21
; %bb.22:
	s_or_b32 exec_lo, exec_lo, s8
.LBB149_23:
	s_or_b32 exec_lo, exec_lo, s7
.LBB149_24:
	s_or_b32 exec_lo, exec_lo, s6
	s_cbranch_execz .LBB149_26
	s_branch .LBB149_37
.LBB149_25:
                                        ; implicit-def: $vgpr53_vgpr54
                                        ; implicit-def: $vgpr61_vgpr62
                                        ; implicit-def: $vgpr63_vgpr64
                                        ; implicit-def: $vgpr65_vgpr66
                                        ; implicit-def: $vgpr59_vgpr60
                                        ; implicit-def: $vgpr57_vgpr58
                                        ; implicit-def: $vgpr55_vgpr56
                                        ; implicit-def: $vgpr51_vgpr52
.LBB149_26:
	v_mov_b32_e32 v53, 0
	v_mov_b32_e32 v61, 0
	;; [unrolled: 1-line block ×16, first 2 shown]
	s_and_saveexec_b32 s1, s0
	s_cbranch_execz .LBB149_36
; %bb.27:
	v_or_b32_e32 v9, 64, v0
	v_not_b32_e32 v13, v67
	v_sub_co_u32 v14, s0, v43, v0
	v_not_b32_e32 v11, v68
	v_sub_co_u32 v9, vcc_lo, v9, v43
	v_sub_co_ci_u32_e64 v10, null, 0, v44, vcc_lo
	v_subrev_co_ci_u32_e64 v15, null, 0, v44, s0
	v_add_co_u32 v9, vcc_lo, v9, v67
	v_add_co_ci_u32_e64 v10, null, v10, v68, vcc_lo
	v_add_co_u32 v13, s0, v14, v13
	v_add_co_ci_u32_e64 v11, null, v15, v11, s0
	v_cmp_gt_i64_e32 vcc_lo, v[9:10], v[47:48]
	v_mov_b32_e32 v51, 0
	v_mov_b32_e32 v55, 0
	;; [unrolled: 1-line block ×5, first 2 shown]
	v_cndmask_b32_e32 v9, v47, v9, vcc_lo
	v_cndmask_b32_e32 v10, v48, v10, vcc_lo
	v_mov_b32_e32 v63, 0
	v_mov_b32_e32 v61, 0
	;; [unrolled: 1-line block ×3, first 2 shown]
	v_add_co_u32 v9, vcc_lo, v13, v9
	v_mov_b32_e32 v12, 0
	v_mov_b32_e32 v52, 0
	;; [unrolled: 1-line block ×4, first 2 shown]
	v_add_co_ci_u32_e64 v10, null, v11, v10, vcc_lo
	v_and_b32_e32 v11, 0xc0, v9
	v_mov_b32_e32 v60, 0
	v_mov_b32_e32 v66, 0
	;; [unrolled: 1-line block ×5, first 2 shown]
	s_mov_b32 s6, exec_lo
	v_cmpx_ne_u64_e32 0xc0, v[11:12]
	s_cbranch_execz .LBB149_31
; %bb.28:
	v_lshrrev_b32_e32 v13, 6, v9
	v_lshlrev_b64 v[11:12], 3, v[45:46]
	v_mov_b32_e32 v53, 0
	v_mov_b32_e32 v61, 0
	;; [unrolled: 1-line block ×3, first 2 shown]
	v_add_nc_u32_e32 v13, 1, v13
	v_mov_b32_e32 v65, 0
	v_add_co_u32 v11, vcc_lo, s12, v11
	v_mov_b32_e32 v59, 0
	v_and_b32_e32 v13, 3, v13
	v_mov_b32_e32 v57, 0
	v_mov_b32_e32 v55, 0
	;; [unrolled: 1-line block ×4, first 2 shown]
	v_sub_co_u32 v13, s0, 0, v13
	v_mov_b32_e32 v62, 0
	v_mov_b32_e32 v64, 0
	v_add_co_ci_u32_e64 v12, null, s13, v12, vcc_lo
	v_mov_b32_e32 v66, 0
	v_mov_b32_e32 v60, 0
	;; [unrolled: 1-line block ×5, first 2 shown]
	v_sub_co_ci_u32_e64 v14, null, 0, 0, s0
	s_mov_b32 s7, 0
.LBB149_29:                             ; =>This Inner Loop Header: Depth=1
	global_load_dwordx2 v[23:24], v[11:12], off
	s_clause 0x1
	global_load_dwordx4 v[15:18], v[49:50], off offset:16
	global_load_dwordx4 v[19:22], v[49:50], off
	v_add_co_u32 v11, s0, 0x200, v11
	v_add_co_ci_u32_e64 v12, null, 0, v12, s0
	s_waitcnt vmcnt(2)
	v_sub_co_u32 v23, vcc_lo, v23, v43
	v_sub_co_ci_u32_e64 v24, null, v24, v44, vcc_lo
	v_lshlrev_b64 v[23:24], 6, v[23:24]
	v_add_co_u32 v39, vcc_lo, s2, v23
	v_add_co_ci_u32_e64 v40, null, s3, v24, vcc_lo
	s_clause 0x1
	global_load_dwordx4 v[23:26], v[39:40], off
	global_load_dwordx4 v[27:30], v[39:40], off offset:16
	s_clause 0x3
	global_load_dwordx4 v[31:34], v[49:50], off offset:32
	global_load_dwordx4 v[35:38], v[49:50], off offset:48
	;; [unrolled: 1-line block ×4, first 2 shown]
	s_clause 0x1
	global_load_dwordx4 v[75:78], v[39:40], off offset:32
	global_load_dwordx4 v[79:82], v[39:40], off offset:48
	s_clause 0x1
	global_load_dwordx4 v[83:86], v[49:50], off offset:96
	global_load_dwordx4 v[87:90], v[49:50], off offset:112
	v_add_co_u32 v49, vcc_lo, 0x2000, v49
	v_add_co_ci_u32_e64 v50, null, 0, v50, vcc_lo
	v_add_co_u32 v13, vcc_lo, v13, 1
	v_add_co_ci_u32_e64 v14, null, 0, v14, vcc_lo
	;; [unrolled: 2-line block ×3, first 2 shown]
	v_cmp_eq_u64_e32 vcc_lo, 0, v[13:14]
	s_or_b32 s7, vcc_lo, s7
	s_waitcnt vmcnt(9)
	v_fma_f64 v[39:40], v[19:20], v[23:24], v[61:62]
	v_fma_f64 v[53:54], v[23:24], 0, v[53:54]
	;; [unrolled: 1-line block ×16, first 2 shown]
	s_waitcnt vmcnt(7)
	v_fma_f64 v[23:24], v[31:32], v[27:28], v[39:40]
	v_fma_f64 v[19:20], v[27:28], 0, v[19:20]
	;; [unrolled: 1-line block ×4, first 2 shown]
	s_waitcnt vmcnt(6)
	v_fma_f64 v[39:40], v[35:36], v[27:28], v[55:56]
	v_fma_f64 v[15:16], v[27:28], 0, v[15:16]
	;; [unrolled: 1-line block ×12, first 2 shown]
	s_waitcnt vmcnt(3)
	v_fma_f64 v[23:24], v[71:72], v[75:76], v[23:24]
	v_fma_f64 v[19:20], v[75:76], 0, v[19:20]
	;; [unrolled: 1-line block ×16, first 2 shown]
	s_waitcnt vmcnt(1)
	v_fma_f64 v[23:24], v[83:84], v[79:80], v[23:24]
	v_fma_f64 v[19:20], v[79:80], 0, v[19:20]
	;; [unrolled: 1-line block ×4, first 2 shown]
	s_waitcnt vmcnt(0)
	v_fma_f64 v[27:28], v[87:88], v[79:80], v[27:28]
	v_fma_f64 v[15:16], v[79:80], 0, v[15:16]
	;; [unrolled: 1-line block ×12, first 2 shown]
	s_andn2_b32 exec_lo, exec_lo, s7
	s_cbranch_execnz .LBB149_29
; %bb.30:
	s_or_b32 exec_lo, exec_lo, s7
.LBB149_31:
	s_or_b32 exec_lo, exec_lo, s6
	s_mov_b32 s6, exec_lo
	v_cmpx_lt_u64_e32 0xbf, v[9:10]
	s_cbranch_execz .LBB149_35
; %bb.32:
	v_lshlrev_b64 v[9:10], 3, v[45:46]
	s_mov_b32 s7, 0
	v_add_co_u32 v9, vcc_lo, s12, v9
	v_add_co_ci_u32_e64 v10, null, s13, v10, vcc_lo
	v_add_co_u32 v37, vcc_lo, 0x400, v9
	v_add_co_ci_u32_e64 v38, null, 0, v10, vcc_lo
.LBB149_33:                             ; =>This Inner Loop Header: Depth=1
	global_load_dwordx2 v[39:40], v[37:38], off offset:-1024
	s_clause 0x7
	global_load_dwordx4 v[13:16], v[49:50], off offset:48
	global_load_dwordx4 v[21:24], v[49:50], off offset:32
	;; [unrolled: 1-line block ×3, first 2 shown]
	global_load_dwordx4 v[67:70], v[49:50], off
	global_load_dwordx4 v[9:12], v[49:50], off offset:112
	global_load_dwordx4 v[17:20], v[49:50], off offset:96
	;; [unrolled: 1-line block ×4, first 2 shown]
	v_add_co_u32 v99, vcc_lo, 0x2000, v49
	v_add_co_ci_u32_e64 v100, null, 0, v50, vcc_lo
	v_add_co_u32 v123, vcc_lo, 0x4000, v49
	v_add_co_ci_u32_e64 v124, null, 0, v50, vcc_lo
	;; [unrolled: 2-line block ×3, first 2 shown]
	s_clause 0x2
	global_load_dwordx2 v[125:126], v[37:38], off offset:-512
	global_load_dwordx2 v[127:128], v[37:38], off
	global_load_dwordx2 v[129:130], v[37:38], off offset:512
	s_clause 0xa
	global_load_dwordx4 v[71:74], v[99:100], off offset:48
	global_load_dwordx4 v[75:78], v[99:100], off offset:32
	global_load_dwordx4 v[79:82], v[99:100], off
	global_load_dwordx4 v[83:86], v[99:100], off offset:16
	global_load_dwordx4 v[87:90], v[99:100], off offset:112
	;; [unrolled: 1-line block ×5, first 2 shown]
	global_load_dwordx4 v[103:106], v[123:124], off
	global_load_dwordx4 v[107:110], v[123:124], off offset:48
	global_load_dwordx4 v[111:114], v[123:124], off offset:32
	v_add_co_u32 v49, s0, 0x8000, v49
	v_add_co_ci_u32_e64 v50, null, 0, v50, s0
	s_waitcnt vmcnt(22)
	v_sub_co_u32 v39, vcc_lo, v39, v43
	v_sub_co_ci_u32_e64 v40, null, v40, v44, vcc_lo
	v_lshlrev_b64 v[39:40], 6, v[39:40]
	v_add_co_u32 v39, vcc_lo, s2, v39
	v_add_co_ci_u32_e64 v40, null, s3, v40, vcc_lo
	s_clause 0x1
	global_load_dwordx4 v[115:118], v[39:40], off
	global_load_dwordx4 v[119:122], v[39:40], off offset:16
	s_waitcnt vmcnt(1)
	v_fma_f64 v[53:54], v[115:116], 0, v[53:54]
	v_fma_f64 v[133:134], v[67:68], v[115:116], v[61:62]
	;; [unrolled: 1-line block ×10, first 2 shown]
	global_load_dwordx4 v[61:64], v[123:124], off offset:16
	v_fma_f64 v[115:116], v[35:36], v[117:118], v[55:56]
	v_fma_f64 v[133:134], 0x80000000, v[117:118], v[133:134]
	;; [unrolled: 1-line block ×5, first 2 shown]
	v_sub_co_u32 v53, vcc_lo, v125, v43
	v_sub_co_ci_u32_e64 v54, null, v126, v44, vcc_lo
	global_load_dwordx4 v[33:36], v[123:124], off offset:112
	v_fma_f64 v[117:118], 0x80000000, v[117:118], v[51:52]
	s_waitcnt vmcnt(2)
	v_fma_f64 v[65:66], v[23:24], v[119:120], v[65:66]
	v_lshlrev_b64 v[53:54], 6, v[53:54]
	v_add_co_u32 v125, vcc_lo, s2, v53
	v_add_co_ci_u32_e64 v126, null, s3, v54, vcc_lo
	s_clause 0x1
	global_load_dwordx4 v[51:54], v[39:40], off offset:32
	global_load_dwordx4 v[55:58], v[39:40], off offset:48
	v_fma_f64 v[39:40], v[119:120], 0, v[67:68]
	v_fma_f64 v[67:68], v[119:120], 0, v[69:70]
	;; [unrolled: 1-line block ×7, first 2 shown]
	global_load_dwordx4 v[21:24], v[125:126], off
	v_fma_f64 v[67:68], v[119:120], 0, v[115:116]
	v_fma_f64 v[115:116], v[13:14], v[119:120], v[135:136]
	v_fma_f64 v[59:60], v[13:14], v[121:122], v[59:60]
	v_fma_f64 v[135:136], 0x80000000, v[121:122], v[65:66]
	v_fma_f64 v[69:70], 0x80000000, v[121:122], v[69:70]
	v_fma_f64 v[117:118], 0x80000000, v[121:122], v[117:118]
	v_fma_f64 v[119:120], v[15:16], v[121:122], v[67:68]
	s_clause 0x1
	global_load_dwordx4 v[13:16], v[125:126], off offset:16
	global_load_dwordx4 v[65:68], v[125:126], off offset:32
	v_fma_f64 v[115:116], 0x80000000, v[121:122], v[115:116]
	s_waitcnt vmcnt(4)
	v_fma_f64 v[39:40], v[51:52], 0, v[39:40]
	v_fma_f64 v[121:122], v[51:52], 0, v[133:134]
	;; [unrolled: 1-line block ×10, first 2 shown]
	global_load_dwordx4 v[29:32], v[125:126], off offset:48
	v_fma_f64 v[69:70], 0x80000000, v[53:54], v[69:70]
	v_fma_f64 v[117:118], v[27:28], v[53:54], v[119:120]
	v_sub_co_u32 v119, vcc_lo, v127, v43
	v_sub_co_ci_u32_e64 v120, null, v128, v44, vcc_lo
	v_fma_f64 v[59:60], v[25:26], v[53:54], v[59:60]
	v_fma_f64 v[125:126], 0x80000000, v[53:54], v[133:134]
	;; [unrolled: 1-line block ×3, first 2 shown]
	v_lshlrev_b64 v[119:120], 6, v[119:120]
	v_fma_f64 v[127:128], 0x80000000, v[53:54], v[51:52]
	global_load_dwordx4 v[25:28], v[123:124], off offset:96
	v_add_co_u32 v119, vcc_lo, s2, v119
	v_add_co_ci_u32_e64 v120, null, s3, v120, vcc_lo
	s_waitcnt vmcnt(5)
	v_fma_f64 v[39:40], v[55:56], 0, v[39:40]
	v_fma_f64 v[121:122], v[55:56], 0, v[121:122]
	global_load_dwordx4 v[51:54], v[119:120], off
	v_fma_f64 v[117:118], v[55:56], 0, v[117:118]
	v_fma_f64 v[69:70], v[17:18], v[55:56], v[69:70]
	v_fma_f64 v[59:60], v[55:56], 0, v[59:60]
	v_fma_f64 v[125:126], v[19:20], v[55:56], v[125:126]
	v_fma_f64 v[133:134], v[9:10], v[55:56], v[115:116]
	v_sub_co_u32 v115, vcc_lo, v129, v43
	v_fma_f64 v[55:56], v[11:12], v[55:56], v[127:128]
	v_sub_co_ci_u32_e64 v116, null, v130, v44, vcc_lo
	v_lshlrev_b64 v[115:116], 6, v[115:116]
	v_fma_f64 v[39:40], v[17:18], v[57:58], v[39:40]
	v_fma_f64 v[121:122], v[19:20], v[57:58], v[121:122]
	global_load_dwordx4 v[17:20], v[123:124], off offset:80
	v_fma_f64 v[127:128], v[11:12], v[57:58], v[117:118]
	v_add_co_u32 v129, vcc_lo, s2, v115
	v_add_co_ci_u32_e64 v130, null, s3, v116, vcc_lo
	v_fma_f64 v[59:60], v[9:10], v[57:58], v[59:60]
	global_load_dwordx4 v[9:12], v[119:120], off offset:16
	global_load_dwordx4 v[115:118], v[123:124], off offset:64
	v_fma_f64 v[69:70], 0x80000000, v[57:58], v[69:70]
	v_fma_f64 v[123:124], 0x80000000, v[57:58], v[125:126]
	;; [unrolled: 1-line block ×4, first 2 shown]
	global_load_dwordx4 v[55:58], v[119:120], off offset:32
	v_add_co_u32 v45, vcc_lo, 0x100, v45
	v_add_co_ci_u32_e64 v46, null, 0, v46, vcc_lo
	v_add_co_u32 v37, vcc_lo, 0x800, v37
	s_waitcnt vmcnt(9)
	v_fma_f64 v[39:40], v[21:22], 0, v[39:40]
	v_fma_f64 v[121:122], v[21:22], 0, v[121:122]
	v_add_co_ci_u32_e64 v38, null, 0, v38, vcc_lo
	v_fma_f64 v[127:128], v[21:22], 0, v[127:128]
	v_cmp_ge_i64_e32 vcc_lo, v[45:46], v[47:48]
	v_fma_f64 v[59:60], v[21:22], 0, v[59:60]
	v_fma_f64 v[69:70], v[79:80], v[21:22], v[69:70]
	;; [unrolled: 1-line block ×5, first 2 shown]
	s_or_b32 s7, vcc_lo, s7
	v_fma_f64 v[39:40], v[79:80], v[23:24], v[39:40]
	v_fma_f64 v[121:122], v[81:82], v[23:24], v[121:122]
	global_load_dwordx4 v[79:82], v[131:132], off
	v_fma_f64 v[127:128], v[85:86], v[23:24], v[127:128]
	v_fma_f64 v[59:60], v[83:84], v[23:24], v[59:60]
	global_load_dwordx4 v[83:86], v[131:132], off offset:16
	v_fma_f64 v[69:70], 0x80000000, v[23:24], v[69:70]
	v_fma_f64 v[123:124], 0x80000000, v[23:24], v[123:124]
	;; [unrolled: 1-line block ×4, first 2 shown]
	global_load_dwordx4 v[21:24], v[119:120], off offset:48
	s_waitcnt vmcnt(11)
	v_fma_f64 v[39:40], v[13:14], 0, v[39:40]
	v_fma_f64 v[119:120], v[13:14], 0, v[121:122]
	;; [unrolled: 1-line block ×10, first 2 shown]
	global_load_dwordx4 v[75:78], v[129:130], off
	v_fma_f64 v[59:60], v[71:72], v[15:16], v[59:60]
	v_fma_f64 v[121:122], 0x80000000, v[15:16], v[121:122]
	;; [unrolled: 1-line block ×6, first 2 shown]
	global_load_dwordx4 v[69:72], v[129:130], off offset:16
	global_load_dwordx4 v[13:16], v[131:132], off offset:48
	s_waitcnt vmcnt(13)
	v_fma_f64 v[39:40], v[65:66], 0, v[39:40]
	v_fma_f64 v[119:120], v[65:66], 0, v[119:120]
	;; [unrolled: 1-line block ×10, first 2 shown]
	global_load_dwordx4 v[99:102], v[131:132], off offset:32
	v_fma_f64 v[59:60], v[95:96], v[67:68], v[59:60]
	v_fma_f64 v[121:122], 0x80000000, v[67:68], v[121:122]
	;; [unrolled: 1-line block ×6, first 2 shown]
	s_clause 0x1
	global_load_dwordx4 v[95:98], v[131:132], off offset:80
	global_load_dwordx4 v[65:68], v[131:132], off offset:64
	s_waitcnt vmcnt(15)
	v_fma_f64 v[39:40], v[29:30], 0, v[39:40]
	v_fma_f64 v[119:120], v[29:30], 0, v[119:120]
	;; [unrolled: 1-line block ×10, first 2 shown]
	s_clause 0x1
	global_load_dwordx4 v[91:94], v[129:130], off offset:32
	global_load_dwordx4 v[119:122], v[129:130], off offset:48
	v_fma_f64 v[73:74], 0x80000000, v[31:32], v[133:134]
	v_fma_f64 v[123:124], 0x80000000, v[31:32], v[123:124]
	;; [unrolled: 1-line block ×6, first 2 shown]
	s_clause 0x1
	global_load_dwordx4 v[29:32], v[131:132], off offset:96
	global_load_dwordx4 v[87:90], v[131:132], off offset:112
	s_waitcnt vmcnt(17)
	v_fma_f64 v[39:40], v[51:52], 0, v[39:40]
	v_fma_f64 v[131:132], v[51:52], 0, v[135:136]
	v_fma_f64 v[73:74], v[103:104], v[51:52], v[73:74]
	v_fma_f64 v[123:124], v[105:106], v[51:52], v[123:124]
	v_fma_f64 v[125:126], v[61:62], v[51:52], v[125:126]
	v_fma_f64 v[59:60], v[51:52], 0, v[59:60]
	v_fma_f64 v[127:128], v[63:64], v[51:52], v[127:128]
	v_fma_f64 v[51:52], v[51:52], 0, v[129:130]
	v_fma_f64 v[39:40], v[103:104], v[53:54], v[39:40]
	v_fma_f64 v[105:106], v[105:106], v[53:54], v[131:132]
	v_fma_f64 v[73:74], 0x80000000, v[53:54], v[73:74]
	v_fma_f64 v[103:104], 0x80000000, v[53:54], v[123:124]
	v_fma_f64 v[123:124], 0x80000000, v[53:54], v[125:126]
	v_fma_f64 v[59:60], v[61:62], v[53:54], v[59:60]
	v_fma_f64 v[61:62], 0x80000000, v[53:54], v[127:128]
	v_fma_f64 v[51:52], v[63:64], v[53:54], v[51:52]
	s_waitcnt vmcnt(15)
	v_fma_f64 v[39:40], v[9:10], 0, v[39:40]
	v_fma_f64 v[53:54], v[111:112], v[9:10], v[73:74]
	v_fma_f64 v[63:64], v[113:114], v[9:10], v[103:104]
	v_fma_f64 v[73:74], v[9:10], 0, v[105:106]
	v_fma_f64 v[103:104], v[107:108], v[9:10], v[123:124]
	v_fma_f64 v[59:60], v[9:10], 0, v[59:60]
	v_fma_f64 v[61:62], v[109:110], v[9:10], v[61:62]
	v_fma_f64 v[9:10], v[9:10], 0, v[51:52]
	v_fma_f64 v[39:40], v[111:112], v[11:12], v[39:40]
	v_fma_f64 v[51:52], 0x80000000, v[11:12], v[53:54]
	v_fma_f64 v[53:54], 0x80000000, v[11:12], v[63:64]
	v_fma_f64 v[63:64], v[113:114], v[11:12], v[73:74]
	v_fma_f64 v[73:74], 0x80000000, v[11:12], v[103:104]
	v_fma_f64 v[59:60], v[107:108], v[11:12], v[59:60]
	v_fma_f64 v[61:62], 0x80000000, v[11:12], v[61:62]
	v_fma_f64 v[9:10], v[109:110], v[11:12], v[9:10]
	s_waitcnt vmcnt(13)
	v_fma_f64 v[39:40], v[55:56], 0, v[39:40]
	v_fma_f64 v[11:12], v[115:116], v[55:56], v[51:52]
	v_fma_f64 v[51:52], v[117:118], v[55:56], v[53:54]
	v_fma_f64 v[53:54], v[55:56], 0, v[63:64]
	v_fma_f64 v[63:64], v[17:18], v[55:56], v[73:74]
	v_fma_f64 v[59:60], v[55:56], 0, v[59:60]
	v_fma_f64 v[61:62], v[19:20], v[55:56], v[61:62]
	v_fma_f64 v[9:10], v[55:56], 0, v[9:10]
	v_fma_f64 v[39:40], v[115:116], v[57:58], v[39:40]
	v_fma_f64 v[11:12], 0x80000000, v[57:58], v[11:12]
	v_fma_f64 v[51:52], 0x80000000, v[57:58], v[51:52]
	v_fma_f64 v[53:54], v[117:118], v[57:58], v[53:54]
	v_fma_f64 v[55:56], 0x80000000, v[57:58], v[63:64]
	v_fma_f64 v[17:18], v[17:18], v[57:58], v[59:60]
	v_fma_f64 v[59:60], 0x80000000, v[57:58], v[61:62]
	v_fma_f64 v[9:10], v[19:20], v[57:58], v[9:10]
	s_waitcnt vmcnt(10)
	v_fma_f64 v[19:20], v[21:22], 0, v[39:40]
	v_fma_f64 v[11:12], v[25:26], v[21:22], v[11:12]
	v_fma_f64 v[39:40], v[27:28], v[21:22], v[51:52]
	v_fma_f64 v[51:52], v[21:22], 0, v[53:54]
	v_fma_f64 v[53:54], v[33:34], v[21:22], v[55:56]
	v_fma_f64 v[17:18], v[21:22], 0, v[17:18]
	v_fma_f64 v[55:56], v[35:36], v[21:22], v[59:60]
	v_fma_f64 v[9:10], v[21:22], 0, v[9:10]
	v_fma_f64 v[19:20], v[25:26], v[23:24], v[19:20]
	v_fma_f64 v[11:12], 0x80000000, v[23:24], v[11:12]
	v_fma_f64 v[21:22], 0x80000000, v[23:24], v[39:40]
	v_fma_f64 v[25:26], v[27:28], v[23:24], v[51:52]
	v_fma_f64 v[27:28], 0x80000000, v[23:24], v[53:54]
	v_fma_f64 v[17:18], v[33:34], v[23:24], v[17:18]
	v_fma_f64 v[33:34], 0x80000000, v[23:24], v[55:56]
	v_fma_f64 v[9:10], v[35:36], v[23:24], v[9:10]
	s_waitcnt vmcnt(9)
	v_fma_f64 v[19:20], v[75:76], 0, v[19:20]
	v_fma_f64 v[11:12], v[79:80], v[75:76], v[11:12]
	v_fma_f64 v[21:22], v[81:82], v[75:76], v[21:22]
	v_fma_f64 v[23:24], v[75:76], 0, v[25:26]
	v_fma_f64 v[25:26], v[83:84], v[75:76], v[27:28]
	v_fma_f64 v[17:18], v[75:76], 0, v[17:18]
	v_fma_f64 v[27:28], v[85:86], v[75:76], v[33:34]
	v_fma_f64 v[9:10], v[75:76], 0, v[9:10]
	v_fma_f64 v[19:20], v[79:80], v[77:78], v[19:20]
	v_fma_f64 v[11:12], 0x80000000, v[77:78], v[11:12]
	v_fma_f64 v[21:22], 0x80000000, v[77:78], v[21:22]
	v_fma_f64 v[23:24], v[81:82], v[77:78], v[23:24]
	v_fma_f64 v[25:26], 0x80000000, v[77:78], v[25:26]
	v_fma_f64 v[17:18], v[83:84], v[77:78], v[17:18]
	v_fma_f64 v[27:28], 0x80000000, v[77:78], v[27:28]
	v_fma_f64 v[9:10], v[85:86], v[77:78], v[9:10]
	s_waitcnt vmcnt(8)
	v_fma_f64 v[19:20], v[69:70], 0, v[19:20]
	s_waitcnt vmcnt(6)
	v_fma_f64 v[11:12], v[99:100], v[69:70], v[11:12]
	v_fma_f64 v[21:22], v[101:102], v[69:70], v[21:22]
	;; [unrolled: 1-line block ×15, first 2 shown]
	s_waitcnt vmcnt(3)
	v_fma_f64 v[11:12], v[65:66], v[91:92], v[11:12]
	v_fma_f64 v[15:16], v[91:92], 0, v[19:20]
	;; [unrolled: 1-line block ×16, first 2 shown]
	s_waitcnt vmcnt(1)
	v_fma_f64 v[11:12], v[29:30], v[119:120], v[11:12]
	v_fma_f64 v[15:16], v[119:120], 0, v[15:16]
	v_fma_f64 v[19:20], v[31:32], v[119:120], v[19:20]
	v_fma_f64 v[21:22], v[119:120], 0, v[21:22]
	s_waitcnt vmcnt(0)
	v_fma_f64 v[23:24], v[87:88], v[119:120], v[23:24]
	v_fma_f64 v[13:14], v[119:120], 0, v[13:14]
	;; [unrolled: 1-line block ×12, first 2 shown]
	s_andn2_b32 exec_lo, exec_lo, s7
	s_cbranch_execnz .LBB149_33
; %bb.34:
	s_or_b32 exec_lo, exec_lo, s7
.LBB149_35:
	s_or_b32 exec_lo, exec_lo, s6
.LBB149_36:
	s_or_b32 exec_lo, exec_lo, s1
.LBB149_37:
	v_mbcnt_lo_u32_b32 v43, -1, 0
	v_or_b32_e32 v9, 32, v43
	v_xor_b32_e32 v25, 16, v43
	v_cmp_gt_i32_e32 vcc_lo, 32, v9
	v_cndmask_b32_e32 v9, v43, v9, vcc_lo
	v_cmp_gt_i32_e32 vcc_lo, 32, v25
	v_lshlrev_b32_e32 v24, 2, v9
	v_cndmask_b32_e32 v25, v43, v25, vcc_lo
	ds_bpermute_b32 v9, v24, v61
	ds_bpermute_b32 v10, v24, v62
	;; [unrolled: 1-line block ×16, first 2 shown]
	v_lshlrev_b32_e32 v40, 2, v25
	s_waitcnt lgkmcnt(14)
	v_add_f64 v[9:10], v[61:62], v[9:10]
	s_waitcnt lgkmcnt(12)
	v_add_f64 v[11:12], v[53:54], v[11:12]
	;; [unrolled: 2-line block ×8, first 2 shown]
	ds_bpermute_b32 v25, v40, v9
	ds_bpermute_b32 v26, v40, v10
	ds_bpermute_b32 v27, v40, v11
	ds_bpermute_b32 v28, v40, v12
	ds_bpermute_b32 v29, v40, v13
	ds_bpermute_b32 v30, v40, v14
	ds_bpermute_b32 v31, v40, v15
	ds_bpermute_b32 v32, v40, v16
	ds_bpermute_b32 v33, v40, v17
	ds_bpermute_b32 v34, v40, v18
	ds_bpermute_b32 v35, v40, v19
	ds_bpermute_b32 v36, v40, v20
	ds_bpermute_b32 v37, v40, v21
	ds_bpermute_b32 v38, v40, v22
	ds_bpermute_b32 v39, v40, v23
	ds_bpermute_b32 v40, v40, v24
	s_waitcnt lgkmcnt(14)
	v_add_f64 v[9:10], v[9:10], v[25:26]
	v_xor_b32_e32 v25, 8, v43
	s_waitcnt lgkmcnt(12)
	v_add_f64 v[11:12], v[11:12], v[27:28]
	s_waitcnt lgkmcnt(10)
	v_add_f64 v[13:14], v[13:14], v[29:30]
	v_cmp_gt_i32_e32 vcc_lo, 32, v25
	s_waitcnt lgkmcnt(8)
	v_add_f64 v[15:16], v[15:16], v[31:32]
	s_waitcnt lgkmcnt(6)
	v_add_f64 v[17:18], v[17:18], v[33:34]
	s_waitcnt lgkmcnt(4)
	v_add_f64 v[19:20], v[19:20], v[35:36]
	v_cndmask_b32_e32 v25, v43, v25, vcc_lo
	s_waitcnt lgkmcnt(2)
	v_add_f64 v[21:22], v[21:22], v[37:38]
	s_waitcnt lgkmcnt(0)
	v_add_f64 v[23:24], v[23:24], v[39:40]
	v_lshlrev_b32_e32 v40, 2, v25
	ds_bpermute_b32 v25, v40, v9
	ds_bpermute_b32 v26, v40, v10
	ds_bpermute_b32 v27, v40, v11
	ds_bpermute_b32 v28, v40, v12
	ds_bpermute_b32 v29, v40, v13
	ds_bpermute_b32 v30, v40, v14
	ds_bpermute_b32 v31, v40, v15
	ds_bpermute_b32 v32, v40, v16
	ds_bpermute_b32 v33, v40, v17
	ds_bpermute_b32 v34, v40, v18
	ds_bpermute_b32 v35, v40, v19
	ds_bpermute_b32 v36, v40, v20
	ds_bpermute_b32 v37, v40, v21
	ds_bpermute_b32 v38, v40, v22
	ds_bpermute_b32 v39, v40, v23
	ds_bpermute_b32 v40, v40, v24
	s_waitcnt lgkmcnt(14)
	v_add_f64 v[9:10], v[9:10], v[25:26]
	v_xor_b32_e32 v25, 4, v43
	s_waitcnt lgkmcnt(12)
	v_add_f64 v[11:12], v[11:12], v[27:28]
	s_waitcnt lgkmcnt(10)
	v_add_f64 v[13:14], v[13:14], v[29:30]
	v_cmp_gt_i32_e32 vcc_lo, 32, v25
	s_waitcnt lgkmcnt(8)
	v_add_f64 v[15:16], v[15:16], v[31:32]
	s_waitcnt lgkmcnt(6)
	v_add_f64 v[17:18], v[17:18], v[33:34]
	s_waitcnt lgkmcnt(4)
	v_add_f64 v[19:20], v[19:20], v[35:36]
	v_cndmask_b32_e32 v25, v43, v25, vcc_lo
	s_waitcnt lgkmcnt(2)
	v_add_f64 v[21:22], v[21:22], v[37:38]
	s_waitcnt lgkmcnt(0)
	v_add_f64 v[23:24], v[23:24], v[39:40]
	v_lshlrev_b32_e32 v40, 2, v25
	;; [unrolled: 36-line block ×3, first 2 shown]
	ds_bpermute_b32 v23, v40, v9
	ds_bpermute_b32 v24, v40, v10
	;; [unrolled: 1-line block ×16, first 2 shown]
	s_waitcnt lgkmcnt(14)
	v_add_f64 v[9:10], v[9:10], v[23:24]
	s_waitcnt lgkmcnt(12)
	v_add_f64 v[27:28], v[11:12], v[27:28]
	;; [unrolled: 2-line block ×3, first 2 shown]
	v_xor_b32_e32 v29, 1, v43
	s_waitcnt lgkmcnt(8)
	v_add_f64 v[23:24], v[15:16], v[31:32]
	s_waitcnt lgkmcnt(6)
	v_add_f64 v[13:14], v[17:18], v[33:34]
	v_cmp_gt_i32_e32 vcc_lo, 32, v29
	s_waitcnt lgkmcnt(4)
	v_add_f64 v[17:18], v[19:20], v[35:36]
	s_waitcnt lgkmcnt(2)
	v_add_f64 v[15:16], v[21:22], v[37:38]
	;; [unrolled: 2-line block ×3, first 2 shown]
	v_cndmask_b32_e32 v29, v43, v29, vcc_lo
	v_cmp_eq_u32_e32 vcc_lo, 63, v0
	v_lshlrev_b32_e32 v34, 2, v29
	ds_bpermute_b32 v21, v34, v9
	ds_bpermute_b32 v22, v34, v10
	;; [unrolled: 1-line block ×16, first 2 shown]
	s_and_b32 exec_lo, exec_lo, vcc_lo
	s_cbranch_execz .LBB149_8
; %bb.38:
	s_waitcnt lgkmcnt(12)
	v_add_f64 v[27:28], v[27:28], v[39:40]
	s_waitcnt lgkmcnt(8)
	v_add_f64 v[23:24], v[23:24], v[37:38]
	;; [unrolled: 2-line block ×4, first 2 shown]
	v_add_f64 v[9:10], v[9:10], v[21:22]
	v_add_f64 v[11:12], v[11:12], v[25:26]
	;; [unrolled: 1-line block ×4, first 2 shown]
	v_cmp_eq_f64_e32 vcc_lo, 0, v[1:2]
	v_cmp_eq_f64_e64 s0, 0, v[3:4]
	s_load_dwordx2 s[2:3], s[4:5], 0x68
	v_mul_f64 v[13:14], v[27:28], -v[7:8]
	v_mul_f64 v[15:16], v[5:6], v[27:28]
	v_mul_f64 v[27:28], v[23:24], -v[7:8]
	v_mul_f64 v[23:24], v[5:6], v[23:24]
	;; [unrolled: 2-line block ×4, first 2 shown]
	s_and_b32 s0, vcc_lo, s0
	v_fma_f64 v[17:18], v[5:6], v[9:10], v[13:14]
	v_fma_f64 v[19:20], v[7:8], v[9:10], v[15:16]
	;; [unrolled: 1-line block ×8, first 2 shown]
	v_lshlrev_b64 v[21:22], 6, v[41:42]
	s_and_saveexec_b32 s1, s0
	s_xor_b32 s0, exec_lo, s1
	s_cbranch_execz .LBB149_40
; %bb.39:
	s_waitcnt lgkmcnt(0)
	v_add_co_u32 v0, vcc_lo, s2, v21
	v_add_co_ci_u32_e64 v1, null, s3, v22, vcc_lo
                                        ; implicit-def: $vgpr21_vgpr22
	global_store_dwordx4 v[0:1], v[17:20], off
	global_store_dwordx4 v[0:1], v[13:16], off offset:16
	global_store_dwordx4 v[0:1], v[9:12], off offset:32
	;; [unrolled: 1-line block ×3, first 2 shown]
                                        ; implicit-def: $vgpr3_vgpr4
                                        ; implicit-def: $vgpr17_vgpr18
                                        ; implicit-def: $vgpr13_vgpr14
                                        ; implicit-def: $vgpr9_vgpr10
                                        ; implicit-def: $vgpr5_vgpr6
.LBB149_40:
	s_andn2_saveexec_b32 s0, s0
	s_cbranch_execz .LBB149_8
; %bb.41:
	s_waitcnt lgkmcnt(0)
	v_add_co_u32 v37, vcc_lo, s2, v21
	v_add_co_ci_u32_e64 v38, null, s3, v22, vcc_lo
	s_clause 0x3
	global_load_dwordx4 v[21:24], v[37:38], off
	global_load_dwordx4 v[25:28], v[37:38], off offset:16
	global_load_dwordx4 v[29:32], v[37:38], off offset:32
	global_load_dwordx4 v[33:36], v[37:38], off offset:48
	s_waitcnt vmcnt(3)
	v_fma_f64 v[17:18], v[1:2], v[21:22], v[17:18]
	v_fma_f64 v[19:20], v[3:4], v[21:22], v[19:20]
	s_waitcnt vmcnt(2)
	v_fma_f64 v[13:14], v[1:2], v[25:26], v[13:14]
	v_fma_f64 v[15:16], v[3:4], v[25:26], v[15:16]
	;; [unrolled: 3-line block ×4, first 2 shown]
	v_fma_f64 v[5:6], -v[3:4], v[23:24], v[17:18]
	v_fma_f64 v[7:8], v[1:2], v[23:24], v[19:20]
	v_fma_f64 v[9:10], -v[3:4], v[27:28], v[13:14]
	v_fma_f64 v[11:12], v[1:2], v[27:28], v[15:16]
	;; [unrolled: 2-line block ×4, first 2 shown]
	global_store_dwordx4 v[37:38], v[5:8], off
	global_store_dwordx4 v[37:38], v[9:12], off offset:16
	global_store_dwordx4 v[37:38], v[13:16], off offset:32
	;; [unrolled: 1-line block ×3, first 2 shown]
	s_endpgm
	.section	.rodata,"a",@progbits
	.p2align	6, 0x0
	.amdhsa_kernel _ZN9rocsparseL18bsrxmvn_4x4_kernelILj128ELj64E21rocsparse_complex_numIdElldS2_S2_EEvT3_20rocsparse_direction_NS_24const_host_device_scalarIT1_EES3_PKS3_PKT2_SC_S9_PKT4_PKT5_S7_PT6_21rocsparse_index_base_b
		.amdhsa_group_segment_fixed_size 0
		.amdhsa_private_segment_fixed_size 0
		.amdhsa_kernarg_size 120
		.amdhsa_user_sgpr_count 6
		.amdhsa_user_sgpr_private_segment_buffer 1
		.amdhsa_user_sgpr_dispatch_ptr 0
		.amdhsa_user_sgpr_queue_ptr 0
		.amdhsa_user_sgpr_kernarg_segment_ptr 1
		.amdhsa_user_sgpr_dispatch_id 0
		.amdhsa_user_sgpr_flat_scratch_init 0
		.amdhsa_user_sgpr_private_segment_size 0
		.amdhsa_wavefront_size32 1
		.amdhsa_uses_dynamic_stack 0
		.amdhsa_system_sgpr_private_segment_wavefront_offset 0
		.amdhsa_system_sgpr_workgroup_id_x 1
		.amdhsa_system_sgpr_workgroup_id_y 0
		.amdhsa_system_sgpr_workgroup_id_z 0
		.amdhsa_system_sgpr_workgroup_info 0
		.amdhsa_system_vgpr_workitem_id 0
		.amdhsa_next_free_vgpr 159
		.amdhsa_next_free_sgpr 16
		.amdhsa_reserve_vcc 1
		.amdhsa_reserve_flat_scratch 0
		.amdhsa_float_round_mode_32 0
		.amdhsa_float_round_mode_16_64 0
		.amdhsa_float_denorm_mode_32 3
		.amdhsa_float_denorm_mode_16_64 3
		.amdhsa_dx10_clamp 1
		.amdhsa_ieee_mode 1
		.amdhsa_fp16_overflow 0
		.amdhsa_workgroup_processor_mode 1
		.amdhsa_memory_ordered 1
		.amdhsa_forward_progress 1
		.amdhsa_shared_vgpr_count 0
		.amdhsa_exception_fp_ieee_invalid_op 0
		.amdhsa_exception_fp_denorm_src 0
		.amdhsa_exception_fp_ieee_div_zero 0
		.amdhsa_exception_fp_ieee_overflow 0
		.amdhsa_exception_fp_ieee_underflow 0
		.amdhsa_exception_fp_ieee_inexact 0
		.amdhsa_exception_int_div_zero 0
	.end_amdhsa_kernel
	.section	.text._ZN9rocsparseL18bsrxmvn_4x4_kernelILj128ELj64E21rocsparse_complex_numIdElldS2_S2_EEvT3_20rocsparse_direction_NS_24const_host_device_scalarIT1_EES3_PKS3_PKT2_SC_S9_PKT4_PKT5_S7_PT6_21rocsparse_index_base_b,"axG",@progbits,_ZN9rocsparseL18bsrxmvn_4x4_kernelILj128ELj64E21rocsparse_complex_numIdElldS2_S2_EEvT3_20rocsparse_direction_NS_24const_host_device_scalarIT1_EES3_PKS3_PKT2_SC_S9_PKT4_PKT5_S7_PT6_21rocsparse_index_base_b,comdat
.Lfunc_end149:
	.size	_ZN9rocsparseL18bsrxmvn_4x4_kernelILj128ELj64E21rocsparse_complex_numIdElldS2_S2_EEvT3_20rocsparse_direction_NS_24const_host_device_scalarIT1_EES3_PKS3_PKT2_SC_S9_PKT4_PKT5_S7_PT6_21rocsparse_index_base_b, .Lfunc_end149-_ZN9rocsparseL18bsrxmvn_4x4_kernelILj128ELj64E21rocsparse_complex_numIdElldS2_S2_EEvT3_20rocsparse_direction_NS_24const_host_device_scalarIT1_EES3_PKS3_PKT2_SC_S9_PKT4_PKT5_S7_PT6_21rocsparse_index_base_b
                                        ; -- End function
	.set _ZN9rocsparseL18bsrxmvn_4x4_kernelILj128ELj64E21rocsparse_complex_numIdElldS2_S2_EEvT3_20rocsparse_direction_NS_24const_host_device_scalarIT1_EES3_PKS3_PKT2_SC_S9_PKT4_PKT5_S7_PT6_21rocsparse_index_base_b.num_vgpr, 159
	.set _ZN9rocsparseL18bsrxmvn_4x4_kernelILj128ELj64E21rocsparse_complex_numIdElldS2_S2_EEvT3_20rocsparse_direction_NS_24const_host_device_scalarIT1_EES3_PKS3_PKT2_SC_S9_PKT4_PKT5_S7_PT6_21rocsparse_index_base_b.num_agpr, 0
	.set _ZN9rocsparseL18bsrxmvn_4x4_kernelILj128ELj64E21rocsparse_complex_numIdElldS2_S2_EEvT3_20rocsparse_direction_NS_24const_host_device_scalarIT1_EES3_PKS3_PKT2_SC_S9_PKT4_PKT5_S7_PT6_21rocsparse_index_base_b.numbered_sgpr, 16
	.set _ZN9rocsparseL18bsrxmvn_4x4_kernelILj128ELj64E21rocsparse_complex_numIdElldS2_S2_EEvT3_20rocsparse_direction_NS_24const_host_device_scalarIT1_EES3_PKS3_PKT2_SC_S9_PKT4_PKT5_S7_PT6_21rocsparse_index_base_b.num_named_barrier, 0
	.set _ZN9rocsparseL18bsrxmvn_4x4_kernelILj128ELj64E21rocsparse_complex_numIdElldS2_S2_EEvT3_20rocsparse_direction_NS_24const_host_device_scalarIT1_EES3_PKS3_PKT2_SC_S9_PKT4_PKT5_S7_PT6_21rocsparse_index_base_b.private_seg_size, 0
	.set _ZN9rocsparseL18bsrxmvn_4x4_kernelILj128ELj64E21rocsparse_complex_numIdElldS2_S2_EEvT3_20rocsparse_direction_NS_24const_host_device_scalarIT1_EES3_PKS3_PKT2_SC_S9_PKT4_PKT5_S7_PT6_21rocsparse_index_base_b.uses_vcc, 1
	.set _ZN9rocsparseL18bsrxmvn_4x4_kernelILj128ELj64E21rocsparse_complex_numIdElldS2_S2_EEvT3_20rocsparse_direction_NS_24const_host_device_scalarIT1_EES3_PKS3_PKT2_SC_S9_PKT4_PKT5_S7_PT6_21rocsparse_index_base_b.uses_flat_scratch, 0
	.set _ZN9rocsparseL18bsrxmvn_4x4_kernelILj128ELj64E21rocsparse_complex_numIdElldS2_S2_EEvT3_20rocsparse_direction_NS_24const_host_device_scalarIT1_EES3_PKS3_PKT2_SC_S9_PKT4_PKT5_S7_PT6_21rocsparse_index_base_b.has_dyn_sized_stack, 0
	.set _ZN9rocsparseL18bsrxmvn_4x4_kernelILj128ELj64E21rocsparse_complex_numIdElldS2_S2_EEvT3_20rocsparse_direction_NS_24const_host_device_scalarIT1_EES3_PKS3_PKT2_SC_S9_PKT4_PKT5_S7_PT6_21rocsparse_index_base_b.has_recursion, 0
	.set _ZN9rocsparseL18bsrxmvn_4x4_kernelILj128ELj64E21rocsparse_complex_numIdElldS2_S2_EEvT3_20rocsparse_direction_NS_24const_host_device_scalarIT1_EES3_PKS3_PKT2_SC_S9_PKT4_PKT5_S7_PT6_21rocsparse_index_base_b.has_indirect_call, 0
	.section	.AMDGPU.csdata,"",@progbits
; Kernel info:
; codeLenInByte = 11460
; TotalNumSgprs: 18
; NumVgprs: 159
; ScratchSize: 0
; MemoryBound: 0
; FloatMode: 240
; IeeeMode: 1
; LDSByteSize: 0 bytes/workgroup (compile time only)
; SGPRBlocks: 0
; VGPRBlocks: 19
; NumSGPRsForWavesPerEU: 18
; NumVGPRsForWavesPerEU: 159
; Occupancy: 6
; WaveLimiterHint : 1
; COMPUTE_PGM_RSRC2:SCRATCH_EN: 0
; COMPUTE_PGM_RSRC2:USER_SGPR: 6
; COMPUTE_PGM_RSRC2:TRAP_HANDLER: 0
; COMPUTE_PGM_RSRC2:TGID_X_EN: 1
; COMPUTE_PGM_RSRC2:TGID_Y_EN: 0
; COMPUTE_PGM_RSRC2:TGID_Z_EN: 0
; COMPUTE_PGM_RSRC2:TIDIG_COMP_CNT: 0
	.section	.text._ZN9rocsparseL18bsrxmvn_4x4_kernelILj128ELj4EdiifddEEvT3_20rocsparse_direction_NS_24const_host_device_scalarIT1_EES1_PKS1_PKT2_SA_S7_PKT4_PKT5_S5_PT6_21rocsparse_index_base_b,"axG",@progbits,_ZN9rocsparseL18bsrxmvn_4x4_kernelILj128ELj4EdiifddEEvT3_20rocsparse_direction_NS_24const_host_device_scalarIT1_EES1_PKS1_PKT2_SA_S7_PKT4_PKT5_S5_PT6_21rocsparse_index_base_b,comdat
	.globl	_ZN9rocsparseL18bsrxmvn_4x4_kernelILj128ELj4EdiifddEEvT3_20rocsparse_direction_NS_24const_host_device_scalarIT1_EES1_PKS1_PKT2_SA_S7_PKT4_PKT5_S5_PT6_21rocsparse_index_base_b ; -- Begin function _ZN9rocsparseL18bsrxmvn_4x4_kernelILj128ELj4EdiifddEEvT3_20rocsparse_direction_NS_24const_host_device_scalarIT1_EES1_PKS1_PKT2_SA_S7_PKT4_PKT5_S5_PT6_21rocsparse_index_base_b
	.p2align	8
	.type	_ZN9rocsparseL18bsrxmvn_4x4_kernelILj128ELj4EdiifddEEvT3_20rocsparse_direction_NS_24const_host_device_scalarIT1_EES1_PKS1_PKT2_SA_S7_PKT4_PKT5_S5_PT6_21rocsparse_index_base_b,@function
_ZN9rocsparseL18bsrxmvn_4x4_kernelILj128ELj4EdiifddEEvT3_20rocsparse_direction_NS_24const_host_device_scalarIT1_EES1_PKS1_PKT2_SA_S7_PKT4_PKT5_S5_PT6_21rocsparse_index_base_b: ; @_ZN9rocsparseL18bsrxmvn_4x4_kernelILj128ELj4EdiifddEEvT3_20rocsparse_direction_NS_24const_host_device_scalarIT1_EES1_PKS1_PKT2_SA_S7_PKT4_PKT5_S5_PT6_21rocsparse_index_base_b
; %bb.0:
	s_clause 0x2
	s_load_dwordx2 s[2:3], s[4:5], 0x58
	s_load_dwordx2 s[8:9], s[4:5], 0x8
	;; [unrolled: 1-line block ×3, first 2 shown]
	s_waitcnt lgkmcnt(0)
	s_bitcmp1_b32 s3, 0
	v_mov_b32_e32 v2, s8
	v_mov_b32_e32 v3, s9
	s_cselect_b32 s3, -1, 0
	s_and_b32 vcc_lo, exec_lo, s3
	s_xor_b32 s3, s3, -1
	s_cbranch_vccnz .LBB150_2
; %bb.1:
	v_mov_b32_e32 v1, s8
	v_mov_b32_e32 v2, s9
	flat_load_dwordx2 v[2:3], v[1:2]
.LBB150_2:
	v_mov_b32_e32 v9, s1
	v_mov_b32_e32 v8, s0
	s_andn2_b32 vcc_lo, exec_lo, s3
	s_cbranch_vccnz .LBB150_4
; %bb.3:
	v_mov_b32_e32 v5, s1
	v_mov_b32_e32 v4, s0
	flat_load_dwordx2 v[8:9], v[4:5]
.LBB150_4:
	s_waitcnt vmcnt(0) lgkmcnt(0)
	v_cmp_neq_f64_e32 vcc_lo, 0, v[2:3]
	v_cmp_neq_f64_e64 s0, 1.0, v[8:9]
	s_or_b32 s0, vcc_lo, s0
	s_and_saveexec_b32 s1, s0
	s_cbranch_execz .LBB150_10
; %bb.5:
	s_clause 0x1
	s_load_dwordx2 s[8:9], s[4:5], 0x18
	s_load_dwordx2 s[0:1], s[4:5], 0x0
	v_lshrrev_b32_e32 v1, 2, v0
	v_lshl_or_b32 v10, s6, 5, v1
	s_waitcnt lgkmcnt(0)
	s_cmp_lg_u64 s[8:9], 0
	s_cbranch_scc0 .LBB150_11
; %bb.6:
	s_load_dword s3, s[4:5], 0x10
	s_mov_b32 s6, 0
                                        ; implicit-def: $vgpr1
	s_waitcnt lgkmcnt(0)
	v_cmp_gt_i32_e32 vcc_lo, s3, v10
	s_mov_b32 s3, 0
	s_and_saveexec_b32 s7, vcc_lo
	s_xor_b32 s7, exec_lo, s7
	s_cbranch_execz .LBB150_8
; %bb.7:
	v_ashrrev_i32_e32 v11, 31, v10
	s_mov_b32 s3, exec_lo
	v_lshlrev_b64 v[4:5], 2, v[10:11]
	v_add_co_u32 v4, vcc_lo, s8, v4
	v_add_co_ci_u32_e64 v5, null, s9, v5, vcc_lo
	global_load_dword v1, v[4:5], off
	s_waitcnt vmcnt(0)
	v_subrev_nc_u32_e32 v1, s2, v1
.LBB150_8:
	s_or_b32 exec_lo, exec_lo, s7
	s_and_b32 vcc_lo, exec_lo, s6
	s_cbranch_vccz .LBB150_12
.LBB150_9:
	v_cmp_gt_i32_e32 vcc_lo, s0, v10
	s_andn2_b32 s0, s3, exec_lo
	s_and_b32 s3, vcc_lo, exec_lo
	s_or_b32 s3, s0, s3
	s_and_b32 exec_lo, exec_lo, s3
	s_cbranch_execnz .LBB150_13
.LBB150_10:
	s_endpgm
.LBB150_11:
	s_mov_b32 s3, 0
                                        ; implicit-def: $vgpr1
	s_cbranch_execnz .LBB150_9
.LBB150_12:
	v_mov_b32_e32 v10, v1
	s_and_b32 exec_lo, exec_lo, s3
	s_cbranch_execz .LBB150_10
.LBB150_13:
	s_load_dwordx8 s[8:15], s[4:5], 0x20
	v_ashrrev_i32_e32 v11, 31, v10
	v_and_b32_e32 v21, 3, v0
	s_load_dwordx2 s[6:7], s[4:5], 0x40
	v_lshlrev_b64 v[4:5], 2, v[10:11]
	s_waitcnt lgkmcnt(0)
	v_add_co_u32 v6, vcc_lo, s8, v4
	v_add_co_ci_u32_e64 v7, null, s9, v5, vcc_lo
	v_add_co_u32 v1, vcc_lo, s10, v4
	v_add_co_ci_u32_e64 v4, null, s11, v5, vcc_lo
	global_load_dword v23, v[6:7], off
	v_add_co_u32 v6, vcc_lo, v6, 4
	v_add_co_ci_u32_e64 v5, null, 0, v7, vcc_lo
	s_cmp_eq_u64 s[10:11], 0
	s_cselect_b32 vcc_lo, -1, 0
	s_cmp_eq_u32 s1, 1
	v_cndmask_b32_e32 v5, v4, v5, vcc_lo
	v_cndmask_b32_e32 v4, v1, v6, vcc_lo
	global_load_dword v6, v[4:5], off
	s_waitcnt vmcnt(1)
	v_subrev_nc_u32_e32 v0, s2, v23
	v_add_nc_u32_e32 v0, v0, v21
	v_ashrrev_i32_e32 v1, 31, v0
	s_waitcnt vmcnt(0)
	v_subrev_nc_u32_e32 v22, s2, v6
	v_lshlrev_b64 v[4:5], 6, v[0:1]
	v_cmp_lt_i32_e64 s0, v0, v22
	v_add_co_u32 v4, vcc_lo, s14, v4
	v_add_co_ci_u32_e64 v5, null, s15, v5, vcc_lo
	s_cbranch_scc1 .LBB150_25
; %bb.14:
	v_mov_b32_e32 v6, 0
	v_mov_b32_e32 v13, 0
	v_mov_b32_e32 v15, 0
	v_mov_b32_e32 v11, 0
	v_mov_b32_e32 v7, 0
	v_mov_b32_e32 v14, 0
	v_mov_b32_e32 v16, 0
	v_mov_b32_e32 v12, 0
	s_and_saveexec_b32 s3, s0
	s_cbranch_execz .LBB150_24
; %bb.15:
	v_add_nc_u32_e32 v1, v23, v21
	v_not_b32_e32 v6, v23
	v_mov_b32_e32 v11, 0
	v_mov_b32_e32 v15, 0
	;; [unrolled: 1-line block ×3, first 2 shown]
	v_subrev_nc_u32_e32 v1, s2, v1
	v_mov_b32_e32 v12, 0
	v_mov_b32_e32 v16, 0
	;; [unrolled: 1-line block ×4, first 2 shown]
	v_add_nc_u32_e32 v1, 4, v1
	v_max_i32_e32 v1, v1, v22
	v_add3_u32 v1, s2, v1, v6
	v_mov_b32_e32 v6, 0
	v_mov_b32_e32 v7, 0
	v_sub_nc_u32_e32 v1, v1, v21
	v_and_b32_e32 v17, 12, v1
	v_cmp_ne_u32_e32 vcc_lo, 12, v17
	v_mov_b32_e32 v18, v5
	v_mov_b32_e32 v17, v4
	s_and_saveexec_b32 s1, vcc_lo
	s_cbranch_execz .LBB150_19
; %bb.16:
	v_lshrrev_b32_e32 v6, 2, v1
	v_mov_b32_e32 v18, v5
	v_mov_b32_e32 v13, 0
	;; [unrolled: 1-line block ×4, first 2 shown]
	v_add_nc_u32_e32 v11, 1, v6
	v_mov_b32_e32 v6, 0
	v_mov_b32_e32 v7, 0
	;; [unrolled: 1-line block ×4, first 2 shown]
	v_and_b32_e32 v19, 3, v11
	v_mov_b32_e32 v11, 0
	v_mov_b32_e32 v12, 0
	s_mov_b32 s8, 0
	v_sub_nc_u32_e32 v24, 0, v19
	v_mov_b32_e32 v19, v0
.LBB150_17:                             ; =>This Inner Loop Header: Depth=1
	v_ashrrev_i32_e32 v20, 31, v19
	v_add_co_u32 v24, s9, v24, 1
	s_or_b32 s8, s9, s8
	v_lshlrev_b64 v[25:26], 2, v[19:20]
	v_add_nc_u32_e32 v19, 4, v19
	v_add_co_u32 v25, vcc_lo, s12, v25
	v_add_co_ci_u32_e64 v26, null, s13, v26, vcc_lo
	global_load_dword v20, v[25:26], off
	s_clause 0x3
	global_load_dwordx4 v[25:28], v[17:18], off offset:48
	global_load_dwordx4 v[29:32], v[17:18], off offset:32
	;; [unrolled: 1-line block ×3, first 2 shown]
	global_load_dwordx4 v[37:40], v[17:18], off
	s_waitcnt vmcnt(4)
	v_subrev_nc_u32_e32 v20, s2, v20
	s_waitcnt vmcnt(3)
	v_cvt_f64_f32_e32 v[55:56], v25
	s_waitcnt vmcnt(2)
	v_cvt_f64_f32_e32 v[53:54], v29
	;; [unrolled: 2-line block ×4, first 2 shown]
	v_lshlrev_b32_e32 v41, 2, v20
	v_cvt_f64_f32_e32 v[37:38], v38
	v_cvt_f64_f32_e32 v[33:34], v34
	;; [unrolled: 1-line block ×4, first 2 shown]
	v_ashrrev_i32_e32 v42, 31, v41
	v_lshlrev_b64 v[41:42], 3, v[41:42]
	v_add_co_u32 v45, vcc_lo, s6, v41
	v_add_co_ci_u32_e64 v46, null, s7, v42, vcc_lo
	v_add_co_u32 v17, vcc_lo, 0x100, v17
	v_add_co_ci_u32_e64 v18, null, 0, v18, vcc_lo
	s_clause 0x1
	global_load_dwordx4 v[41:44], v[45:46], off
	global_load_dwordx4 v[45:48], v[45:46], off offset:16
	s_waitcnt vmcnt(1)
	v_fma_f64 v[11:12], v[49:50], v[41:42], v[11:12]
	v_fma_f64 v[15:16], v[51:52], v[41:42], v[15:16]
	;; [unrolled: 1-line block ×4, first 2 shown]
	v_cvt_f64_f32_e32 v[41:42], v39
	v_cvt_f64_f32_e32 v[49:50], v35
	;; [unrolled: 1-line block ×6, first 2 shown]
	v_fma_f64 v[11:12], v[37:38], v[43:44], v[11:12]
	v_fma_f64 v[15:16], v[33:34], v[43:44], v[15:16]
	;; [unrolled: 1-line block ×4, first 2 shown]
	v_cvt_f64_f32_e32 v[25:26], v40
	v_cvt_f64_f32_e32 v[29:30], v36
	s_waitcnt vmcnt(0)
	v_fma_f64 v[11:12], v[41:42], v[45:46], v[11:12]
	v_fma_f64 v[15:16], v[49:50], v[45:46], v[15:16]
	;; [unrolled: 1-line block ×8, first 2 shown]
	s_andn2_b32 exec_lo, exec_lo, s8
	s_cbranch_execnz .LBB150_17
; %bb.18:
	s_or_b32 exec_lo, exec_lo, s8
.LBB150_19:
	s_or_b32 exec_lo, exec_lo, s1
	s_mov_b32 s8, exec_lo
	v_cmpx_lt_u32_e32 11, v1
	s_cbranch_execz .LBB150_23
; %bb.20:
	s_mov_b32 s9, 0
.LBB150_21:                             ; =>This Inner Loop Header: Depth=1
	v_ashrrev_i32_e32 v20, 31, v19
	v_lshlrev_b64 v[24:25], 2, v[19:20]
	v_add_nc_u32_e32 v19, 16, v19
	v_add_co_u32 v56, vcc_lo, s12, v24
	v_add_co_ci_u32_e64 v57, null, s13, v25, vcc_lo
	s_clause 0x1
	global_load_dword v1, v[56:57], off
	global_load_dword v20, v[56:57], off offset:16
	s_clause 0x7
	global_load_dwordx4 v[24:27], v[17:18], off
	global_load_dwordx4 v[28:31], v[17:18], off offset:16
	global_load_dwordx4 v[32:35], v[17:18], off offset:32
	;; [unrolled: 1-line block ×7, first 2 shown]
	s_clause 0x1
	global_load_dword v110, v[56:57], off offset:32
	global_load_dword v111, v[56:57], off offset:48
	s_waitcnt vmcnt(11)
	v_subrev_nc_u32_e32 v1, s2, v1
	s_waitcnt vmcnt(10)
	v_subrev_nc_u32_e32 v20, s2, v20
	s_waitcnt vmcnt(9)
	v_cvt_f64_f32_e32 v[78:79], v24
	v_cvt_f64_f32_e32 v[86:87], v25
	;; [unrolled: 1-line block ×3, first 2 shown]
	v_lshlrev_b32_e32 v56, 2, v1
	v_lshlrev_b32_e32 v64, 2, v20
	v_cvt_f64_f32_e32 v[96:97], v27
	s_waitcnt vmcnt(8)
	v_cvt_f64_f32_e32 v[80:81], v28
	v_cvt_f64_f32_e32 v[88:89], v29
	v_ashrrev_i32_e32 v57, 31, v56
	v_ashrrev_i32_e32 v65, 31, v64
	s_waitcnt vmcnt(1)
	v_subrev_nc_u32_e32 v1, s2, v110
	v_cvt_f64_f32_e32 v[82:83], v32
	v_cvt_f64_f32_e32 v[90:91], v33
	v_lshlrev_b64 v[56:57], 3, v[56:57]
	v_lshlrev_b64 v[64:65], 3, v[64:65]
	v_lshlrev_b32_e32 v28, 2, v1
	v_cvt_f64_f32_e32 v[98:99], v30
	v_cvt_f64_f32_e32 v[100:101], v31
	;; [unrolled: 1-line block ×3, first 2 shown]
	v_add_co_u32 v60, vcc_lo, s6, v56
	v_add_co_ci_u32_e64 v61, null, s7, v57, vcc_lo
	v_add_co_u32 v76, vcc_lo, s6, v64
	v_add_co_ci_u32_e64 v77, null, s7, v65, vcc_lo
	s_clause 0x2
	global_load_dwordx4 v[56:59], v[60:61], off
	global_load_dwordx4 v[60:63], v[60:61], off offset:16
	global_load_dwordx4 v[64:67], v[76:77], off
	s_clause 0x1
	global_load_dwordx4 v[68:71], v[17:18], off offset:544
	global_load_dwordx4 v[72:75], v[17:18], off offset:528
	;; [unrolled: 1-line block ×3, first 2 shown]
	v_ashrrev_i32_e32 v29, 31, v28
	v_cvt_f64_f32_e32 v[104:105], v35
	global_load_dwordx4 v[32:35], v[17:18], off offset:560
	v_cvt_f64_f32_e32 v[84:85], v36
	v_cvt_f64_f32_e32 v[92:93], v37
	v_lshlrev_b64 v[28:29], 3, v[28:29]
	s_waitcnt vmcnt(7)
	v_subrev_nc_u32_e32 v1, s2, v111
	v_cvt_f64_f32_e32 v[106:107], v38
	v_cvt_f64_f32_e32 v[108:109], v39
	v_add_co_u32 v76, vcc_lo, s6, v28
	v_add_co_ci_u32_e64 v77, null, s7, v29, vcc_lo
	global_load_dwordx4 v[28:31], v[17:18], off offset:512
	s_waitcnt vmcnt(7)
	v_fma_f64 v[36:37], v[78:79], v[56:57], v[11:12]
	v_fma_f64 v[78:79], v[82:83], v[56:57], v[13:14]
	global_load_dwordx4 v[11:14], v[76:77], off
	v_fma_f64 v[15:16], v[80:81], v[56:57], v[15:16]
	v_fma_f64 v[6:7], v[84:85], v[56:57], v[6:7]
	;; [unrolled: 1-line block ×4, first 2 shown]
	v_lshlrev_b32_e32 v78, 2, v1
	v_fma_f64 v[15:16], v[88:89], v[58:59], v[15:16]
	v_fma_f64 v[6:7], v[92:93], v[58:59], v[6:7]
	global_load_dwordx4 v[56:59], v[76:77], off offset:16
	global_load_dwordx4 v[36:39], v[17:18], off offset:800
	v_ashrrev_i32_e32 v79, 31, v78
	v_lshlrev_b64 v[76:77], 3, v[78:79]
	v_add_co_u32 v92, vcc_lo, s6, v76
	v_add_co_ci_u32_e64 v93, null, s7, v77, vcc_lo
	global_load_dwordx4 v[76:79], v[17:18], off offset:784
	s_waitcnt vmcnt(10)
	v_fma_f64 v[88:89], v[94:95], v[60:61], v[80:81]
	global_load_dwordx4 v[80:83], v[17:18], off offset:768
	v_fma_f64 v[94:95], v[102:103], v[60:61], v[84:85]
	global_load_dwordx4 v[84:87], v[17:18], off offset:816
	v_fma_f64 v[15:16], v[98:99], v[60:61], v[15:16]
	v_fma_f64 v[6:7], v[106:107], v[60:61], v[6:7]
	v_cvt_f64_f32_e32 v[98:99], v40
	v_cvt_f64_f32_e32 v[40:41], v41
	v_cmp_ge_i32_e32 vcc_lo, v19, v22
	v_add_co_u32 v17, s1, 0x400, v17
	v_add_co_ci_u32_e64 v18, null, 0, v18, s1
	s_or_b32 s9, vcc_lo, s9
	v_fma_f64 v[60:61], v[96:97], v[62:63], v[88:89]
	global_load_dwordx4 v[88:91], v[92:93], off
	v_fma_f64 v[96:97], v[104:105], v[62:63], v[94:95]
	global_load_dwordx4 v[92:95], v[92:93], off offset:16
	v_fma_f64 v[15:16], v[100:101], v[62:63], v[15:16]
	v_fma_f64 v[6:7], v[108:109], v[62:63], v[6:7]
	v_cvt_f64_f32_e32 v[62:63], v44
	v_cvt_f64_f32_e32 v[100:101], v48
	;; [unrolled: 1-line block ×4, first 2 shown]
	s_waitcnt vmcnt(13)
	v_fma_f64 v[15:16], v[98:99], v[64:65], v[15:16]
	v_fma_f64 v[60:61], v[62:63], v[64:65], v[60:61]
	v_cvt_f64_f32_e32 v[62:63], v52
	v_fma_f64 v[96:97], v[100:101], v[64:65], v[96:97]
	v_cvt_f64_f32_e32 v[52:53], v53
	;; [unrolled: 2-line block ×3, first 2 shown]
	v_fma_f64 v[44:45], v[44:45], v[66:67], v[60:61]
	v_fma_f64 v[6:7], v[62:63], v[64:65], v[6:7]
	;; [unrolled: 1-line block ×3, first 2 shown]
	v_cvt_f64_f32_e32 v[60:61], v42
	v_cvt_f64_f32_e32 v[62:63], v54
	;; [unrolled: 1-line block ×5, first 2 shown]
	s_waitcnt vmcnt(10)
	v_fma_f64 v[40:41], v[40:41], v[24:25], v[44:45]
	v_fma_f64 v[6:7], v[52:53], v[66:67], v[6:7]
	v_cvt_f64_f32_e32 v[52:53], v50
	v_cvt_f64_f32_e32 v[50:51], v51
	v_fma_f64 v[15:16], v[60:61], v[24:25], v[15:16]
	s_waitcnt vmcnt(9)
	v_cvt_f64_f32_e32 v[60:61], v32
	v_cvt_f64_f32_e32 v[32:33], v33
	v_fma_f64 v[40:41], v[46:47], v[26:27], v[40:41]
	v_fma_f64 v[6:7], v[62:63], v[24:25], v[6:7]
	;; [unrolled: 1-line block ×3, first 2 shown]
	s_waitcnt vmcnt(8)
	v_cvt_f64_f32_e32 v[24:25], v28
	v_cvt_f64_f32_e32 v[48:49], v72
	;; [unrolled: 1-line block ×3, first 2 shown]
	v_fma_f64 v[15:16], v[42:43], v[26:27], v[15:16]
	v_cvt_f64_f32_e32 v[46:47], v70
	v_fma_f64 v[6:7], v[54:55], v[26:27], v[6:7]
	v_fma_f64 v[42:43], v[50:51], v[26:27], v[44:45]
	v_cvt_f64_f32_e32 v[26:27], v29
	v_cvt_f64_f32_e32 v[28:29], v73
	;; [unrolled: 1-line block ×3, first 2 shown]
	s_waitcnt vmcnt(7)
	v_fma_f64 v[24:25], v[24:25], v[11:12], v[40:41]
	v_fma_f64 v[15:16], v[48:49], v[11:12], v[15:16]
	;; [unrolled: 1-line block ×4, first 2 shown]
	v_cvt_f64_f32_e32 v[11:12], v30
	v_cvt_f64_f32_e32 v[42:43], v74
	;; [unrolled: 1-line block ×3, first 2 shown]
	v_fma_f64 v[24:25], v[26:27], v[13:14], v[24:25]
	v_fma_f64 v[15:16], v[28:29], v[13:14], v[15:16]
	;; [unrolled: 1-line block ×4, first 2 shown]
	v_cvt_f64_f32_e32 v[13:14], v31
	v_cvt_f64_f32_e32 v[28:29], v75
	;; [unrolled: 1-line block ×4, first 2 shown]
	s_waitcnt vmcnt(5)
	v_cvt_f64_f32_e32 v[40:41], v36
	s_waitcnt vmcnt(4)
	v_cvt_f64_f32_e32 v[34:35], v76
	v_fma_f64 v[11:12], v[11:12], v[56:57], v[24:25]
	v_fma_f64 v[15:16], v[42:43], v[56:57], v[15:16]
	;; [unrolled: 1-line block ×4, first 2 shown]
	s_waitcnt vmcnt(3)
	v_cvt_f64_f32_e32 v[26:27], v80
	s_waitcnt vmcnt(2)
	v_cvt_f64_f32_e32 v[42:43], v84
	v_fma_f64 v[11:12], v[13:14], v[58:59], v[11:12]
	v_fma_f64 v[13:14], v[28:29], v[58:59], v[15:16]
	;; [unrolled: 1-line block ×4, first 2 shown]
	v_cvt_f64_f32_e32 v[24:25], v81
	v_cvt_f64_f32_e32 v[28:29], v77
	;; [unrolled: 1-line block ×5, first 2 shown]
	s_waitcnt vmcnt(1)
	v_fma_f64 v[11:12], v[26:27], v[88:89], v[11:12]
	v_fma_f64 v[13:14], v[34:35], v[88:89], v[13:14]
	;; [unrolled: 1-line block ×4, first 2 shown]
	v_cvt_f64_f32_e32 v[26:27], v82
	v_cvt_f64_f32_e32 v[34:35], v78
	;; [unrolled: 1-line block ×3, first 2 shown]
	v_fma_f64 v[11:12], v[24:25], v[90:91], v[11:12]
	v_fma_f64 v[13:14], v[28:29], v[90:91], v[13:14]
	v_fma_f64 v[15:16], v[30:31], v[90:91], v[15:16]
	v_fma_f64 v[6:7], v[32:33], v[90:91], v[6:7]
	v_cvt_f64_f32_e32 v[24:25], v83
	v_cvt_f64_f32_e32 v[28:29], v79
	;; [unrolled: 1-line block ×4, first 2 shown]
	s_waitcnt vmcnt(0)
	v_fma_f64 v[11:12], v[26:27], v[92:93], v[11:12]
	v_fma_f64 v[13:14], v[34:35], v[92:93], v[13:14]
	v_fma_f64 v[26:27], v[36:37], v[92:93], v[15:16]
	v_fma_f64 v[6:7], v[40:41], v[92:93], v[6:7]
	v_fma_f64 v[11:12], v[24:25], v[94:95], v[11:12]
	v_fma_f64 v[15:16], v[28:29], v[94:95], v[13:14]
	v_fma_f64 v[13:14], v[30:31], v[94:95], v[26:27]
	v_fma_f64 v[6:7], v[32:33], v[94:95], v[6:7]
	s_andn2_b32 exec_lo, exec_lo, s9
	s_cbranch_execnz .LBB150_21
; %bb.22:
	s_or_b32 exec_lo, exec_lo, s9
.LBB150_23:
	s_or_b32 exec_lo, exec_lo, s8
.LBB150_24:
	s_or_b32 exec_lo, exec_lo, s3
	s_cbranch_execz .LBB150_26
	s_branch .LBB150_37
.LBB150_25:
                                        ; implicit-def: $vgpr6_vgpr7
                                        ; implicit-def: $vgpr13_vgpr14
                                        ; implicit-def: $vgpr15_vgpr16
                                        ; implicit-def: $vgpr11_vgpr12
.LBB150_26:
	v_mov_b32_e32 v6, 0
	v_mov_b32_e32 v13, 0
	;; [unrolled: 1-line block ×8, first 2 shown]
	s_and_saveexec_b32 s1, s0
	s_cbranch_execz .LBB150_36
; %bb.27:
	v_add_nc_u32_e32 v1, v23, v21
	v_not_b32_e32 v6, v23
	v_mov_b32_e32 v11, 0
	v_mov_b32_e32 v15, 0
	v_mov_b32_e32 v13, 0
	v_subrev_nc_u32_e32 v1, s2, v1
	v_mov_b32_e32 v12, 0
	v_mov_b32_e32 v16, 0
	;; [unrolled: 1-line block ×3, first 2 shown]
	s_mov_b32 s0, exec_lo
	v_add_nc_u32_e32 v1, 4, v1
	v_max_i32_e32 v1, v1, v22
	v_add3_u32 v1, s2, v1, v6
	v_mov_b32_e32 v6, 0
	v_mov_b32_e32 v7, 0
	v_sub_nc_u32_e32 v17, v1, v21
	v_and_b32_e32 v1, 12, v17
	v_cmpx_ne_u32_e32 12, v1
	s_cbranch_execz .LBB150_31
; %bb.28:
	v_lshrrev_b32_e32 v1, 2, v17
	v_mov_b32_e32 v6, 0
	v_mov_b32_e32 v13, 0
	;; [unrolled: 1-line block ×4, first 2 shown]
	v_add_nc_u32_e32 v1, 1, v1
	v_mov_b32_e32 v7, 0
	v_mov_b32_e32 v14, 0
	;; [unrolled: 1-line block ×4, first 2 shown]
	v_and_b32_e32 v1, 3, v1
	s_mov_b32 s3, 0
	v_sub_nc_u32_e32 v18, 0, v1
.LBB150_29:                             ; =>This Inner Loop Header: Depth=1
	v_ashrrev_i32_e32 v1, 31, v0
	v_add_co_u32 v18, s8, v18, 1
	s_or_b32 s3, s8, s3
	v_lshlrev_b64 v[19:20], 2, v[0:1]
	v_add_nc_u32_e32 v0, 4, v0
	v_add_co_u32 v19, vcc_lo, s12, v19
	v_add_co_ci_u32_e64 v20, null, s13, v20, vcc_lo
	global_load_dword v1, v[19:20], off
	s_clause 0x1
	global_load_dwordx4 v[23:26], v[4:5], off offset:16
	global_load_dwordx4 v[27:30], v[4:5], off
	s_waitcnt vmcnt(2)
	v_subrev_nc_u32_e32 v1, s2, v1
	s_waitcnt vmcnt(1)
	v_cvt_f64_f32_e32 v[49:50], v23
	s_waitcnt vmcnt(0)
	v_cvt_f64_f32_e32 v[47:48], v29
	v_cvt_f64_f32_e32 v[29:30], v30
	;; [unrolled: 1-line block ×3, first 2 shown]
	v_lshlrev_b32_e32 v19, 2, v1
	v_cvt_f64_f32_e32 v[51:52], v25
	v_cvt_f64_f32_e32 v[25:26], v26
	v_ashrrev_i32_e32 v20, 31, v19
	v_lshlrev_b64 v[19:20], 3, v[19:20]
	v_add_co_u32 v19, vcc_lo, s6, v19
	v_add_co_ci_u32_e64 v20, null, s7, v20, vcc_lo
	s_clause 0x1
	global_load_dwordx4 v[31:34], v[19:20], off
	global_load_dwordx4 v[35:38], v[19:20], off offset:16
	s_clause 0x1
	global_load_dwordx4 v[39:42], v[4:5], off offset:32
	global_load_dwordx4 v[43:46], v[4:5], off offset:48
	v_cvt_f64_f32_e32 v[19:20], v27
	v_cvt_f64_f32_e32 v[27:28], v28
	v_add_co_u32 v4, vcc_lo, 0x100, v4
	v_add_co_ci_u32_e64 v5, null, 0, v5, vcc_lo
	s_waitcnt vmcnt(3)
	v_fma_f64 v[11:12], v[19:20], v[31:32], v[11:12]
	v_fma_f64 v[15:16], v[27:28], v[31:32], v[15:16]
	;; [unrolled: 1-line block ×4, first 2 shown]
	s_waitcnt vmcnt(1)
	v_cvt_f64_f32_e32 v[19:20], v39
	v_cvt_f64_f32_e32 v[27:28], v40
	;; [unrolled: 1-line block ×4, first 2 shown]
	s_waitcnt vmcnt(0)
	v_cvt_f64_f32_e32 v[39:40], v46
	v_fma_f64 v[11:12], v[49:50], v[33:34], v[11:12]
	v_fma_f64 v[15:16], v[23:24], v[33:34], v[15:16]
	;; [unrolled: 1-line block ×4, first 2 shown]
	v_cvt_f64_f32_e32 v[23:24], v43
	v_cvt_f64_f32_e32 v[25:26], v44
	;; [unrolled: 1-line block ×3, first 2 shown]
	v_fma_f64 v[11:12], v[19:20], v[35:36], v[11:12]
	v_fma_f64 v[15:16], v[27:28], v[35:36], v[15:16]
	;; [unrolled: 1-line block ×8, first 2 shown]
	s_andn2_b32 exec_lo, exec_lo, s3
	s_cbranch_execnz .LBB150_29
; %bb.30:
	s_or_b32 exec_lo, exec_lo, s3
.LBB150_31:
	s_or_b32 exec_lo, exec_lo, s0
	s_mov_b32 s3, exec_lo
	v_cmpx_lt_u32_e32 11, v17
	s_cbranch_execz .LBB150_35
; %bb.32:
	s_mov_b32 s8, 0
.LBB150_33:                             ; =>This Inner Loop Header: Depth=1
	s_clause 0x6
	global_load_dwordx4 v[17:20], v[4:5], off
	global_load_dwordx4 v[23:26], v[4:5], off offset:16
	global_load_dwordx4 v[27:30], v[4:5], off offset:32
	;; [unrolled: 1-line block ×6, first 2 shown]
	v_ashrrev_i32_e32 v1, 31, v0
	global_load_dwordx4 v[47:50], v[4:5], off offset:304
	v_lshlrev_b64 v[51:52], 2, v[0:1]
	v_add_nc_u32_e32 v0, 16, v0
	v_add_co_u32 v51, vcc_lo, s12, v51
	v_add_co_ci_u32_e64 v52, null, s13, v52, vcc_lo
	s_waitcnt vmcnt(7)
	v_cvt_f64_f32_e32 v[57:58], v19
	v_cvt_f64_f32_e32 v[59:60], v20
	s_clause 0x3
	global_load_dword v1, v[51:52], off
	global_load_dword v19, v[51:52], off offset:16
	global_load_dword v20, v[51:52], off offset:32
	;; [unrolled: 1-line block ×3, first 2 shown]
	v_cvt_f64_f32_e32 v[53:54], v17
	v_cvt_f64_f32_e32 v[55:56], v18
	s_waitcnt vmcnt(10)
	v_cvt_f64_f32_e32 v[61:62], v23
	v_cvt_f64_f32_e32 v[63:64], v24
	s_waitcnt vmcnt(9)
	v_cvt_f64_f32_e32 v[69:70], v27
	v_cvt_f64_f32_e32 v[71:72], v28
	;; [unrolled: 1-line block ×4, first 2 shown]
	s_waitcnt vmcnt(8)
	v_cvt_f64_f32_e32 v[77:78], v31
	v_cvt_f64_f32_e32 v[79:80], v32
	s_waitcnt vmcnt(7)
	v_cvt_f64_f32_e32 v[85:86], v35
	v_cvt_f64_f32_e32 v[87:88], v36
	;; [unrolled: 1-line block ×8, first 2 shown]
	s_waitcnt vmcnt(6)
	v_cvt_f64_f32_e32 v[93:94], v39
	v_cvt_f64_f32_e32 v[95:96], v40
	s_waitcnt vmcnt(5)
	v_cvt_f64_f32_e32 v[101:102], v43
	v_cvt_f64_f32_e32 v[103:104], v44
	;; [unrolled: 1-line block ×6, first 2 shown]
	s_waitcnt vmcnt(3)
	v_subrev_nc_u32_e32 v1, s2, v1
	v_lshlrev_b32_e32 v17, 2, v1
	s_waitcnt vmcnt(2)
	v_subrev_nc_u32_e32 v1, s2, v19
	v_ashrrev_i32_e32 v18, 31, v17
	v_lshlrev_b64 v[17:18], 3, v[17:18]
	v_add_co_u32 v23, vcc_lo, s6, v17
	v_lshlrev_b32_e32 v17, 2, v1
	v_add_co_ci_u32_e64 v24, null, s7, v18, vcc_lo
	s_waitcnt vmcnt(1)
	v_subrev_nc_u32_e32 v1, s2, v20
	v_ashrrev_i32_e32 v18, 31, v17
	v_lshlrev_b64 v[17:18], 3, v[17:18]
	v_add_co_u32 v27, vcc_lo, s6, v17
	v_lshlrev_b32_e32 v17, 2, v1
	v_add_co_ci_u32_e64 v28, null, s7, v18, vcc_lo
	s_waitcnt vmcnt(0)
	v_subrev_nc_u32_e32 v1, s2, v109
	v_ashrrev_i32_e32 v18, 31, v17
	v_lshlrev_b64 v[17:18], 3, v[17:18]
	v_add_co_u32 v51, vcc_lo, s6, v17
	v_add_co_ci_u32_e64 v52, null, s7, v18, vcc_lo
	s_clause 0x1
	global_load_dwordx4 v[17:20], v[23:24], off
	global_load_dwordx4 v[23:26], v[23:24], off offset:16
	s_waitcnt vmcnt(1)
	v_fma_f64 v[11:12], v[53:54], v[17:18], v[11:12]
	v_fma_f64 v[13:14], v[57:58], v[17:18], v[13:14]
	;; [unrolled: 1-line block ×4, first 2 shown]
	v_cvt_f64_f32_e32 v[59:60], v47
	v_fma_f64 v[31:32], v[61:62], v[19:20], v[11:12]
	v_fma_f64 v[35:36], v[65:66], v[19:20], v[13:14]
	global_load_dwordx4 v[11:14], v[27:28], off
	v_fma_f64 v[33:34], v[63:64], v[19:20], v[15:16]
	global_load_dwordx4 v[15:18], v[27:28], off offset:16
	global_load_dwordx4 v[27:30], v[4:5], off offset:512
	v_fma_f64 v[6:7], v[67:68], v[19:20], v[6:7]
	v_cvt_f64_f32_e32 v[63:64], v48
	v_cvt_f64_f32_e32 v[65:66], v49
	;; [unrolled: 1-line block ×3, first 2 shown]
	global_load_dwordx4 v[47:50], v[51:52], off offset:16
	s_waitcnt vmcnt(4)
	v_fma_f64 v[19:20], v[69:70], v[23:24], v[31:32]
	v_fma_f64 v[43:44], v[73:74], v[23:24], v[35:36]
	global_load_dwordx4 v[35:38], v[51:52], off
	v_fma_f64 v[39:40], v[71:72], v[23:24], v[33:34]
	global_load_dwordx4 v[31:34], v[4:5], off offset:528
	v_fma_f64 v[6:7], v[75:76], v[23:24], v[6:7]
	v_fma_f64 v[19:20], v[77:78], v[25:26], v[19:20]
	;; [unrolled: 1-line block ×4, first 2 shown]
	global_load_dwordx4 v[39:42], v[4:5], off offset:544
	v_fma_f64 v[6:7], v[83:84], v[25:26], v[6:7]
	global_load_dwordx4 v[23:26], v[4:5], off offset:560
	s_waitcnt vmcnt(7)
	v_fma_f64 v[19:20], v[85:86], v[11:12], v[19:20]
	v_fma_f64 v[55:56], v[87:88], v[11:12], v[45:46]
	;; [unrolled: 1-line block ×4, first 2 shown]
	v_lshlrev_b32_e32 v11, 2, v1
	s_clause 0x1
	global_load_dwordx4 v[43:46], v[4:5], off offset:768
	global_load_dwordx4 v[51:54], v[4:5], off offset:784
	s_waitcnt vmcnt(7)
	v_cvt_f64_f32_e32 v[69:70], v27
	v_cvt_f64_f32_e32 v[71:72], v28
	v_ashrrev_i32_e32 v12, 31, v11
	v_cvt_f64_f32_e32 v[73:74], v29
	v_cvt_f64_f32_e32 v[75:76], v30
	global_load_dwordx4 v[27:30], v[4:5], off offset:800
	v_lshlrev_b64 v[11:12], 3, v[11:12]
	v_add_co_u32 v61, vcc_lo, s6, v11
	v_add_co_ci_u32_e64 v62, null, s7, v12, vcc_lo
	v_fma_f64 v[19:20], v[93:94], v[13:14], v[19:20]
	v_fma_f64 v[55:56], v[95:96], v[13:14], v[55:56]
	;; [unrolled: 1-line block ×4, first 2 shown]
	global_load_dwordx4 v[11:14], v[61:62], off
	v_cmp_ge_i32_e32 vcc_lo, v0, v22
	s_or_b32 s8, vcc_lo, s8
	v_fma_f64 v[19:20], v[101:102], v[15:16], v[19:20]
	v_fma_f64 v[77:78], v[103:104], v[15:16], v[55:56]
	;; [unrolled: 1-line block ×4, first 2 shown]
	global_load_dwordx4 v[55:58], v[4:5], off offset:816
	v_add_co_u32 v4, s0, 0x400, v4
	v_add_co_ci_u32_e64 v5, null, 0, v5, s0
	v_fma_f64 v[15:16], v[59:60], v[17:18], v[19:20]
	global_load_dwordx4 v[59:62], v[61:62], off offset:16
	v_fma_f64 v[19:20], v[63:64], v[17:18], v[77:78]
	v_fma_f64 v[63:64], v[65:66], v[17:18], v[79:80]
	;; [unrolled: 1-line block ×3, first 2 shown]
	s_waitcnt vmcnt(8)
	v_cvt_f64_f32_e32 v[17:18], v31
	v_cvt_f64_f32_e32 v[31:32], v32
	;; [unrolled: 1-line block ×4, first 2 shown]
	s_waitcnt vmcnt(7)
	v_cvt_f64_f32_e32 v[67:68], v41
	v_cvt_f64_f32_e32 v[41:42], v42
	v_fma_f64 v[15:16], v[69:70], v[35:36], v[15:16]
	v_fma_f64 v[19:20], v[71:72], v[35:36], v[19:20]
	;; [unrolled: 1-line block ×4, first 2 shown]
	v_cvt_f64_f32_e32 v[35:36], v39
	v_cvt_f64_f32_e32 v[39:40], v40
	v_fma_f64 v[15:16], v[17:18], v[37:38], v[15:16]
	v_fma_f64 v[17:18], v[31:32], v[37:38], v[19:20]
	;; [unrolled: 1-line block ×4, first 2 shown]
	s_waitcnt vmcnt(6)
	v_cvt_f64_f32_e32 v[31:32], v23
	v_cvt_f64_f32_e32 v[23:24], v24
	;; [unrolled: 1-line block ×4, first 2 shown]
	v_fma_f64 v[15:16], v[35:36], v[47:48], v[15:16]
	v_fma_f64 v[17:18], v[39:40], v[47:48], v[17:18]
	;; [unrolled: 1-line block ×8, first 2 shown]
	s_waitcnt vmcnt(5)
	v_cvt_f64_f32_e32 v[35:36], v43
	v_cvt_f64_f32_e32 v[37:38], v44
	;; [unrolled: 1-line block ×4, first 2 shown]
	s_waitcnt vmcnt(4)
	v_cvt_f64_f32_e32 v[23:24], v51
	v_cvt_f64_f32_e32 v[25:26], v52
	;; [unrolled: 1-line block ×4, first 2 shown]
	s_waitcnt vmcnt(2)
	v_fma_f64 v[15:16], v[35:36], v[11:12], v[15:16]
	v_fma_f64 v[17:18], v[37:38], v[11:12], v[17:18]
	;; [unrolled: 1-line block ×4, first 2 shown]
	v_cvt_f64_f32_e32 v[11:12], v27
	v_cvt_f64_f32_e32 v[27:28], v28
	;; [unrolled: 1-line block ×4, first 2 shown]
	v_fma_f64 v[15:16], v[23:24], v[13:14], v[15:16]
	v_fma_f64 v[17:18], v[25:26], v[13:14], v[17:18]
	;; [unrolled: 1-line block ×4, first 2 shown]
	s_waitcnt vmcnt(1)
	v_cvt_f64_f32_e32 v[13:14], v55
	v_cvt_f64_f32_e32 v[23:24], v56
	;; [unrolled: 1-line block ×4, first 2 shown]
	s_waitcnt vmcnt(0)
	v_fma_f64 v[11:12], v[11:12], v[59:60], v[15:16]
	v_fma_f64 v[15:16], v[27:28], v[59:60], v[17:18]
	;; [unrolled: 1-line block ×8, first 2 shown]
	s_andn2_b32 exec_lo, exec_lo, s8
	s_cbranch_execnz .LBB150_33
; %bb.34:
	s_or_b32 exec_lo, exec_lo, s8
.LBB150_35:
	s_or_b32 exec_lo, exec_lo, s3
.LBB150_36:
	s_or_b32 exec_lo, exec_lo, s1
.LBB150_37:
	v_mbcnt_lo_u32_b32 v24, -1, 0
	v_xor_b32_e32 v0, 2, v24
	v_cmp_gt_i32_e32 vcc_lo, 32, v0
	v_cndmask_b32_e32 v0, v24, v0, vcc_lo
	v_lshlrev_b32_e32 v17, 2, v0
	ds_bpermute_b32 v0, v17, v11
	ds_bpermute_b32 v1, v17, v12
	;; [unrolled: 1-line block ×8, first 2 shown]
	s_waitcnt lgkmcnt(6)
	v_add_f64 v[17:18], v[11:12], v[0:1]
	s_waitcnt lgkmcnt(4)
	v_add_f64 v[11:12], v[15:16], v[4:5]
	;; [unrolled: 2-line block ×4, first 2 shown]
	v_xor_b32_e32 v6, 1, v24
	v_cmp_gt_i32_e32 vcc_lo, 32, v6
	v_cndmask_b32_e32 v6, v24, v6, vcc_lo
	v_cmp_eq_u32_e32 vcc_lo, 3, v21
	v_lshlrev_b32_e32 v7, 2, v6
	ds_bpermute_b32 v19, v7, v17
	ds_bpermute_b32 v20, v7, v18
	;; [unrolled: 1-line block ×8, first 2 shown]
	s_and_b32 exec_lo, exec_lo, vcc_lo
	s_cbranch_execz .LBB150_10
; %bb.38:
	s_waitcnt lgkmcnt(6)
	v_add_f64 v[17:18], v[17:18], v[19:20]
	s_waitcnt lgkmcnt(4)
	v_add_f64 v[11:12], v[11:12], v[15:16]
	;; [unrolled: 2-line block ×4, first 2 shown]
	s_load_dwordx2 s[0:1], s[4:5], 0x50
	v_lshlrev_b32_e32 v10, 2, v10
	s_mov_b32 s2, exec_lo
	v_mul_f64 v[4:5], v[2:3], v[17:18]
	v_mul_f64 v[6:7], v[2:3], v[11:12]
	;; [unrolled: 1-line block ×4, first 2 shown]
	v_cmpx_eq_f64_e32 0, v[8:9]
	s_xor_b32 s2, exec_lo, s2
	s_cbranch_execz .LBB150_40
; %bb.39:
	v_ashrrev_i32_e32 v11, 31, v10
	v_lshlrev_b64 v[8:9], 3, v[10:11]
                                        ; implicit-def: $vgpr10
	s_waitcnt lgkmcnt(0)
	v_add_co_u32 v8, vcc_lo, s0, v8
	v_add_co_ci_u32_e64 v9, null, s1, v9, vcc_lo
	global_store_dwordx4 v[8:9], v[4:7], off
	global_store_dwordx4 v[8:9], v[0:3], off offset:16
                                        ; implicit-def: $vgpr8_vgpr9
                                        ; implicit-def: $vgpr4_vgpr5
                                        ; implicit-def: $vgpr0_vgpr1
.LBB150_40:
	s_andn2_saveexec_b32 s2, s2
	s_cbranch_execz .LBB150_10
; %bb.41:
	v_ashrrev_i32_e32 v11, 31, v10
	v_lshlrev_b64 v[10:11], 3, v[10:11]
	s_waitcnt lgkmcnt(0)
	v_add_co_u32 v18, vcc_lo, s0, v10
	v_add_co_ci_u32_e64 v19, null, s1, v11, vcc_lo
	s_clause 0x1
	global_load_dwordx4 v[10:13], v[18:19], off
	global_load_dwordx4 v[14:17], v[18:19], off offset:16
	s_waitcnt vmcnt(1)
	v_fma_f64 v[4:5], v[8:9], v[10:11], v[4:5]
	v_fma_f64 v[6:7], v[8:9], v[12:13], v[6:7]
	s_waitcnt vmcnt(0)
	v_fma_f64 v[0:1], v[8:9], v[14:15], v[0:1]
	v_fma_f64 v[2:3], v[8:9], v[16:17], v[2:3]
	global_store_dwordx4 v[18:19], v[4:7], off
	global_store_dwordx4 v[18:19], v[0:3], off offset:16
	s_endpgm
	.section	.rodata,"a",@progbits
	.p2align	6, 0x0
	.amdhsa_kernel _ZN9rocsparseL18bsrxmvn_4x4_kernelILj128ELj4EdiifddEEvT3_20rocsparse_direction_NS_24const_host_device_scalarIT1_EES1_PKS1_PKT2_SA_S7_PKT4_PKT5_S5_PT6_21rocsparse_index_base_b
		.amdhsa_group_segment_fixed_size 0
		.amdhsa_private_segment_fixed_size 0
		.amdhsa_kernarg_size 96
		.amdhsa_user_sgpr_count 6
		.amdhsa_user_sgpr_private_segment_buffer 1
		.amdhsa_user_sgpr_dispatch_ptr 0
		.amdhsa_user_sgpr_queue_ptr 0
		.amdhsa_user_sgpr_kernarg_segment_ptr 1
		.amdhsa_user_sgpr_dispatch_id 0
		.amdhsa_user_sgpr_flat_scratch_init 0
		.amdhsa_user_sgpr_private_segment_size 0
		.amdhsa_wavefront_size32 1
		.amdhsa_uses_dynamic_stack 0
		.amdhsa_system_sgpr_private_segment_wavefront_offset 0
		.amdhsa_system_sgpr_workgroup_id_x 1
		.amdhsa_system_sgpr_workgroup_id_y 0
		.amdhsa_system_sgpr_workgroup_id_z 0
		.amdhsa_system_sgpr_workgroup_info 0
		.amdhsa_system_vgpr_workitem_id 0
		.amdhsa_next_free_vgpr 112
		.amdhsa_next_free_sgpr 16
		.amdhsa_reserve_vcc 1
		.amdhsa_reserve_flat_scratch 0
		.amdhsa_float_round_mode_32 0
		.amdhsa_float_round_mode_16_64 0
		.amdhsa_float_denorm_mode_32 3
		.amdhsa_float_denorm_mode_16_64 3
		.amdhsa_dx10_clamp 1
		.amdhsa_ieee_mode 1
		.amdhsa_fp16_overflow 0
		.amdhsa_workgroup_processor_mode 1
		.amdhsa_memory_ordered 1
		.amdhsa_forward_progress 1
		.amdhsa_shared_vgpr_count 0
		.amdhsa_exception_fp_ieee_invalid_op 0
		.amdhsa_exception_fp_denorm_src 0
		.amdhsa_exception_fp_ieee_div_zero 0
		.amdhsa_exception_fp_ieee_overflow 0
		.amdhsa_exception_fp_ieee_underflow 0
		.amdhsa_exception_fp_ieee_inexact 0
		.amdhsa_exception_int_div_zero 0
	.end_amdhsa_kernel
	.section	.text._ZN9rocsparseL18bsrxmvn_4x4_kernelILj128ELj4EdiifddEEvT3_20rocsparse_direction_NS_24const_host_device_scalarIT1_EES1_PKS1_PKT2_SA_S7_PKT4_PKT5_S5_PT6_21rocsparse_index_base_b,"axG",@progbits,_ZN9rocsparseL18bsrxmvn_4x4_kernelILj128ELj4EdiifddEEvT3_20rocsparse_direction_NS_24const_host_device_scalarIT1_EES1_PKS1_PKT2_SA_S7_PKT4_PKT5_S5_PT6_21rocsparse_index_base_b,comdat
.Lfunc_end150:
	.size	_ZN9rocsparseL18bsrxmvn_4x4_kernelILj128ELj4EdiifddEEvT3_20rocsparse_direction_NS_24const_host_device_scalarIT1_EES1_PKS1_PKT2_SA_S7_PKT4_PKT5_S5_PT6_21rocsparse_index_base_b, .Lfunc_end150-_ZN9rocsparseL18bsrxmvn_4x4_kernelILj128ELj4EdiifddEEvT3_20rocsparse_direction_NS_24const_host_device_scalarIT1_EES1_PKS1_PKT2_SA_S7_PKT4_PKT5_S5_PT6_21rocsparse_index_base_b
                                        ; -- End function
	.set _ZN9rocsparseL18bsrxmvn_4x4_kernelILj128ELj4EdiifddEEvT3_20rocsparse_direction_NS_24const_host_device_scalarIT1_EES1_PKS1_PKT2_SA_S7_PKT4_PKT5_S5_PT6_21rocsparse_index_base_b.num_vgpr, 112
	.set _ZN9rocsparseL18bsrxmvn_4x4_kernelILj128ELj4EdiifddEEvT3_20rocsparse_direction_NS_24const_host_device_scalarIT1_EES1_PKS1_PKT2_SA_S7_PKT4_PKT5_S5_PT6_21rocsparse_index_base_b.num_agpr, 0
	.set _ZN9rocsparseL18bsrxmvn_4x4_kernelILj128ELj4EdiifddEEvT3_20rocsparse_direction_NS_24const_host_device_scalarIT1_EES1_PKS1_PKT2_SA_S7_PKT4_PKT5_S5_PT6_21rocsparse_index_base_b.numbered_sgpr, 16
	.set _ZN9rocsparseL18bsrxmvn_4x4_kernelILj128ELj4EdiifddEEvT3_20rocsparse_direction_NS_24const_host_device_scalarIT1_EES1_PKS1_PKT2_SA_S7_PKT4_PKT5_S5_PT6_21rocsparse_index_base_b.num_named_barrier, 0
	.set _ZN9rocsparseL18bsrxmvn_4x4_kernelILj128ELj4EdiifddEEvT3_20rocsparse_direction_NS_24const_host_device_scalarIT1_EES1_PKS1_PKT2_SA_S7_PKT4_PKT5_S5_PT6_21rocsparse_index_base_b.private_seg_size, 0
	.set _ZN9rocsparseL18bsrxmvn_4x4_kernelILj128ELj4EdiifddEEvT3_20rocsparse_direction_NS_24const_host_device_scalarIT1_EES1_PKS1_PKT2_SA_S7_PKT4_PKT5_S5_PT6_21rocsparse_index_base_b.uses_vcc, 1
	.set _ZN9rocsparseL18bsrxmvn_4x4_kernelILj128ELj4EdiifddEEvT3_20rocsparse_direction_NS_24const_host_device_scalarIT1_EES1_PKS1_PKT2_SA_S7_PKT4_PKT5_S5_PT6_21rocsparse_index_base_b.uses_flat_scratch, 0
	.set _ZN9rocsparseL18bsrxmvn_4x4_kernelILj128ELj4EdiifddEEvT3_20rocsparse_direction_NS_24const_host_device_scalarIT1_EES1_PKS1_PKT2_SA_S7_PKT4_PKT5_S5_PT6_21rocsparse_index_base_b.has_dyn_sized_stack, 0
	.set _ZN9rocsparseL18bsrxmvn_4x4_kernelILj128ELj4EdiifddEEvT3_20rocsparse_direction_NS_24const_host_device_scalarIT1_EES1_PKS1_PKT2_SA_S7_PKT4_PKT5_S5_PT6_21rocsparse_index_base_b.has_recursion, 0
	.set _ZN9rocsparseL18bsrxmvn_4x4_kernelILj128ELj4EdiifddEEvT3_20rocsparse_direction_NS_24const_host_device_scalarIT1_EES1_PKS1_PKT2_SA_S7_PKT4_PKT5_S5_PT6_21rocsparse_index_base_b.has_indirect_call, 0
	.section	.AMDGPU.csdata,"",@progbits
; Kernel info:
; codeLenInByte = 4852
; TotalNumSgprs: 18
; NumVgprs: 112
; ScratchSize: 0
; MemoryBound: 0
; FloatMode: 240
; IeeeMode: 1
; LDSByteSize: 0 bytes/workgroup (compile time only)
; SGPRBlocks: 0
; VGPRBlocks: 13
; NumSGPRsForWavesPerEU: 18
; NumVGPRsForWavesPerEU: 112
; Occupancy: 9
; WaveLimiterHint : 1
; COMPUTE_PGM_RSRC2:SCRATCH_EN: 0
; COMPUTE_PGM_RSRC2:USER_SGPR: 6
; COMPUTE_PGM_RSRC2:TRAP_HANDLER: 0
; COMPUTE_PGM_RSRC2:TGID_X_EN: 1
; COMPUTE_PGM_RSRC2:TGID_Y_EN: 0
; COMPUTE_PGM_RSRC2:TGID_Z_EN: 0
; COMPUTE_PGM_RSRC2:TIDIG_COMP_CNT: 0
	.section	.text._ZN9rocsparseL18bsrxmvn_4x4_kernelILj128ELj8EdiifddEEvT3_20rocsparse_direction_NS_24const_host_device_scalarIT1_EES1_PKS1_PKT2_SA_S7_PKT4_PKT5_S5_PT6_21rocsparse_index_base_b,"axG",@progbits,_ZN9rocsparseL18bsrxmvn_4x4_kernelILj128ELj8EdiifddEEvT3_20rocsparse_direction_NS_24const_host_device_scalarIT1_EES1_PKS1_PKT2_SA_S7_PKT4_PKT5_S5_PT6_21rocsparse_index_base_b,comdat
	.globl	_ZN9rocsparseL18bsrxmvn_4x4_kernelILj128ELj8EdiifddEEvT3_20rocsparse_direction_NS_24const_host_device_scalarIT1_EES1_PKS1_PKT2_SA_S7_PKT4_PKT5_S5_PT6_21rocsparse_index_base_b ; -- Begin function _ZN9rocsparseL18bsrxmvn_4x4_kernelILj128ELj8EdiifddEEvT3_20rocsparse_direction_NS_24const_host_device_scalarIT1_EES1_PKS1_PKT2_SA_S7_PKT4_PKT5_S5_PT6_21rocsparse_index_base_b
	.p2align	8
	.type	_ZN9rocsparseL18bsrxmvn_4x4_kernelILj128ELj8EdiifddEEvT3_20rocsparse_direction_NS_24const_host_device_scalarIT1_EES1_PKS1_PKT2_SA_S7_PKT4_PKT5_S5_PT6_21rocsparse_index_base_b,@function
_ZN9rocsparseL18bsrxmvn_4x4_kernelILj128ELj8EdiifddEEvT3_20rocsparse_direction_NS_24const_host_device_scalarIT1_EES1_PKS1_PKT2_SA_S7_PKT4_PKT5_S5_PT6_21rocsparse_index_base_b: ; @_ZN9rocsparseL18bsrxmvn_4x4_kernelILj128ELj8EdiifddEEvT3_20rocsparse_direction_NS_24const_host_device_scalarIT1_EES1_PKS1_PKT2_SA_S7_PKT4_PKT5_S5_PT6_21rocsparse_index_base_b
; %bb.0:
	s_clause 0x2
	s_load_dwordx2 s[2:3], s[4:5], 0x58
	s_load_dwordx2 s[8:9], s[4:5], 0x8
	;; [unrolled: 1-line block ×3, first 2 shown]
	s_waitcnt lgkmcnt(0)
	s_bitcmp1_b32 s3, 0
	v_mov_b32_e32 v2, s8
	v_mov_b32_e32 v3, s9
	s_cselect_b32 s3, -1, 0
	s_and_b32 vcc_lo, exec_lo, s3
	s_xor_b32 s3, s3, -1
	s_cbranch_vccnz .LBB151_2
; %bb.1:
	v_mov_b32_e32 v1, s8
	v_mov_b32_e32 v2, s9
	flat_load_dwordx2 v[2:3], v[1:2]
.LBB151_2:
	v_mov_b32_e32 v9, s1
	v_mov_b32_e32 v8, s0
	s_andn2_b32 vcc_lo, exec_lo, s3
	s_cbranch_vccnz .LBB151_4
; %bb.3:
	v_mov_b32_e32 v5, s1
	v_mov_b32_e32 v4, s0
	flat_load_dwordx2 v[8:9], v[4:5]
.LBB151_4:
	s_waitcnt vmcnt(0) lgkmcnt(0)
	v_cmp_neq_f64_e32 vcc_lo, 0, v[2:3]
	v_cmp_neq_f64_e64 s0, 1.0, v[8:9]
	s_or_b32 s0, vcc_lo, s0
	s_and_saveexec_b32 s1, s0
	s_cbranch_execz .LBB151_10
; %bb.5:
	s_clause 0x1
	s_load_dwordx2 s[8:9], s[4:5], 0x18
	s_load_dwordx2 s[0:1], s[4:5], 0x0
	v_lshrrev_b32_e32 v1, 3, v0
	v_lshl_or_b32 v10, s6, 4, v1
	s_waitcnt lgkmcnt(0)
	s_cmp_lg_u64 s[8:9], 0
	s_cbranch_scc0 .LBB151_11
; %bb.6:
	s_load_dword s3, s[4:5], 0x10
	s_mov_b32 s6, 0
                                        ; implicit-def: $vgpr1
	s_waitcnt lgkmcnt(0)
	v_cmp_gt_i32_e32 vcc_lo, s3, v10
	s_mov_b32 s3, 0
	s_and_saveexec_b32 s7, vcc_lo
	s_xor_b32 s7, exec_lo, s7
	s_cbranch_execz .LBB151_8
; %bb.7:
	v_ashrrev_i32_e32 v11, 31, v10
	s_mov_b32 s3, exec_lo
	v_lshlrev_b64 v[4:5], 2, v[10:11]
	v_add_co_u32 v4, vcc_lo, s8, v4
	v_add_co_ci_u32_e64 v5, null, s9, v5, vcc_lo
	global_load_dword v1, v[4:5], off
	s_waitcnt vmcnt(0)
	v_subrev_nc_u32_e32 v1, s2, v1
.LBB151_8:
	s_or_b32 exec_lo, exec_lo, s7
	s_and_b32 vcc_lo, exec_lo, s6
	s_cbranch_vccz .LBB151_12
.LBB151_9:
	v_cmp_gt_i32_e32 vcc_lo, s0, v10
	s_andn2_b32 s0, s3, exec_lo
	s_and_b32 s3, vcc_lo, exec_lo
	s_or_b32 s3, s0, s3
	s_and_b32 exec_lo, exec_lo, s3
	s_cbranch_execnz .LBB151_13
.LBB151_10:
	s_endpgm
.LBB151_11:
	s_mov_b32 s3, 0
                                        ; implicit-def: $vgpr1
	s_cbranch_execnz .LBB151_9
.LBB151_12:
	v_mov_b32_e32 v10, v1
	s_and_b32 exec_lo, exec_lo, s3
	s_cbranch_execz .LBB151_10
.LBB151_13:
	s_load_dwordx8 s[8:15], s[4:5], 0x20
	v_ashrrev_i32_e32 v11, 31, v10
	v_and_b32_e32 v21, 7, v0
	s_load_dwordx2 s[6:7], s[4:5], 0x40
	v_lshlrev_b64 v[4:5], 2, v[10:11]
	s_waitcnt lgkmcnt(0)
	v_add_co_u32 v6, vcc_lo, s8, v4
	v_add_co_ci_u32_e64 v7, null, s9, v5, vcc_lo
	v_add_co_u32 v1, vcc_lo, s10, v4
	v_add_co_ci_u32_e64 v4, null, s11, v5, vcc_lo
	global_load_dword v23, v[6:7], off
	v_add_co_u32 v6, vcc_lo, v6, 4
	v_add_co_ci_u32_e64 v5, null, 0, v7, vcc_lo
	s_cmp_eq_u64 s[10:11], 0
	s_cselect_b32 vcc_lo, -1, 0
	s_cmp_eq_u32 s1, 1
	v_cndmask_b32_e32 v5, v4, v5, vcc_lo
	v_cndmask_b32_e32 v4, v1, v6, vcc_lo
	global_load_dword v6, v[4:5], off
	s_waitcnt vmcnt(1)
	v_subrev_nc_u32_e32 v0, s2, v23
	v_add_nc_u32_e32 v0, v0, v21
	v_ashrrev_i32_e32 v1, 31, v0
	s_waitcnt vmcnt(0)
	v_subrev_nc_u32_e32 v22, s2, v6
	v_lshlrev_b64 v[4:5], 6, v[0:1]
	v_cmp_lt_i32_e64 s0, v0, v22
	v_add_co_u32 v4, vcc_lo, s14, v4
	v_add_co_ci_u32_e64 v5, null, s15, v5, vcc_lo
	s_cbranch_scc1 .LBB151_25
; %bb.14:
	v_mov_b32_e32 v6, 0
	v_mov_b32_e32 v13, 0
	;; [unrolled: 1-line block ×8, first 2 shown]
	s_and_saveexec_b32 s3, s0
	s_cbranch_execz .LBB151_24
; %bb.15:
	v_add_nc_u32_e32 v1, v23, v21
	v_not_b32_e32 v6, v23
	v_mov_b32_e32 v11, 0
	v_mov_b32_e32 v15, 0
	;; [unrolled: 1-line block ×3, first 2 shown]
	v_subrev_nc_u32_e32 v1, s2, v1
	v_mov_b32_e32 v12, 0
	v_mov_b32_e32 v16, 0
	v_mov_b32_e32 v14, 0
	v_mov_b32_e32 v19, v0
	v_add_nc_u32_e32 v1, 8, v1
	v_max_i32_e32 v1, v1, v22
	v_add3_u32 v1, s2, v1, v6
	v_mov_b32_e32 v6, 0
	v_mov_b32_e32 v7, 0
	v_sub_nc_u32_e32 v1, v1, v21
	v_and_b32_e32 v17, 24, v1
	v_cmp_ne_u32_e32 vcc_lo, 24, v17
	v_mov_b32_e32 v18, v5
	v_mov_b32_e32 v17, v4
	s_and_saveexec_b32 s1, vcc_lo
	s_cbranch_execz .LBB151_19
; %bb.16:
	v_lshrrev_b32_e32 v6, 3, v1
	v_mov_b32_e32 v18, v5
	v_mov_b32_e32 v13, 0
	;; [unrolled: 1-line block ×4, first 2 shown]
	v_add_nc_u32_e32 v11, 1, v6
	v_mov_b32_e32 v6, 0
	v_mov_b32_e32 v7, 0
	;; [unrolled: 1-line block ×4, first 2 shown]
	v_and_b32_e32 v19, 3, v11
	v_mov_b32_e32 v11, 0
	v_mov_b32_e32 v12, 0
	s_mov_b32 s8, 0
	v_sub_nc_u32_e32 v24, 0, v19
	v_mov_b32_e32 v19, v0
.LBB151_17:                             ; =>This Inner Loop Header: Depth=1
	v_ashrrev_i32_e32 v20, 31, v19
	v_add_co_u32 v24, s9, v24, 1
	s_or_b32 s8, s9, s8
	v_lshlrev_b64 v[25:26], 2, v[19:20]
	v_add_nc_u32_e32 v19, 8, v19
	v_add_co_u32 v25, vcc_lo, s12, v25
	v_add_co_ci_u32_e64 v26, null, s13, v26, vcc_lo
	global_load_dword v20, v[25:26], off
	s_clause 0x3
	global_load_dwordx4 v[25:28], v[17:18], off offset:48
	global_load_dwordx4 v[29:32], v[17:18], off offset:32
	global_load_dwordx4 v[33:36], v[17:18], off offset:16
	global_load_dwordx4 v[37:40], v[17:18], off
	s_waitcnt vmcnt(4)
	v_subrev_nc_u32_e32 v20, s2, v20
	s_waitcnt vmcnt(3)
	v_cvt_f64_f32_e32 v[55:56], v25
	s_waitcnt vmcnt(2)
	v_cvt_f64_f32_e32 v[53:54], v29
	;; [unrolled: 2-line block ×4, first 2 shown]
	v_lshlrev_b32_e32 v41, 2, v20
	v_cvt_f64_f32_e32 v[37:38], v38
	v_cvt_f64_f32_e32 v[33:34], v34
	;; [unrolled: 1-line block ×4, first 2 shown]
	v_ashrrev_i32_e32 v42, 31, v41
	v_lshlrev_b64 v[41:42], 3, v[41:42]
	v_add_co_u32 v45, vcc_lo, s6, v41
	v_add_co_ci_u32_e64 v46, null, s7, v42, vcc_lo
	v_add_co_u32 v17, vcc_lo, 0x200, v17
	v_add_co_ci_u32_e64 v18, null, 0, v18, vcc_lo
	s_clause 0x1
	global_load_dwordx4 v[41:44], v[45:46], off
	global_load_dwordx4 v[45:48], v[45:46], off offset:16
	s_waitcnt vmcnt(1)
	v_fma_f64 v[11:12], v[49:50], v[41:42], v[11:12]
	v_fma_f64 v[15:16], v[51:52], v[41:42], v[15:16]
	;; [unrolled: 1-line block ×4, first 2 shown]
	v_cvt_f64_f32_e32 v[41:42], v39
	v_cvt_f64_f32_e32 v[49:50], v35
	;; [unrolled: 1-line block ×6, first 2 shown]
	v_fma_f64 v[11:12], v[37:38], v[43:44], v[11:12]
	v_fma_f64 v[15:16], v[33:34], v[43:44], v[15:16]
	;; [unrolled: 1-line block ×4, first 2 shown]
	v_cvt_f64_f32_e32 v[25:26], v40
	v_cvt_f64_f32_e32 v[29:30], v36
	s_waitcnt vmcnt(0)
	v_fma_f64 v[11:12], v[41:42], v[45:46], v[11:12]
	v_fma_f64 v[15:16], v[49:50], v[45:46], v[15:16]
	;; [unrolled: 1-line block ×8, first 2 shown]
	s_andn2_b32 exec_lo, exec_lo, s8
	s_cbranch_execnz .LBB151_17
; %bb.18:
	s_or_b32 exec_lo, exec_lo, s8
.LBB151_19:
	s_or_b32 exec_lo, exec_lo, s1
	s_mov_b32 s8, exec_lo
	v_cmpx_lt_u32_e32 23, v1
	s_cbranch_execz .LBB151_23
; %bb.20:
	s_mov_b32 s9, 0
.LBB151_21:                             ; =>This Inner Loop Header: Depth=1
	v_ashrrev_i32_e32 v20, 31, v19
	v_lshlrev_b64 v[24:25], 2, v[19:20]
	v_add_nc_u32_e32 v19, 32, v19
	v_add_co_u32 v56, vcc_lo, s12, v24
	v_add_co_ci_u32_e64 v57, null, s13, v25, vcc_lo
	s_clause 0x1
	global_load_dword v1, v[56:57], off
	global_load_dword v20, v[56:57], off offset:32
	s_clause 0x7
	global_load_dwordx4 v[24:27], v[17:18], off
	global_load_dwordx4 v[28:31], v[17:18], off offset:16
	global_load_dwordx4 v[32:35], v[17:18], off offset:32
	;; [unrolled: 1-line block ×7, first 2 shown]
	s_clause 0x1
	global_load_dword v110, v[56:57], off offset:64
	global_load_dword v111, v[56:57], off offset:96
	s_waitcnt vmcnt(11)
	v_subrev_nc_u32_e32 v1, s2, v1
	s_waitcnt vmcnt(10)
	v_subrev_nc_u32_e32 v20, s2, v20
	s_waitcnt vmcnt(9)
	v_cvt_f64_f32_e32 v[78:79], v24
	v_cvt_f64_f32_e32 v[86:87], v25
	;; [unrolled: 1-line block ×3, first 2 shown]
	v_lshlrev_b32_e32 v56, 2, v1
	v_lshlrev_b32_e32 v64, 2, v20
	v_cvt_f64_f32_e32 v[96:97], v27
	s_waitcnt vmcnt(8)
	v_cvt_f64_f32_e32 v[80:81], v28
	v_cvt_f64_f32_e32 v[88:89], v29
	v_ashrrev_i32_e32 v57, 31, v56
	v_ashrrev_i32_e32 v65, 31, v64
	s_waitcnt vmcnt(1)
	v_subrev_nc_u32_e32 v1, s2, v110
	v_cvt_f64_f32_e32 v[82:83], v32
	v_cvt_f64_f32_e32 v[90:91], v33
	v_lshlrev_b64 v[56:57], 3, v[56:57]
	v_lshlrev_b64 v[64:65], 3, v[64:65]
	v_lshlrev_b32_e32 v28, 2, v1
	v_cvt_f64_f32_e32 v[98:99], v30
	v_cvt_f64_f32_e32 v[100:101], v31
	;; [unrolled: 1-line block ×3, first 2 shown]
	v_add_co_u32 v60, vcc_lo, s6, v56
	v_add_co_ci_u32_e64 v61, null, s7, v57, vcc_lo
	v_add_co_u32 v76, vcc_lo, s6, v64
	v_add_co_ci_u32_e64 v77, null, s7, v65, vcc_lo
	s_clause 0x2
	global_load_dwordx4 v[56:59], v[60:61], off
	global_load_dwordx4 v[60:63], v[60:61], off offset:16
	global_load_dwordx4 v[64:67], v[76:77], off
	s_clause 0x1
	global_load_dwordx4 v[68:71], v[17:18], off offset:1056
	global_load_dwordx4 v[72:75], v[17:18], off offset:1040
	;; [unrolled: 1-line block ×3, first 2 shown]
	v_ashrrev_i32_e32 v29, 31, v28
	v_cvt_f64_f32_e32 v[104:105], v35
	global_load_dwordx4 v[32:35], v[17:18], off offset:1072
	v_cvt_f64_f32_e32 v[84:85], v36
	v_cvt_f64_f32_e32 v[92:93], v37
	v_lshlrev_b64 v[28:29], 3, v[28:29]
	s_waitcnt vmcnt(7)
	v_subrev_nc_u32_e32 v1, s2, v111
	v_cvt_f64_f32_e32 v[106:107], v38
	v_cvt_f64_f32_e32 v[108:109], v39
	v_add_co_u32 v76, vcc_lo, s6, v28
	v_add_co_ci_u32_e64 v77, null, s7, v29, vcc_lo
	global_load_dwordx4 v[28:31], v[17:18], off offset:1024
	s_waitcnt vmcnt(7)
	v_fma_f64 v[36:37], v[78:79], v[56:57], v[11:12]
	v_fma_f64 v[78:79], v[82:83], v[56:57], v[13:14]
	global_load_dwordx4 v[11:14], v[76:77], off
	v_fma_f64 v[15:16], v[80:81], v[56:57], v[15:16]
	v_fma_f64 v[6:7], v[84:85], v[56:57], v[6:7]
	;; [unrolled: 1-line block ×4, first 2 shown]
	v_lshlrev_b32_e32 v78, 2, v1
	v_fma_f64 v[15:16], v[88:89], v[58:59], v[15:16]
	v_fma_f64 v[6:7], v[92:93], v[58:59], v[6:7]
	global_load_dwordx4 v[56:59], v[76:77], off offset:16
	global_load_dwordx4 v[36:39], v[17:18], off offset:1568
	v_ashrrev_i32_e32 v79, 31, v78
	v_lshlrev_b64 v[76:77], 3, v[78:79]
	v_add_co_u32 v92, vcc_lo, s6, v76
	v_add_co_ci_u32_e64 v93, null, s7, v77, vcc_lo
	global_load_dwordx4 v[76:79], v[17:18], off offset:1552
	s_waitcnt vmcnt(10)
	v_fma_f64 v[88:89], v[94:95], v[60:61], v[80:81]
	global_load_dwordx4 v[80:83], v[17:18], off offset:1536
	v_fma_f64 v[94:95], v[102:103], v[60:61], v[84:85]
	global_load_dwordx4 v[84:87], v[17:18], off offset:1584
	v_fma_f64 v[15:16], v[98:99], v[60:61], v[15:16]
	v_fma_f64 v[6:7], v[106:107], v[60:61], v[6:7]
	v_cvt_f64_f32_e32 v[98:99], v40
	v_cvt_f64_f32_e32 v[40:41], v41
	v_cmp_ge_i32_e32 vcc_lo, v19, v22
	v_add_co_u32 v17, s1, 0x800, v17
	v_add_co_ci_u32_e64 v18, null, 0, v18, s1
	s_or_b32 s9, vcc_lo, s9
	v_fma_f64 v[60:61], v[96:97], v[62:63], v[88:89]
	global_load_dwordx4 v[88:91], v[92:93], off
	v_fma_f64 v[96:97], v[104:105], v[62:63], v[94:95]
	global_load_dwordx4 v[92:95], v[92:93], off offset:16
	v_fma_f64 v[15:16], v[100:101], v[62:63], v[15:16]
	v_fma_f64 v[6:7], v[108:109], v[62:63], v[6:7]
	v_cvt_f64_f32_e32 v[62:63], v44
	v_cvt_f64_f32_e32 v[100:101], v48
	;; [unrolled: 1-line block ×4, first 2 shown]
	s_waitcnt vmcnt(13)
	v_fma_f64 v[15:16], v[98:99], v[64:65], v[15:16]
	v_fma_f64 v[60:61], v[62:63], v[64:65], v[60:61]
	v_cvt_f64_f32_e32 v[62:63], v52
	v_fma_f64 v[96:97], v[100:101], v[64:65], v[96:97]
	v_cvt_f64_f32_e32 v[52:53], v53
	;; [unrolled: 2-line block ×3, first 2 shown]
	v_fma_f64 v[44:45], v[44:45], v[66:67], v[60:61]
	v_fma_f64 v[6:7], v[62:63], v[64:65], v[6:7]
	;; [unrolled: 1-line block ×3, first 2 shown]
	v_cvt_f64_f32_e32 v[60:61], v42
	v_cvt_f64_f32_e32 v[62:63], v54
	;; [unrolled: 1-line block ×5, first 2 shown]
	s_waitcnt vmcnt(10)
	v_fma_f64 v[40:41], v[40:41], v[24:25], v[44:45]
	v_fma_f64 v[6:7], v[52:53], v[66:67], v[6:7]
	v_cvt_f64_f32_e32 v[52:53], v50
	v_cvt_f64_f32_e32 v[50:51], v51
	v_fma_f64 v[15:16], v[60:61], v[24:25], v[15:16]
	s_waitcnt vmcnt(9)
	v_cvt_f64_f32_e32 v[60:61], v32
	v_cvt_f64_f32_e32 v[32:33], v33
	v_fma_f64 v[40:41], v[46:47], v[26:27], v[40:41]
	v_fma_f64 v[6:7], v[62:63], v[24:25], v[6:7]
	;; [unrolled: 1-line block ×3, first 2 shown]
	s_waitcnt vmcnt(8)
	v_cvt_f64_f32_e32 v[24:25], v28
	v_cvt_f64_f32_e32 v[48:49], v72
	;; [unrolled: 1-line block ×3, first 2 shown]
	v_fma_f64 v[15:16], v[42:43], v[26:27], v[15:16]
	v_cvt_f64_f32_e32 v[46:47], v70
	v_fma_f64 v[6:7], v[54:55], v[26:27], v[6:7]
	v_fma_f64 v[42:43], v[50:51], v[26:27], v[44:45]
	v_cvt_f64_f32_e32 v[26:27], v29
	v_cvt_f64_f32_e32 v[28:29], v73
	;; [unrolled: 1-line block ×3, first 2 shown]
	s_waitcnt vmcnt(7)
	v_fma_f64 v[24:25], v[24:25], v[11:12], v[40:41]
	v_fma_f64 v[15:16], v[48:49], v[11:12], v[15:16]
	;; [unrolled: 1-line block ×4, first 2 shown]
	v_cvt_f64_f32_e32 v[11:12], v30
	v_cvt_f64_f32_e32 v[42:43], v74
	;; [unrolled: 1-line block ×3, first 2 shown]
	v_fma_f64 v[24:25], v[26:27], v[13:14], v[24:25]
	v_fma_f64 v[15:16], v[28:29], v[13:14], v[15:16]
	;; [unrolled: 1-line block ×4, first 2 shown]
	v_cvt_f64_f32_e32 v[13:14], v31
	v_cvt_f64_f32_e32 v[28:29], v75
	;; [unrolled: 1-line block ×4, first 2 shown]
	s_waitcnt vmcnt(5)
	v_cvt_f64_f32_e32 v[40:41], v36
	s_waitcnt vmcnt(4)
	v_cvt_f64_f32_e32 v[34:35], v76
	v_fma_f64 v[11:12], v[11:12], v[56:57], v[24:25]
	v_fma_f64 v[15:16], v[42:43], v[56:57], v[15:16]
	v_fma_f64 v[24:25], v[46:47], v[56:57], v[26:27]
	v_fma_f64 v[6:7], v[48:49], v[56:57], v[6:7]
	s_waitcnt vmcnt(3)
	v_cvt_f64_f32_e32 v[26:27], v80
	s_waitcnt vmcnt(2)
	v_cvt_f64_f32_e32 v[42:43], v84
	v_fma_f64 v[11:12], v[13:14], v[58:59], v[11:12]
	v_fma_f64 v[13:14], v[28:29], v[58:59], v[15:16]
	;; [unrolled: 1-line block ×4, first 2 shown]
	v_cvt_f64_f32_e32 v[24:25], v81
	v_cvt_f64_f32_e32 v[28:29], v77
	v_cvt_f64_f32_e32 v[30:31], v37
	v_cvt_f64_f32_e32 v[32:33], v85
	v_cvt_f64_f32_e32 v[36:37], v38
	s_waitcnt vmcnt(1)
	v_fma_f64 v[11:12], v[26:27], v[88:89], v[11:12]
	v_fma_f64 v[13:14], v[34:35], v[88:89], v[13:14]
	;; [unrolled: 1-line block ×4, first 2 shown]
	v_cvt_f64_f32_e32 v[26:27], v82
	v_cvt_f64_f32_e32 v[34:35], v78
	;; [unrolled: 1-line block ×3, first 2 shown]
	v_fma_f64 v[11:12], v[24:25], v[90:91], v[11:12]
	v_fma_f64 v[13:14], v[28:29], v[90:91], v[13:14]
	;; [unrolled: 1-line block ×4, first 2 shown]
	v_cvt_f64_f32_e32 v[24:25], v83
	v_cvt_f64_f32_e32 v[28:29], v79
	;; [unrolled: 1-line block ×4, first 2 shown]
	s_waitcnt vmcnt(0)
	v_fma_f64 v[11:12], v[26:27], v[92:93], v[11:12]
	v_fma_f64 v[13:14], v[34:35], v[92:93], v[13:14]
	;; [unrolled: 1-line block ×8, first 2 shown]
	s_andn2_b32 exec_lo, exec_lo, s9
	s_cbranch_execnz .LBB151_21
; %bb.22:
	s_or_b32 exec_lo, exec_lo, s9
.LBB151_23:
	s_or_b32 exec_lo, exec_lo, s8
.LBB151_24:
	s_or_b32 exec_lo, exec_lo, s3
	s_cbranch_execz .LBB151_26
	s_branch .LBB151_37
.LBB151_25:
                                        ; implicit-def: $vgpr6_vgpr7
                                        ; implicit-def: $vgpr13_vgpr14
                                        ; implicit-def: $vgpr15_vgpr16
                                        ; implicit-def: $vgpr11_vgpr12
.LBB151_26:
	v_mov_b32_e32 v6, 0
	v_mov_b32_e32 v13, 0
	;; [unrolled: 1-line block ×8, first 2 shown]
	s_and_saveexec_b32 s1, s0
	s_cbranch_execz .LBB151_36
; %bb.27:
	v_add_nc_u32_e32 v1, v23, v21
	v_not_b32_e32 v6, v23
	v_mov_b32_e32 v11, 0
	v_mov_b32_e32 v15, 0
	;; [unrolled: 1-line block ×3, first 2 shown]
	v_subrev_nc_u32_e32 v1, s2, v1
	v_mov_b32_e32 v12, 0
	v_mov_b32_e32 v16, 0
	;; [unrolled: 1-line block ×3, first 2 shown]
	s_mov_b32 s0, exec_lo
	v_add_nc_u32_e32 v1, 8, v1
	v_max_i32_e32 v1, v1, v22
	v_add3_u32 v1, s2, v1, v6
	v_mov_b32_e32 v6, 0
	v_mov_b32_e32 v7, 0
	v_sub_nc_u32_e32 v17, v1, v21
	v_and_b32_e32 v1, 24, v17
	v_cmpx_ne_u32_e32 24, v1
	s_cbranch_execz .LBB151_31
; %bb.28:
	v_lshrrev_b32_e32 v1, 3, v17
	v_mov_b32_e32 v6, 0
	v_mov_b32_e32 v13, 0
	;; [unrolled: 1-line block ×4, first 2 shown]
	v_add_nc_u32_e32 v1, 1, v1
	v_mov_b32_e32 v7, 0
	v_mov_b32_e32 v14, 0
	;; [unrolled: 1-line block ×4, first 2 shown]
	v_and_b32_e32 v1, 3, v1
	s_mov_b32 s3, 0
	v_sub_nc_u32_e32 v18, 0, v1
.LBB151_29:                             ; =>This Inner Loop Header: Depth=1
	v_ashrrev_i32_e32 v1, 31, v0
	v_add_co_u32 v18, s8, v18, 1
	s_or_b32 s3, s8, s3
	v_lshlrev_b64 v[19:20], 2, v[0:1]
	v_add_nc_u32_e32 v0, 8, v0
	v_add_co_u32 v19, vcc_lo, s12, v19
	v_add_co_ci_u32_e64 v20, null, s13, v20, vcc_lo
	global_load_dword v1, v[19:20], off
	s_clause 0x1
	global_load_dwordx4 v[23:26], v[4:5], off offset:16
	global_load_dwordx4 v[27:30], v[4:5], off
	s_waitcnt vmcnt(2)
	v_subrev_nc_u32_e32 v1, s2, v1
	s_waitcnt vmcnt(1)
	v_cvt_f64_f32_e32 v[49:50], v23
	s_waitcnt vmcnt(0)
	v_cvt_f64_f32_e32 v[47:48], v29
	v_cvt_f64_f32_e32 v[29:30], v30
	;; [unrolled: 1-line block ×3, first 2 shown]
	v_lshlrev_b32_e32 v19, 2, v1
	v_cvt_f64_f32_e32 v[51:52], v25
	v_cvt_f64_f32_e32 v[25:26], v26
	v_ashrrev_i32_e32 v20, 31, v19
	v_lshlrev_b64 v[19:20], 3, v[19:20]
	v_add_co_u32 v19, vcc_lo, s6, v19
	v_add_co_ci_u32_e64 v20, null, s7, v20, vcc_lo
	s_clause 0x1
	global_load_dwordx4 v[31:34], v[19:20], off
	global_load_dwordx4 v[35:38], v[19:20], off offset:16
	s_clause 0x1
	global_load_dwordx4 v[39:42], v[4:5], off offset:32
	global_load_dwordx4 v[43:46], v[4:5], off offset:48
	v_cvt_f64_f32_e32 v[19:20], v27
	v_cvt_f64_f32_e32 v[27:28], v28
	v_add_co_u32 v4, vcc_lo, 0x200, v4
	v_add_co_ci_u32_e64 v5, null, 0, v5, vcc_lo
	s_waitcnt vmcnt(3)
	v_fma_f64 v[11:12], v[19:20], v[31:32], v[11:12]
	v_fma_f64 v[15:16], v[27:28], v[31:32], v[15:16]
	;; [unrolled: 1-line block ×4, first 2 shown]
	s_waitcnt vmcnt(1)
	v_cvt_f64_f32_e32 v[19:20], v39
	v_cvt_f64_f32_e32 v[27:28], v40
	;; [unrolled: 1-line block ×4, first 2 shown]
	s_waitcnt vmcnt(0)
	v_cvt_f64_f32_e32 v[39:40], v46
	v_fma_f64 v[11:12], v[49:50], v[33:34], v[11:12]
	v_fma_f64 v[15:16], v[23:24], v[33:34], v[15:16]
	;; [unrolled: 1-line block ×4, first 2 shown]
	v_cvt_f64_f32_e32 v[23:24], v43
	v_cvt_f64_f32_e32 v[25:26], v44
	;; [unrolled: 1-line block ×3, first 2 shown]
	v_fma_f64 v[11:12], v[19:20], v[35:36], v[11:12]
	v_fma_f64 v[15:16], v[27:28], v[35:36], v[15:16]
	v_fma_f64 v[13:14], v[29:30], v[35:36], v[13:14]
	v_fma_f64 v[6:7], v[31:32], v[35:36], v[6:7]
	v_fma_f64 v[11:12], v[23:24], v[37:38], v[11:12]
	v_fma_f64 v[15:16], v[25:26], v[37:38], v[15:16]
	v_fma_f64 v[13:14], v[33:34], v[37:38], v[13:14]
	v_fma_f64 v[6:7], v[39:40], v[37:38], v[6:7]
	s_andn2_b32 exec_lo, exec_lo, s3
	s_cbranch_execnz .LBB151_29
; %bb.30:
	s_or_b32 exec_lo, exec_lo, s3
.LBB151_31:
	s_or_b32 exec_lo, exec_lo, s0
	s_mov_b32 s3, exec_lo
	v_cmpx_lt_u32_e32 23, v17
	s_cbranch_execz .LBB151_35
; %bb.32:
	s_mov_b32 s8, 0
.LBB151_33:                             ; =>This Inner Loop Header: Depth=1
	s_clause 0x6
	global_load_dwordx4 v[17:20], v[4:5], off
	global_load_dwordx4 v[23:26], v[4:5], off offset:16
	global_load_dwordx4 v[27:30], v[4:5], off offset:32
	;; [unrolled: 1-line block ×6, first 2 shown]
	v_ashrrev_i32_e32 v1, 31, v0
	global_load_dwordx4 v[47:50], v[4:5], off offset:560
	v_lshlrev_b64 v[51:52], 2, v[0:1]
	v_add_nc_u32_e32 v0, 32, v0
	v_add_co_u32 v51, vcc_lo, s12, v51
	v_add_co_ci_u32_e64 v52, null, s13, v52, vcc_lo
	s_waitcnt vmcnt(7)
	v_cvt_f64_f32_e32 v[57:58], v19
	v_cvt_f64_f32_e32 v[59:60], v20
	s_clause 0x3
	global_load_dword v1, v[51:52], off
	global_load_dword v19, v[51:52], off offset:32
	global_load_dword v20, v[51:52], off offset:64
	;; [unrolled: 1-line block ×3, first 2 shown]
	v_cvt_f64_f32_e32 v[53:54], v17
	v_cvt_f64_f32_e32 v[55:56], v18
	s_waitcnt vmcnt(10)
	v_cvt_f64_f32_e32 v[61:62], v23
	v_cvt_f64_f32_e32 v[63:64], v24
	s_waitcnt vmcnt(9)
	v_cvt_f64_f32_e32 v[69:70], v27
	v_cvt_f64_f32_e32 v[71:72], v28
	;; [unrolled: 1-line block ×4, first 2 shown]
	s_waitcnt vmcnt(8)
	v_cvt_f64_f32_e32 v[77:78], v31
	v_cvt_f64_f32_e32 v[79:80], v32
	s_waitcnt vmcnt(7)
	v_cvt_f64_f32_e32 v[85:86], v35
	v_cvt_f64_f32_e32 v[87:88], v36
	;; [unrolled: 1-line block ×8, first 2 shown]
	s_waitcnt vmcnt(6)
	v_cvt_f64_f32_e32 v[93:94], v39
	v_cvt_f64_f32_e32 v[95:96], v40
	s_waitcnt vmcnt(5)
	v_cvt_f64_f32_e32 v[101:102], v43
	v_cvt_f64_f32_e32 v[103:104], v44
	;; [unrolled: 1-line block ×6, first 2 shown]
	s_waitcnt vmcnt(3)
	v_subrev_nc_u32_e32 v1, s2, v1
	v_lshlrev_b32_e32 v17, 2, v1
	s_waitcnt vmcnt(2)
	v_subrev_nc_u32_e32 v1, s2, v19
	v_ashrrev_i32_e32 v18, 31, v17
	v_lshlrev_b64 v[17:18], 3, v[17:18]
	v_add_co_u32 v23, vcc_lo, s6, v17
	v_lshlrev_b32_e32 v17, 2, v1
	v_add_co_ci_u32_e64 v24, null, s7, v18, vcc_lo
	s_waitcnt vmcnt(1)
	v_subrev_nc_u32_e32 v1, s2, v20
	v_ashrrev_i32_e32 v18, 31, v17
	v_lshlrev_b64 v[17:18], 3, v[17:18]
	v_add_co_u32 v27, vcc_lo, s6, v17
	v_lshlrev_b32_e32 v17, 2, v1
	v_add_co_ci_u32_e64 v28, null, s7, v18, vcc_lo
	s_waitcnt vmcnt(0)
	v_subrev_nc_u32_e32 v1, s2, v109
	v_ashrrev_i32_e32 v18, 31, v17
	v_lshlrev_b64 v[17:18], 3, v[17:18]
	v_add_co_u32 v51, vcc_lo, s6, v17
	v_add_co_ci_u32_e64 v52, null, s7, v18, vcc_lo
	s_clause 0x1
	global_load_dwordx4 v[17:20], v[23:24], off
	global_load_dwordx4 v[23:26], v[23:24], off offset:16
	s_waitcnt vmcnt(1)
	v_fma_f64 v[11:12], v[53:54], v[17:18], v[11:12]
	v_fma_f64 v[13:14], v[57:58], v[17:18], v[13:14]
	;; [unrolled: 1-line block ×4, first 2 shown]
	v_cvt_f64_f32_e32 v[59:60], v47
	v_fma_f64 v[31:32], v[61:62], v[19:20], v[11:12]
	v_fma_f64 v[35:36], v[65:66], v[19:20], v[13:14]
	global_load_dwordx4 v[11:14], v[27:28], off
	v_fma_f64 v[33:34], v[63:64], v[19:20], v[15:16]
	global_load_dwordx4 v[15:18], v[27:28], off offset:16
	global_load_dwordx4 v[27:30], v[4:5], off offset:1024
	v_fma_f64 v[6:7], v[67:68], v[19:20], v[6:7]
	v_cvt_f64_f32_e32 v[63:64], v48
	v_cvt_f64_f32_e32 v[65:66], v49
	;; [unrolled: 1-line block ×3, first 2 shown]
	global_load_dwordx4 v[47:50], v[51:52], off offset:16
	s_waitcnt vmcnt(4)
	v_fma_f64 v[19:20], v[69:70], v[23:24], v[31:32]
	v_fma_f64 v[43:44], v[73:74], v[23:24], v[35:36]
	global_load_dwordx4 v[35:38], v[51:52], off
	v_fma_f64 v[39:40], v[71:72], v[23:24], v[33:34]
	global_load_dwordx4 v[31:34], v[4:5], off offset:1040
	v_fma_f64 v[6:7], v[75:76], v[23:24], v[6:7]
	v_fma_f64 v[19:20], v[77:78], v[25:26], v[19:20]
	;; [unrolled: 1-line block ×4, first 2 shown]
	global_load_dwordx4 v[39:42], v[4:5], off offset:1056
	v_fma_f64 v[6:7], v[83:84], v[25:26], v[6:7]
	global_load_dwordx4 v[23:26], v[4:5], off offset:1072
	s_waitcnt vmcnt(7)
	v_fma_f64 v[19:20], v[85:86], v[11:12], v[19:20]
	v_fma_f64 v[55:56], v[87:88], v[11:12], v[45:46]
	v_fma_f64 v[57:58], v[89:90], v[11:12], v[53:54]
	v_fma_f64 v[6:7], v[91:92], v[11:12], v[6:7]
	v_lshlrev_b32_e32 v11, 2, v1
	s_clause 0x1
	global_load_dwordx4 v[43:46], v[4:5], off offset:1536
	global_load_dwordx4 v[51:54], v[4:5], off offset:1552
	s_waitcnt vmcnt(7)
	v_cvt_f64_f32_e32 v[69:70], v27
	v_cvt_f64_f32_e32 v[71:72], v28
	v_ashrrev_i32_e32 v12, 31, v11
	v_cvt_f64_f32_e32 v[73:74], v29
	v_cvt_f64_f32_e32 v[75:76], v30
	global_load_dwordx4 v[27:30], v[4:5], off offset:1568
	v_lshlrev_b64 v[11:12], 3, v[11:12]
	v_add_co_u32 v61, vcc_lo, s6, v11
	v_add_co_ci_u32_e64 v62, null, s7, v12, vcc_lo
	v_fma_f64 v[19:20], v[93:94], v[13:14], v[19:20]
	v_fma_f64 v[55:56], v[95:96], v[13:14], v[55:56]
	;; [unrolled: 1-line block ×4, first 2 shown]
	global_load_dwordx4 v[11:14], v[61:62], off
	v_cmp_ge_i32_e32 vcc_lo, v0, v22
	s_or_b32 s8, vcc_lo, s8
	v_fma_f64 v[19:20], v[101:102], v[15:16], v[19:20]
	v_fma_f64 v[77:78], v[103:104], v[15:16], v[55:56]
	;; [unrolled: 1-line block ×4, first 2 shown]
	global_load_dwordx4 v[55:58], v[4:5], off offset:1584
	v_add_co_u32 v4, s0, 0x800, v4
	v_add_co_ci_u32_e64 v5, null, 0, v5, s0
	v_fma_f64 v[15:16], v[59:60], v[17:18], v[19:20]
	global_load_dwordx4 v[59:62], v[61:62], off offset:16
	v_fma_f64 v[19:20], v[63:64], v[17:18], v[77:78]
	v_fma_f64 v[63:64], v[65:66], v[17:18], v[79:80]
	;; [unrolled: 1-line block ×3, first 2 shown]
	s_waitcnt vmcnt(8)
	v_cvt_f64_f32_e32 v[17:18], v31
	v_cvt_f64_f32_e32 v[31:32], v32
	;; [unrolled: 1-line block ×4, first 2 shown]
	s_waitcnt vmcnt(7)
	v_cvt_f64_f32_e32 v[67:68], v41
	v_cvt_f64_f32_e32 v[41:42], v42
	v_fma_f64 v[15:16], v[69:70], v[35:36], v[15:16]
	v_fma_f64 v[19:20], v[71:72], v[35:36], v[19:20]
	;; [unrolled: 1-line block ×4, first 2 shown]
	v_cvt_f64_f32_e32 v[35:36], v39
	v_cvt_f64_f32_e32 v[39:40], v40
	v_fma_f64 v[15:16], v[17:18], v[37:38], v[15:16]
	v_fma_f64 v[17:18], v[31:32], v[37:38], v[19:20]
	;; [unrolled: 1-line block ×4, first 2 shown]
	s_waitcnt vmcnt(6)
	v_cvt_f64_f32_e32 v[31:32], v23
	v_cvt_f64_f32_e32 v[23:24], v24
	;; [unrolled: 1-line block ×4, first 2 shown]
	v_fma_f64 v[15:16], v[35:36], v[47:48], v[15:16]
	v_fma_f64 v[17:18], v[39:40], v[47:48], v[17:18]
	;; [unrolled: 1-line block ×8, first 2 shown]
	s_waitcnt vmcnt(5)
	v_cvt_f64_f32_e32 v[35:36], v43
	v_cvt_f64_f32_e32 v[37:38], v44
	;; [unrolled: 1-line block ×4, first 2 shown]
	s_waitcnt vmcnt(4)
	v_cvt_f64_f32_e32 v[23:24], v51
	v_cvt_f64_f32_e32 v[25:26], v52
	;; [unrolled: 1-line block ×4, first 2 shown]
	s_waitcnt vmcnt(2)
	v_fma_f64 v[15:16], v[35:36], v[11:12], v[15:16]
	v_fma_f64 v[17:18], v[37:38], v[11:12], v[17:18]
	;; [unrolled: 1-line block ×4, first 2 shown]
	v_cvt_f64_f32_e32 v[11:12], v27
	v_cvt_f64_f32_e32 v[27:28], v28
	;; [unrolled: 1-line block ×4, first 2 shown]
	v_fma_f64 v[15:16], v[23:24], v[13:14], v[15:16]
	v_fma_f64 v[17:18], v[25:26], v[13:14], v[17:18]
	;; [unrolled: 1-line block ×4, first 2 shown]
	s_waitcnt vmcnt(1)
	v_cvt_f64_f32_e32 v[13:14], v55
	v_cvt_f64_f32_e32 v[23:24], v56
	;; [unrolled: 1-line block ×4, first 2 shown]
	s_waitcnt vmcnt(0)
	v_fma_f64 v[11:12], v[11:12], v[59:60], v[15:16]
	v_fma_f64 v[15:16], v[27:28], v[59:60], v[17:18]
	v_fma_f64 v[17:18], v[35:36], v[59:60], v[19:20]
	v_fma_f64 v[6:7], v[29:30], v[59:60], v[6:7]
	v_fma_f64 v[11:12], v[13:14], v[61:62], v[11:12]
	v_fma_f64 v[15:16], v[23:24], v[61:62], v[15:16]
	v_fma_f64 v[13:14], v[25:26], v[61:62], v[17:18]
	v_fma_f64 v[6:7], v[31:32], v[61:62], v[6:7]
	s_andn2_b32 exec_lo, exec_lo, s8
	s_cbranch_execnz .LBB151_33
; %bb.34:
	s_or_b32 exec_lo, exec_lo, s8
.LBB151_35:
	s_or_b32 exec_lo, exec_lo, s3
.LBB151_36:
	s_or_b32 exec_lo, exec_lo, s1
.LBB151_37:
	v_mbcnt_lo_u32_b32 v24, -1, 0
	v_xor_b32_e32 v0, 4, v24
	v_cmp_gt_i32_e32 vcc_lo, 32, v0
	v_cndmask_b32_e32 v0, v24, v0, vcc_lo
	v_lshlrev_b32_e32 v20, 2, v0
	ds_bpermute_b32 v0, v20, v11
	ds_bpermute_b32 v1, v20, v12
	;; [unrolled: 1-line block ×8, first 2 shown]
	s_waitcnt lgkmcnt(6)
	v_add_f64 v[0:1], v[11:12], v[0:1]
	s_waitcnt lgkmcnt(4)
	v_add_f64 v[4:5], v[15:16], v[4:5]
	s_waitcnt lgkmcnt(2)
	v_add_f64 v[13:14], v[13:14], v[17:18]
	s_waitcnt lgkmcnt(0)
	v_add_f64 v[15:16], v[6:7], v[19:20]
	v_xor_b32_e32 v6, 2, v24
	v_cmp_gt_i32_e32 vcc_lo, 32, v6
	v_cndmask_b32_e32 v6, v24, v6, vcc_lo
	v_lshlrev_b32_e32 v11, 2, v6
	ds_bpermute_b32 v6, v11, v0
	ds_bpermute_b32 v7, v11, v1
	;; [unrolled: 1-line block ×8, first 2 shown]
	s_waitcnt lgkmcnt(6)
	v_add_f64 v[11:12], v[0:1], v[6:7]
	s_waitcnt lgkmcnt(4)
	v_add_f64 v[6:7], v[4:5], v[17:18]
	;; [unrolled: 2-line block ×3, first 2 shown]
	v_xor_b32_e32 v13, 1, v24
	s_waitcnt lgkmcnt(0)
	v_add_f64 v[4:5], v[15:16], v[22:23]
	v_cmp_gt_i32_e32 vcc_lo, 32, v13
	v_cndmask_b32_e32 v13, v24, v13, vcc_lo
	v_cmp_eq_u32_e32 vcc_lo, 7, v21
	v_lshlrev_b32_e32 v14, 2, v13
	ds_bpermute_b32 v19, v14, v11
	ds_bpermute_b32 v20, v14, v12
	ds_bpermute_b32 v17, v14, v6
	ds_bpermute_b32 v18, v14, v7
	ds_bpermute_b32 v15, v14, v0
	ds_bpermute_b32 v16, v14, v1
	ds_bpermute_b32 v13, v14, v4
	ds_bpermute_b32 v14, v14, v5
	s_and_b32 exec_lo, exec_lo, vcc_lo
	s_cbranch_execz .LBB151_10
; %bb.38:
	s_waitcnt lgkmcnt(6)
	v_add_f64 v[11:12], v[11:12], v[19:20]
	s_waitcnt lgkmcnt(4)
	v_add_f64 v[6:7], v[6:7], v[17:18]
	;; [unrolled: 2-line block ×4, first 2 shown]
	s_load_dwordx2 s[0:1], s[4:5], 0x50
	v_lshlrev_b32_e32 v10, 2, v10
	s_mov_b32 s2, exec_lo
	v_mul_f64 v[4:5], v[2:3], v[11:12]
	v_mul_f64 v[6:7], v[2:3], v[6:7]
	;; [unrolled: 1-line block ×4, first 2 shown]
	v_cmpx_eq_f64_e32 0, v[8:9]
	s_xor_b32 s2, exec_lo, s2
	s_cbranch_execz .LBB151_40
; %bb.39:
	v_ashrrev_i32_e32 v11, 31, v10
	v_lshlrev_b64 v[8:9], 3, v[10:11]
                                        ; implicit-def: $vgpr10
	s_waitcnt lgkmcnt(0)
	v_add_co_u32 v8, vcc_lo, s0, v8
	v_add_co_ci_u32_e64 v9, null, s1, v9, vcc_lo
	global_store_dwordx4 v[8:9], v[4:7], off
	global_store_dwordx4 v[8:9], v[0:3], off offset:16
                                        ; implicit-def: $vgpr8_vgpr9
                                        ; implicit-def: $vgpr4_vgpr5
                                        ; implicit-def: $vgpr0_vgpr1
.LBB151_40:
	s_andn2_saveexec_b32 s2, s2
	s_cbranch_execz .LBB151_10
; %bb.41:
	v_ashrrev_i32_e32 v11, 31, v10
	v_lshlrev_b64 v[10:11], 3, v[10:11]
	s_waitcnt lgkmcnt(0)
	v_add_co_u32 v18, vcc_lo, s0, v10
	v_add_co_ci_u32_e64 v19, null, s1, v11, vcc_lo
	s_clause 0x1
	global_load_dwordx4 v[10:13], v[18:19], off
	global_load_dwordx4 v[14:17], v[18:19], off offset:16
	s_waitcnt vmcnt(1)
	v_fma_f64 v[4:5], v[8:9], v[10:11], v[4:5]
	v_fma_f64 v[6:7], v[8:9], v[12:13], v[6:7]
	s_waitcnt vmcnt(0)
	v_fma_f64 v[0:1], v[8:9], v[14:15], v[0:1]
	v_fma_f64 v[2:3], v[8:9], v[16:17], v[2:3]
	global_store_dwordx4 v[18:19], v[4:7], off
	global_store_dwordx4 v[18:19], v[0:3], off offset:16
	s_endpgm
	.section	.rodata,"a",@progbits
	.p2align	6, 0x0
	.amdhsa_kernel _ZN9rocsparseL18bsrxmvn_4x4_kernelILj128ELj8EdiifddEEvT3_20rocsparse_direction_NS_24const_host_device_scalarIT1_EES1_PKS1_PKT2_SA_S7_PKT4_PKT5_S5_PT6_21rocsparse_index_base_b
		.amdhsa_group_segment_fixed_size 0
		.amdhsa_private_segment_fixed_size 0
		.amdhsa_kernarg_size 96
		.amdhsa_user_sgpr_count 6
		.amdhsa_user_sgpr_private_segment_buffer 1
		.amdhsa_user_sgpr_dispatch_ptr 0
		.amdhsa_user_sgpr_queue_ptr 0
		.amdhsa_user_sgpr_kernarg_segment_ptr 1
		.amdhsa_user_sgpr_dispatch_id 0
		.amdhsa_user_sgpr_flat_scratch_init 0
		.amdhsa_user_sgpr_private_segment_size 0
		.amdhsa_wavefront_size32 1
		.amdhsa_uses_dynamic_stack 0
		.amdhsa_system_sgpr_private_segment_wavefront_offset 0
		.amdhsa_system_sgpr_workgroup_id_x 1
		.amdhsa_system_sgpr_workgroup_id_y 0
		.amdhsa_system_sgpr_workgroup_id_z 0
		.amdhsa_system_sgpr_workgroup_info 0
		.amdhsa_system_vgpr_workitem_id 0
		.amdhsa_next_free_vgpr 112
		.amdhsa_next_free_sgpr 16
		.amdhsa_reserve_vcc 1
		.amdhsa_reserve_flat_scratch 0
		.amdhsa_float_round_mode_32 0
		.amdhsa_float_round_mode_16_64 0
		.amdhsa_float_denorm_mode_32 3
		.amdhsa_float_denorm_mode_16_64 3
		.amdhsa_dx10_clamp 1
		.amdhsa_ieee_mode 1
		.amdhsa_fp16_overflow 0
		.amdhsa_workgroup_processor_mode 1
		.amdhsa_memory_ordered 1
		.amdhsa_forward_progress 1
		.amdhsa_shared_vgpr_count 0
		.amdhsa_exception_fp_ieee_invalid_op 0
		.amdhsa_exception_fp_denorm_src 0
		.amdhsa_exception_fp_ieee_div_zero 0
		.amdhsa_exception_fp_ieee_overflow 0
		.amdhsa_exception_fp_ieee_underflow 0
		.amdhsa_exception_fp_ieee_inexact 0
		.amdhsa_exception_int_div_zero 0
	.end_amdhsa_kernel
	.section	.text._ZN9rocsparseL18bsrxmvn_4x4_kernelILj128ELj8EdiifddEEvT3_20rocsparse_direction_NS_24const_host_device_scalarIT1_EES1_PKS1_PKT2_SA_S7_PKT4_PKT5_S5_PT6_21rocsparse_index_base_b,"axG",@progbits,_ZN9rocsparseL18bsrxmvn_4x4_kernelILj128ELj8EdiifddEEvT3_20rocsparse_direction_NS_24const_host_device_scalarIT1_EES1_PKS1_PKT2_SA_S7_PKT4_PKT5_S5_PT6_21rocsparse_index_base_b,comdat
.Lfunc_end151:
	.size	_ZN9rocsparseL18bsrxmvn_4x4_kernelILj128ELj8EdiifddEEvT3_20rocsparse_direction_NS_24const_host_device_scalarIT1_EES1_PKS1_PKT2_SA_S7_PKT4_PKT5_S5_PT6_21rocsparse_index_base_b, .Lfunc_end151-_ZN9rocsparseL18bsrxmvn_4x4_kernelILj128ELj8EdiifddEEvT3_20rocsparse_direction_NS_24const_host_device_scalarIT1_EES1_PKS1_PKT2_SA_S7_PKT4_PKT5_S5_PT6_21rocsparse_index_base_b
                                        ; -- End function
	.set _ZN9rocsparseL18bsrxmvn_4x4_kernelILj128ELj8EdiifddEEvT3_20rocsparse_direction_NS_24const_host_device_scalarIT1_EES1_PKS1_PKT2_SA_S7_PKT4_PKT5_S5_PT6_21rocsparse_index_base_b.num_vgpr, 112
	.set _ZN9rocsparseL18bsrxmvn_4x4_kernelILj128ELj8EdiifddEEvT3_20rocsparse_direction_NS_24const_host_device_scalarIT1_EES1_PKS1_PKT2_SA_S7_PKT4_PKT5_S5_PT6_21rocsparse_index_base_b.num_agpr, 0
	.set _ZN9rocsparseL18bsrxmvn_4x4_kernelILj128ELj8EdiifddEEvT3_20rocsparse_direction_NS_24const_host_device_scalarIT1_EES1_PKS1_PKT2_SA_S7_PKT4_PKT5_S5_PT6_21rocsparse_index_base_b.numbered_sgpr, 16
	.set _ZN9rocsparseL18bsrxmvn_4x4_kernelILj128ELj8EdiifddEEvT3_20rocsparse_direction_NS_24const_host_device_scalarIT1_EES1_PKS1_PKT2_SA_S7_PKT4_PKT5_S5_PT6_21rocsparse_index_base_b.num_named_barrier, 0
	.set _ZN9rocsparseL18bsrxmvn_4x4_kernelILj128ELj8EdiifddEEvT3_20rocsparse_direction_NS_24const_host_device_scalarIT1_EES1_PKS1_PKT2_SA_S7_PKT4_PKT5_S5_PT6_21rocsparse_index_base_b.private_seg_size, 0
	.set _ZN9rocsparseL18bsrxmvn_4x4_kernelILj128ELj8EdiifddEEvT3_20rocsparse_direction_NS_24const_host_device_scalarIT1_EES1_PKS1_PKT2_SA_S7_PKT4_PKT5_S5_PT6_21rocsparse_index_base_b.uses_vcc, 1
	.set _ZN9rocsparseL18bsrxmvn_4x4_kernelILj128ELj8EdiifddEEvT3_20rocsparse_direction_NS_24const_host_device_scalarIT1_EES1_PKS1_PKT2_SA_S7_PKT4_PKT5_S5_PT6_21rocsparse_index_base_b.uses_flat_scratch, 0
	.set _ZN9rocsparseL18bsrxmvn_4x4_kernelILj128ELj8EdiifddEEvT3_20rocsparse_direction_NS_24const_host_device_scalarIT1_EES1_PKS1_PKT2_SA_S7_PKT4_PKT5_S5_PT6_21rocsparse_index_base_b.has_dyn_sized_stack, 0
	.set _ZN9rocsparseL18bsrxmvn_4x4_kernelILj128ELj8EdiifddEEvT3_20rocsparse_direction_NS_24const_host_device_scalarIT1_EES1_PKS1_PKT2_SA_S7_PKT4_PKT5_S5_PT6_21rocsparse_index_base_b.has_recursion, 0
	.set _ZN9rocsparseL18bsrxmvn_4x4_kernelILj128ELj8EdiifddEEvT3_20rocsparse_direction_NS_24const_host_device_scalarIT1_EES1_PKS1_PKT2_SA_S7_PKT4_PKT5_S5_PT6_21rocsparse_index_base_b.has_indirect_call, 0
	.section	.AMDGPU.csdata,"",@progbits
; Kernel info:
; codeLenInByte = 4980
; TotalNumSgprs: 18
; NumVgprs: 112
; ScratchSize: 0
; MemoryBound: 0
; FloatMode: 240
; IeeeMode: 1
; LDSByteSize: 0 bytes/workgroup (compile time only)
; SGPRBlocks: 0
; VGPRBlocks: 13
; NumSGPRsForWavesPerEU: 18
; NumVGPRsForWavesPerEU: 112
; Occupancy: 9
; WaveLimiterHint : 1
; COMPUTE_PGM_RSRC2:SCRATCH_EN: 0
; COMPUTE_PGM_RSRC2:USER_SGPR: 6
; COMPUTE_PGM_RSRC2:TRAP_HANDLER: 0
; COMPUTE_PGM_RSRC2:TGID_X_EN: 1
; COMPUTE_PGM_RSRC2:TGID_Y_EN: 0
; COMPUTE_PGM_RSRC2:TGID_Z_EN: 0
; COMPUTE_PGM_RSRC2:TIDIG_COMP_CNT: 0
	.section	.text._ZN9rocsparseL18bsrxmvn_4x4_kernelILj128ELj16EdiifddEEvT3_20rocsparse_direction_NS_24const_host_device_scalarIT1_EES1_PKS1_PKT2_SA_S7_PKT4_PKT5_S5_PT6_21rocsparse_index_base_b,"axG",@progbits,_ZN9rocsparseL18bsrxmvn_4x4_kernelILj128ELj16EdiifddEEvT3_20rocsparse_direction_NS_24const_host_device_scalarIT1_EES1_PKS1_PKT2_SA_S7_PKT4_PKT5_S5_PT6_21rocsparse_index_base_b,comdat
	.globl	_ZN9rocsparseL18bsrxmvn_4x4_kernelILj128ELj16EdiifddEEvT3_20rocsparse_direction_NS_24const_host_device_scalarIT1_EES1_PKS1_PKT2_SA_S7_PKT4_PKT5_S5_PT6_21rocsparse_index_base_b ; -- Begin function _ZN9rocsparseL18bsrxmvn_4x4_kernelILj128ELj16EdiifddEEvT3_20rocsparse_direction_NS_24const_host_device_scalarIT1_EES1_PKS1_PKT2_SA_S7_PKT4_PKT5_S5_PT6_21rocsparse_index_base_b
	.p2align	8
	.type	_ZN9rocsparseL18bsrxmvn_4x4_kernelILj128ELj16EdiifddEEvT3_20rocsparse_direction_NS_24const_host_device_scalarIT1_EES1_PKS1_PKT2_SA_S7_PKT4_PKT5_S5_PT6_21rocsparse_index_base_b,@function
_ZN9rocsparseL18bsrxmvn_4x4_kernelILj128ELj16EdiifddEEvT3_20rocsparse_direction_NS_24const_host_device_scalarIT1_EES1_PKS1_PKT2_SA_S7_PKT4_PKT5_S5_PT6_21rocsparse_index_base_b: ; @_ZN9rocsparseL18bsrxmvn_4x4_kernelILj128ELj16EdiifddEEvT3_20rocsparse_direction_NS_24const_host_device_scalarIT1_EES1_PKS1_PKT2_SA_S7_PKT4_PKT5_S5_PT6_21rocsparse_index_base_b
; %bb.0:
	s_clause 0x2
	s_load_dwordx2 s[2:3], s[4:5], 0x58
	s_load_dwordx2 s[8:9], s[4:5], 0x8
	;; [unrolled: 1-line block ×3, first 2 shown]
	s_waitcnt lgkmcnt(0)
	s_bitcmp1_b32 s3, 0
	v_mov_b32_e32 v2, s8
	v_mov_b32_e32 v3, s9
	s_cselect_b32 s3, -1, 0
	s_and_b32 vcc_lo, exec_lo, s3
	s_xor_b32 s3, s3, -1
	s_cbranch_vccnz .LBB152_2
; %bb.1:
	v_mov_b32_e32 v1, s8
	v_mov_b32_e32 v2, s9
	flat_load_dwordx2 v[2:3], v[1:2]
.LBB152_2:
	v_mov_b32_e32 v9, s1
	v_mov_b32_e32 v8, s0
	s_andn2_b32 vcc_lo, exec_lo, s3
	s_cbranch_vccnz .LBB152_4
; %bb.3:
	v_mov_b32_e32 v5, s1
	v_mov_b32_e32 v4, s0
	flat_load_dwordx2 v[8:9], v[4:5]
.LBB152_4:
	s_waitcnt vmcnt(0) lgkmcnt(0)
	v_cmp_neq_f64_e32 vcc_lo, 0, v[2:3]
	v_cmp_neq_f64_e64 s0, 1.0, v[8:9]
	s_or_b32 s0, vcc_lo, s0
	s_and_saveexec_b32 s1, s0
	s_cbranch_execz .LBB152_10
; %bb.5:
	s_clause 0x1
	s_load_dwordx2 s[8:9], s[4:5], 0x18
	s_load_dwordx2 s[0:1], s[4:5], 0x0
	v_lshrrev_b32_e32 v1, 4, v0
	v_lshl_or_b32 v10, s6, 3, v1
	s_waitcnt lgkmcnt(0)
	s_cmp_lg_u64 s[8:9], 0
	s_cbranch_scc0 .LBB152_11
; %bb.6:
	s_load_dword s3, s[4:5], 0x10
	s_mov_b32 s6, 0
                                        ; implicit-def: $vgpr1
	s_waitcnt lgkmcnt(0)
	v_cmp_gt_i32_e32 vcc_lo, s3, v10
	s_mov_b32 s3, 0
	s_and_saveexec_b32 s7, vcc_lo
	s_xor_b32 s7, exec_lo, s7
	s_cbranch_execz .LBB152_8
; %bb.7:
	v_ashrrev_i32_e32 v11, 31, v10
	s_mov_b32 s3, exec_lo
	v_lshlrev_b64 v[4:5], 2, v[10:11]
	v_add_co_u32 v4, vcc_lo, s8, v4
	v_add_co_ci_u32_e64 v5, null, s9, v5, vcc_lo
	global_load_dword v1, v[4:5], off
	s_waitcnt vmcnt(0)
	v_subrev_nc_u32_e32 v1, s2, v1
.LBB152_8:
	s_or_b32 exec_lo, exec_lo, s7
	s_and_b32 vcc_lo, exec_lo, s6
	s_cbranch_vccz .LBB152_12
.LBB152_9:
	v_cmp_gt_i32_e32 vcc_lo, s0, v10
	s_andn2_b32 s0, s3, exec_lo
	s_and_b32 s3, vcc_lo, exec_lo
	s_or_b32 s3, s0, s3
	s_and_b32 exec_lo, exec_lo, s3
	s_cbranch_execnz .LBB152_13
.LBB152_10:
	s_endpgm
.LBB152_11:
	s_mov_b32 s3, 0
                                        ; implicit-def: $vgpr1
	s_cbranch_execnz .LBB152_9
.LBB152_12:
	v_mov_b32_e32 v10, v1
	s_and_b32 exec_lo, exec_lo, s3
	s_cbranch_execz .LBB152_10
.LBB152_13:
	s_load_dwordx8 s[8:15], s[4:5], 0x20
	v_ashrrev_i32_e32 v11, 31, v10
	v_and_b32_e32 v21, 15, v0
	s_load_dwordx2 s[6:7], s[4:5], 0x40
	v_lshlrev_b64 v[4:5], 2, v[10:11]
	s_waitcnt lgkmcnt(0)
	v_add_co_u32 v6, vcc_lo, s8, v4
	v_add_co_ci_u32_e64 v7, null, s9, v5, vcc_lo
	v_add_co_u32 v1, vcc_lo, s10, v4
	v_add_co_ci_u32_e64 v4, null, s11, v5, vcc_lo
	global_load_dword v23, v[6:7], off
	v_add_co_u32 v6, vcc_lo, v6, 4
	v_add_co_ci_u32_e64 v5, null, 0, v7, vcc_lo
	s_cmp_eq_u64 s[10:11], 0
	s_cselect_b32 vcc_lo, -1, 0
	s_cmp_eq_u32 s1, 1
	v_cndmask_b32_e32 v5, v4, v5, vcc_lo
	v_cndmask_b32_e32 v4, v1, v6, vcc_lo
	global_load_dword v6, v[4:5], off
	s_waitcnt vmcnt(1)
	v_subrev_nc_u32_e32 v0, s2, v23
	v_add_nc_u32_e32 v0, v0, v21
	v_ashrrev_i32_e32 v1, 31, v0
	s_waitcnt vmcnt(0)
	v_subrev_nc_u32_e32 v22, s2, v6
	v_lshlrev_b64 v[4:5], 6, v[0:1]
	v_cmp_lt_i32_e64 s0, v0, v22
	v_add_co_u32 v4, vcc_lo, s14, v4
	v_add_co_ci_u32_e64 v5, null, s15, v5, vcc_lo
	s_cbranch_scc1 .LBB152_25
; %bb.14:
	v_mov_b32_e32 v6, 0
	v_mov_b32_e32 v13, 0
	v_mov_b32_e32 v15, 0
	v_mov_b32_e32 v11, 0
	v_mov_b32_e32 v7, 0
	v_mov_b32_e32 v14, 0
	v_mov_b32_e32 v16, 0
	v_mov_b32_e32 v12, 0
	s_and_saveexec_b32 s3, s0
	s_cbranch_execz .LBB152_24
; %bb.15:
	v_add_nc_u32_e32 v1, v23, v21
	v_not_b32_e32 v6, v23
	v_mov_b32_e32 v11, 0
	v_mov_b32_e32 v15, 0
	;; [unrolled: 1-line block ×3, first 2 shown]
	v_subrev_nc_u32_e32 v1, s2, v1
	v_mov_b32_e32 v12, 0
	v_mov_b32_e32 v16, 0
	;; [unrolled: 1-line block ×4, first 2 shown]
	v_add_nc_u32_e32 v1, 16, v1
	v_max_i32_e32 v1, v1, v22
	v_add3_u32 v1, s2, v1, v6
	v_mov_b32_e32 v6, 0
	v_mov_b32_e32 v7, 0
	v_sub_nc_u32_e32 v1, v1, v21
	v_and_b32_e32 v17, 48, v1
	v_cmp_ne_u32_e32 vcc_lo, 48, v17
	v_mov_b32_e32 v18, v5
	v_mov_b32_e32 v17, v4
	s_and_saveexec_b32 s1, vcc_lo
	s_cbranch_execz .LBB152_19
; %bb.16:
	v_lshrrev_b32_e32 v6, 4, v1
	v_mov_b32_e32 v18, v5
	v_mov_b32_e32 v13, 0
	;; [unrolled: 1-line block ×4, first 2 shown]
	v_add_nc_u32_e32 v11, 1, v6
	v_mov_b32_e32 v6, 0
	v_mov_b32_e32 v7, 0
	v_mov_b32_e32 v14, 0
	v_mov_b32_e32 v16, 0
	v_and_b32_e32 v19, 3, v11
	v_mov_b32_e32 v11, 0
	v_mov_b32_e32 v12, 0
	s_mov_b32 s8, 0
	v_sub_nc_u32_e32 v24, 0, v19
	v_mov_b32_e32 v19, v0
.LBB152_17:                             ; =>This Inner Loop Header: Depth=1
	v_ashrrev_i32_e32 v20, 31, v19
	v_add_co_u32 v24, s9, v24, 1
	s_or_b32 s8, s9, s8
	v_lshlrev_b64 v[25:26], 2, v[19:20]
	v_add_nc_u32_e32 v19, 16, v19
	v_add_co_u32 v25, vcc_lo, s12, v25
	v_add_co_ci_u32_e64 v26, null, s13, v26, vcc_lo
	global_load_dword v20, v[25:26], off
	s_clause 0x3
	global_load_dwordx4 v[25:28], v[17:18], off offset:48
	global_load_dwordx4 v[29:32], v[17:18], off offset:32
	;; [unrolled: 1-line block ×3, first 2 shown]
	global_load_dwordx4 v[37:40], v[17:18], off
	s_waitcnt vmcnt(4)
	v_subrev_nc_u32_e32 v20, s2, v20
	s_waitcnt vmcnt(3)
	v_cvt_f64_f32_e32 v[55:56], v25
	s_waitcnt vmcnt(2)
	v_cvt_f64_f32_e32 v[53:54], v29
	;; [unrolled: 2-line block ×4, first 2 shown]
	v_lshlrev_b32_e32 v41, 2, v20
	v_cvt_f64_f32_e32 v[37:38], v38
	v_cvt_f64_f32_e32 v[33:34], v34
	;; [unrolled: 1-line block ×4, first 2 shown]
	v_ashrrev_i32_e32 v42, 31, v41
	v_lshlrev_b64 v[41:42], 3, v[41:42]
	v_add_co_u32 v45, vcc_lo, s6, v41
	v_add_co_ci_u32_e64 v46, null, s7, v42, vcc_lo
	v_add_co_u32 v17, vcc_lo, 0x400, v17
	v_add_co_ci_u32_e64 v18, null, 0, v18, vcc_lo
	s_clause 0x1
	global_load_dwordx4 v[41:44], v[45:46], off
	global_load_dwordx4 v[45:48], v[45:46], off offset:16
	s_waitcnt vmcnt(1)
	v_fma_f64 v[11:12], v[49:50], v[41:42], v[11:12]
	v_fma_f64 v[15:16], v[51:52], v[41:42], v[15:16]
	;; [unrolled: 1-line block ×4, first 2 shown]
	v_cvt_f64_f32_e32 v[41:42], v39
	v_cvt_f64_f32_e32 v[49:50], v35
	;; [unrolled: 1-line block ×6, first 2 shown]
	v_fma_f64 v[11:12], v[37:38], v[43:44], v[11:12]
	v_fma_f64 v[15:16], v[33:34], v[43:44], v[15:16]
	;; [unrolled: 1-line block ×4, first 2 shown]
	v_cvt_f64_f32_e32 v[25:26], v40
	v_cvt_f64_f32_e32 v[29:30], v36
	s_waitcnt vmcnt(0)
	v_fma_f64 v[11:12], v[41:42], v[45:46], v[11:12]
	v_fma_f64 v[15:16], v[49:50], v[45:46], v[15:16]
	;; [unrolled: 1-line block ×8, first 2 shown]
	s_andn2_b32 exec_lo, exec_lo, s8
	s_cbranch_execnz .LBB152_17
; %bb.18:
	s_or_b32 exec_lo, exec_lo, s8
.LBB152_19:
	s_or_b32 exec_lo, exec_lo, s1
	s_mov_b32 s8, exec_lo
	v_cmpx_lt_u32_e32 47, v1
	s_cbranch_execz .LBB152_23
; %bb.20:
	s_mov_b32 s9, 0
.LBB152_21:                             ; =>This Inner Loop Header: Depth=1
	v_ashrrev_i32_e32 v20, 31, v19
	v_lshlrev_b64 v[24:25], 2, v[19:20]
	v_add_nc_u32_e32 v19, 64, v19
	v_add_co_u32 v56, vcc_lo, s12, v24
	v_add_co_ci_u32_e64 v57, null, s13, v25, vcc_lo
	s_clause 0x1
	global_load_dword v1, v[56:57], off
	global_load_dword v20, v[56:57], off offset:64
	s_clause 0x7
	global_load_dwordx4 v[24:27], v[17:18], off
	global_load_dwordx4 v[28:31], v[17:18], off offset:16
	global_load_dwordx4 v[32:35], v[17:18], off offset:48
	;; [unrolled: 1-line block ×7, first 2 shown]
	s_clause 0x1
	global_load_dword v108, v[56:57], off offset:128
	global_load_dword v109, v[56:57], off offset:192
	s_waitcnt vmcnt(11)
	v_subrev_nc_u32_e32 v1, s2, v1
	s_waitcnt vmcnt(10)
	v_subrev_nc_u32_e32 v20, s2, v20
	s_waitcnt vmcnt(9)
	v_cvt_f64_f32_e32 v[78:79], v24
	v_cvt_f64_f32_e32 v[80:81], v25
	;; [unrolled: 1-line block ×3, first 2 shown]
	v_lshlrev_b32_e32 v56, 2, v1
	v_lshlrev_b32_e32 v64, 2, v20
	v_cvt_f64_f32_e32 v[88:89], v27
	s_waitcnt vmcnt(6)
	v_cvt_f64_f32_e32 v[96:97], v36
	v_cvt_f64_f32_e32 v[86:87], v28
	v_ashrrev_i32_e32 v57, 31, v56
	v_ashrrev_i32_e32 v65, 31, v64
	s_waitcnt vmcnt(1)
	v_subrev_nc_u32_e32 v1, s2, v108
	v_cvt_f64_f32_e32 v[90:91], v29
	v_cvt_f64_f32_e32 v[92:93], v30
	v_lshlrev_b64 v[56:57], 3, v[56:57]
	v_lshlrev_b64 v[64:65], 3, v[64:65]
	v_lshlrev_b32_e32 v28, 2, v1
	v_cvt_f64_f32_e32 v[94:95], v31
	v_cvt_f64_f32_e32 v[98:99], v38
	;; [unrolled: 1-line block ×3, first 2 shown]
	v_add_co_u32 v60, vcc_lo, s6, v56
	v_add_co_ci_u32_e64 v61, null, s7, v57, vcc_lo
	v_add_co_u32 v76, vcc_lo, s6, v64
	v_add_co_ci_u32_e64 v77, null, s7, v65, vcc_lo
	s_clause 0x1
	global_load_dwordx4 v[56:59], v[60:61], off
	global_load_dwordx4 v[60:63], v[60:61], off offset:16
	v_add_co_u32 v84, vcc_lo, 0x800, v17
	global_load_dwordx4 v[64:67], v[76:77], off
	v_add_co_ci_u32_e64 v85, null, 0, v18, vcc_lo
	s_clause 0x1
	global_load_dwordx4 v[68:71], v[84:85], off
	global_load_dwordx4 v[72:75], v[84:85], off offset:16
	global_load_dwordx4 v[24:27], v[76:77], off offset:16
	v_ashrrev_i32_e32 v29, 31, v28
	v_cvt_f64_f32_e32 v[38:39], v32
	v_cvt_f64_f32_e32 v[102:103], v33
	;; [unrolled: 1-line block ×4, first 2 shown]
	v_lshlrev_b64 v[28:29], 3, v[28:29]
	v_cvt_f64_f32_e32 v[36:37], v37
	s_waitcnt vmcnt(6)
	v_subrev_nc_u32_e32 v1, s2, v109
	v_add_co_u32 v17, s1, 0x1000, v17
	v_add_co_ci_u32_e64 v18, null, 0, v18, s1
	v_add_co_u32 v76, vcc_lo, s6, v28
	v_add_co_ci_u32_e64 v77, null, s7, v29, vcc_lo
	global_load_dwordx4 v[28:31], v[84:85], off offset:32
	s_waitcnt vmcnt(6)
	v_fma_f64 v[32:33], v[78:79], v[56:57], v[11:12]
	v_fma_f64 v[78:79], v[96:97], v[56:57], v[13:14]
	global_load_dwordx4 v[11:14], v[84:85], off offset:48
	v_fma_f64 v[15:16], v[86:87], v[56:57], v[15:16]
	v_fma_f64 v[6:7], v[38:39], v[56:57], v[6:7]
	;; [unrolled: 1-line block ×3, first 2 shown]
	global_load_dwordx4 v[32:35], v[76:77], off
	v_fma_f64 v[86:87], v[36:37], v[58:59], v[78:79]
	v_fma_f64 v[15:16], v[90:91], v[58:59], v[15:16]
	;; [unrolled: 1-line block ×3, first 2 shown]
	global_load_dwordx4 v[56:59], v[76:77], off offset:16
	v_lshlrev_b32_e32 v78, 2, v1
	global_load_dwordx4 v[36:39], v[84:85], off offset:1056
	v_ashrrev_i32_e32 v79, 31, v78
	v_lshlrev_b64 v[76:77], 3, v[78:79]
	v_add_co_u32 v96, vcc_lo, s6, v76
	v_add_co_ci_u32_e64 v97, null, s7, v77, vcc_lo
	s_waitcnt vmcnt(9)
	v_fma_f64 v[90:91], v[82:83], v[60:61], v[80:81]
	s_clause 0x1
	global_load_dwordx4 v[76:79], v[84:85], off offset:1024
	global_load_dwordx4 v[80:83], v[84:85], off offset:1040
	v_fma_f64 v[15:16], v[92:93], v[60:61], v[15:16]
	v_fma_f64 v[92:93], v[98:99], v[60:61], v[86:87]
	global_load_dwordx4 v[84:87], v[84:85], off offset:1072
	v_fma_f64 v[6:7], v[104:105], v[60:61], v[6:7]
	v_cmp_ge_i32_e32 vcc_lo, v19, v22
	s_or_b32 s9, vcc_lo, s9
	v_fma_f64 v[60:61], v[88:89], v[62:63], v[90:91]
	global_load_dwordx4 v[88:91], v[96:97], off
	v_fma_f64 v[15:16], v[94:95], v[62:63], v[15:16]
	v_fma_f64 v[98:99], v[100:101], v[62:63], v[92:93]
	global_load_dwordx4 v[92:95], v[96:97], off offset:16
	v_fma_f64 v[6:7], v[106:107], v[62:63], v[6:7]
	v_cvt_f64_f32_e32 v[62:63], v52
	v_cvt_f64_f32_e32 v[96:97], v48
	;; [unrolled: 1-line block ×6, first 2 shown]
	s_waitcnt vmcnt(13)
	v_fma_f64 v[60:61], v[62:63], v[64:65], v[60:61]
	v_cvt_f64_f32_e32 v[62:63], v40
	v_fma_f64 v[15:16], v[96:97], v[64:65], v[15:16]
	v_fma_f64 v[96:97], v[100:101], v[64:65], v[98:99]
	v_cvt_f64_f32_e32 v[40:41], v41
	v_fma_f64 v[52:53], v[52:53], v[66:67], v[60:61]
	v_fma_f64 v[6:7], v[62:63], v[64:65], v[6:7]
	;; [unrolled: 1-line block ×3, first 2 shown]
	v_cvt_f64_f32_e32 v[48:49], v54
	v_fma_f64 v[44:45], v[44:45], v[66:67], v[96:97]
	v_cvt_f64_f32_e32 v[60:61], v50
	v_cvt_f64_f32_e32 v[62:63], v42
	;; [unrolled: 1-line block ×5, first 2 shown]
	v_fma_f64 v[6:7], v[40:41], v[66:67], v[6:7]
	v_cvt_f64_f32_e32 v[40:41], v46
	v_cvt_f64_f32_e32 v[46:47], v47
	s_waitcnt vmcnt(10)
	v_fma_f64 v[48:49], v[48:49], v[24:25], v[52:53]
	v_fma_f64 v[15:16], v[60:61], v[24:25], v[15:16]
	s_waitcnt vmcnt(9)
	v_cvt_f64_f32_e32 v[52:53], v28
	v_cvt_f64_f32_e32 v[28:29], v29
	v_fma_f64 v[6:7], v[62:63], v[24:25], v[6:7]
	v_fma_f64 v[40:41], v[40:41], v[24:25], v[44:45]
	v_cvt_f64_f32_e32 v[24:25], v68
	v_cvt_f64_f32_e32 v[44:45], v72
	v_fma_f64 v[48:49], v[54:55], v[26:27], v[48:49]
	v_fma_f64 v[15:16], v[50:51], v[26:27], v[15:16]
	v_fma_f64 v[6:7], v[42:43], v[26:27], v[6:7]
	v_fma_f64 v[40:41], v[46:47], v[26:27], v[40:41]
	v_cvt_f64_f32_e32 v[26:27], v69
	v_cvt_f64_f32_e32 v[42:43], v73
	;; [unrolled: 1-line block ×4, first 2 shown]
	s_waitcnt vmcnt(8)
	v_cvt_f64_f32_e32 v[60:61], v11
	v_cvt_f64_f32_e32 v[11:12], v12
	s_waitcnt vmcnt(7)
	v_fma_f64 v[24:25], v[24:25], v[32:33], v[48:49]
	v_fma_f64 v[15:16], v[44:45], v[32:33], v[15:16]
	;; [unrolled: 1-line block ×4, first 2 shown]
	v_cvt_f64_f32_e32 v[32:33], v70
	v_cvt_f64_f32_e32 v[44:45], v74
	;; [unrolled: 1-line block ×4, first 2 shown]
	v_fma_f64 v[24:25], v[26:27], v[34:35], v[24:25]
	v_fma_f64 v[15:16], v[42:43], v[34:35], v[15:16]
	;; [unrolled: 1-line block ×4, first 2 shown]
	v_cvt_f64_f32_e32 v[11:12], v71
	v_cvt_f64_f32_e32 v[28:29], v75
	s_waitcnt vmcnt(3)
	v_cvt_f64_f32_e32 v[34:35], v80
	v_cvt_f64_f32_e32 v[40:41], v36
	s_waitcnt vmcnt(2)
	v_cvt_f64_f32_e32 v[42:43], v84
	v_fma_f64 v[24:25], v[32:33], v[56:57], v[24:25]
	v_fma_f64 v[15:16], v[44:45], v[56:57], v[15:16]
	;; [unrolled: 1-line block ×4, first 2 shown]
	v_cvt_f64_f32_e32 v[32:33], v76
	v_fma_f64 v[11:12], v[11:12], v[58:59], v[24:25]
	v_fma_f64 v[15:16], v[28:29], v[58:59], v[15:16]
	v_fma_f64 v[24:25], v[30:31], v[58:59], v[26:27]
	v_fma_f64 v[6:7], v[13:14], v[58:59], v[6:7]
	v_cvt_f64_f32_e32 v[13:14], v77
	v_cvt_f64_f32_e32 v[26:27], v81
	;; [unrolled: 1-line block ×5, first 2 shown]
	s_waitcnt vmcnt(1)
	v_fma_f64 v[11:12], v[32:33], v[88:89], v[11:12]
	v_fma_f64 v[15:16], v[34:35], v[88:89], v[15:16]
	;; [unrolled: 1-line block ×4, first 2 shown]
	v_cvt_f64_f32_e32 v[32:33], v78
	v_cvt_f64_f32_e32 v[34:35], v82
	;; [unrolled: 1-line block ×3, first 2 shown]
	v_fma_f64 v[11:12], v[13:14], v[90:91], v[11:12]
	v_fma_f64 v[13:14], v[26:27], v[90:91], v[15:16]
	;; [unrolled: 1-line block ×4, first 2 shown]
	v_cvt_f64_f32_e32 v[24:25], v79
	v_cvt_f64_f32_e32 v[26:27], v83
	;; [unrolled: 1-line block ×4, first 2 shown]
	s_waitcnt vmcnt(0)
	v_fma_f64 v[11:12], v[32:33], v[92:93], v[11:12]
	v_fma_f64 v[13:14], v[34:35], v[92:93], v[13:14]
	;; [unrolled: 1-line block ×8, first 2 shown]
	s_andn2_b32 exec_lo, exec_lo, s9
	s_cbranch_execnz .LBB152_21
; %bb.22:
	s_or_b32 exec_lo, exec_lo, s9
.LBB152_23:
	s_or_b32 exec_lo, exec_lo, s8
.LBB152_24:
	s_or_b32 exec_lo, exec_lo, s3
	s_cbranch_execz .LBB152_26
	s_branch .LBB152_37
.LBB152_25:
                                        ; implicit-def: $vgpr6_vgpr7
                                        ; implicit-def: $vgpr13_vgpr14
                                        ; implicit-def: $vgpr15_vgpr16
                                        ; implicit-def: $vgpr11_vgpr12
.LBB152_26:
	v_mov_b32_e32 v6, 0
	v_mov_b32_e32 v13, 0
	;; [unrolled: 1-line block ×8, first 2 shown]
	s_and_saveexec_b32 s1, s0
	s_cbranch_execz .LBB152_36
; %bb.27:
	v_add_nc_u32_e32 v1, v23, v21
	v_not_b32_e32 v6, v23
	v_mov_b32_e32 v11, 0
	v_mov_b32_e32 v15, 0
	;; [unrolled: 1-line block ×3, first 2 shown]
	v_subrev_nc_u32_e32 v1, s2, v1
	v_mov_b32_e32 v12, 0
	v_mov_b32_e32 v16, 0
	;; [unrolled: 1-line block ×3, first 2 shown]
	s_mov_b32 s0, exec_lo
	v_add_nc_u32_e32 v1, 16, v1
	v_max_i32_e32 v1, v1, v22
	v_add3_u32 v1, s2, v1, v6
	v_mov_b32_e32 v6, 0
	v_mov_b32_e32 v7, 0
	v_sub_nc_u32_e32 v17, v1, v21
	v_and_b32_e32 v1, 48, v17
	v_cmpx_ne_u32_e32 48, v1
	s_cbranch_execz .LBB152_31
; %bb.28:
	v_lshrrev_b32_e32 v1, 4, v17
	v_mov_b32_e32 v6, 0
	v_mov_b32_e32 v13, 0
	v_mov_b32_e32 v15, 0
	v_mov_b32_e32 v11, 0
	v_add_nc_u32_e32 v1, 1, v1
	v_mov_b32_e32 v7, 0
	v_mov_b32_e32 v14, 0
	;; [unrolled: 1-line block ×4, first 2 shown]
	v_and_b32_e32 v1, 3, v1
	s_mov_b32 s3, 0
	v_sub_nc_u32_e32 v18, 0, v1
.LBB152_29:                             ; =>This Inner Loop Header: Depth=1
	v_ashrrev_i32_e32 v1, 31, v0
	v_add_co_u32 v18, s8, v18, 1
	s_or_b32 s3, s8, s3
	v_lshlrev_b64 v[19:20], 2, v[0:1]
	v_add_nc_u32_e32 v0, 16, v0
	v_add_co_u32 v19, vcc_lo, s12, v19
	v_add_co_ci_u32_e64 v20, null, s13, v20, vcc_lo
	global_load_dword v1, v[19:20], off
	s_clause 0x1
	global_load_dwordx4 v[23:26], v[4:5], off offset:16
	global_load_dwordx4 v[27:30], v[4:5], off
	s_waitcnt vmcnt(2)
	v_subrev_nc_u32_e32 v1, s2, v1
	s_waitcnt vmcnt(1)
	v_cvt_f64_f32_e32 v[49:50], v23
	s_waitcnt vmcnt(0)
	v_cvt_f64_f32_e32 v[47:48], v29
	v_cvt_f64_f32_e32 v[29:30], v30
	;; [unrolled: 1-line block ×3, first 2 shown]
	v_lshlrev_b32_e32 v19, 2, v1
	v_cvt_f64_f32_e32 v[51:52], v25
	v_cvt_f64_f32_e32 v[25:26], v26
	v_ashrrev_i32_e32 v20, 31, v19
	v_lshlrev_b64 v[19:20], 3, v[19:20]
	v_add_co_u32 v19, vcc_lo, s6, v19
	v_add_co_ci_u32_e64 v20, null, s7, v20, vcc_lo
	s_clause 0x1
	global_load_dwordx4 v[31:34], v[19:20], off
	global_load_dwordx4 v[35:38], v[19:20], off offset:16
	s_clause 0x1
	global_load_dwordx4 v[39:42], v[4:5], off offset:32
	global_load_dwordx4 v[43:46], v[4:5], off offset:48
	v_cvt_f64_f32_e32 v[19:20], v27
	v_cvt_f64_f32_e32 v[27:28], v28
	v_add_co_u32 v4, vcc_lo, 0x400, v4
	v_add_co_ci_u32_e64 v5, null, 0, v5, vcc_lo
	s_waitcnt vmcnt(3)
	v_fma_f64 v[11:12], v[19:20], v[31:32], v[11:12]
	v_fma_f64 v[15:16], v[27:28], v[31:32], v[15:16]
	;; [unrolled: 1-line block ×4, first 2 shown]
	s_waitcnt vmcnt(1)
	v_cvt_f64_f32_e32 v[19:20], v39
	v_cvt_f64_f32_e32 v[27:28], v40
	v_cvt_f64_f32_e32 v[29:30], v41
	v_cvt_f64_f32_e32 v[31:32], v42
	s_waitcnt vmcnt(0)
	v_cvt_f64_f32_e32 v[39:40], v46
	v_fma_f64 v[11:12], v[49:50], v[33:34], v[11:12]
	v_fma_f64 v[15:16], v[23:24], v[33:34], v[15:16]
	;; [unrolled: 1-line block ×4, first 2 shown]
	v_cvt_f64_f32_e32 v[23:24], v43
	v_cvt_f64_f32_e32 v[25:26], v44
	;; [unrolled: 1-line block ×3, first 2 shown]
	v_fma_f64 v[11:12], v[19:20], v[35:36], v[11:12]
	v_fma_f64 v[15:16], v[27:28], v[35:36], v[15:16]
	;; [unrolled: 1-line block ×8, first 2 shown]
	s_andn2_b32 exec_lo, exec_lo, s3
	s_cbranch_execnz .LBB152_29
; %bb.30:
	s_or_b32 exec_lo, exec_lo, s3
.LBB152_31:
	s_or_b32 exec_lo, exec_lo, s0
	s_mov_b32 s3, exec_lo
	v_cmpx_lt_u32_e32 47, v17
	s_cbranch_execz .LBB152_35
; %bb.32:
	s_mov_b32 s8, 0
.LBB152_33:                             ; =>This Inner Loop Header: Depth=1
	s_clause 0x6
	global_load_dwordx4 v[17:20], v[4:5], off
	global_load_dwordx4 v[23:26], v[4:5], off offset:16
	global_load_dwordx4 v[27:30], v[4:5], off offset:32
	;; [unrolled: 1-line block ×6, first 2 shown]
	v_ashrrev_i32_e32 v1, 31, v0
	global_load_dwordx4 v[47:50], v[4:5], off offset:1072
	v_lshlrev_b64 v[51:52], 2, v[0:1]
	v_add_nc_u32_e32 v0, 64, v0
	v_add_co_u32 v51, vcc_lo, s12, v51
	v_add_co_ci_u32_e64 v52, null, s13, v52, vcc_lo
	s_waitcnt vmcnt(7)
	v_cvt_f64_f32_e32 v[57:58], v19
	v_cvt_f64_f32_e32 v[59:60], v20
	s_clause 0x3
	global_load_dword v1, v[51:52], off
	global_load_dword v19, v[51:52], off offset:64
	global_load_dword v20, v[51:52], off offset:128
	global_load_dword v109, v[51:52], off offset:192
	v_cvt_f64_f32_e32 v[53:54], v17
	v_cvt_f64_f32_e32 v[55:56], v18
	s_waitcnt vmcnt(10)
	v_cvt_f64_f32_e32 v[61:62], v23
	v_cvt_f64_f32_e32 v[63:64], v24
	s_waitcnt vmcnt(9)
	;; [unrolled: 3-line block ×3, first 2 shown]
	v_cvt_f64_f32_e32 v[93:94], v39
	v_cvt_f64_f32_e32 v[65:66], v25
	;; [unrolled: 1-line block ×12, first 2 shown]
	s_waitcnt vmcnt(5)
	v_cvt_f64_f32_e32 v[101:102], v43
	v_cvt_f64_f32_e32 v[103:104], v44
	;; [unrolled: 1-line block ×8, first 2 shown]
	s_waitcnt vmcnt(3)
	v_subrev_nc_u32_e32 v1, s2, v1
	v_lshlrev_b32_e32 v17, 2, v1
	s_waitcnt vmcnt(2)
	v_subrev_nc_u32_e32 v1, s2, v19
	v_ashrrev_i32_e32 v18, 31, v17
	v_lshlrev_b64 v[17:18], 3, v[17:18]
	v_add_co_u32 v23, vcc_lo, s6, v17
	v_lshlrev_b32_e32 v17, 2, v1
	v_add_co_ci_u32_e64 v24, null, s7, v18, vcc_lo
	s_waitcnt vmcnt(1)
	v_subrev_nc_u32_e32 v1, s2, v20
	v_ashrrev_i32_e32 v18, 31, v17
	v_lshlrev_b64 v[17:18], 3, v[17:18]
	v_add_co_u32 v27, vcc_lo, s6, v17
	v_lshlrev_b32_e32 v17, 2, v1
	v_add_co_ci_u32_e64 v28, null, s7, v18, vcc_lo
	s_waitcnt vmcnt(0)
	v_subrev_nc_u32_e32 v1, s2, v109
	v_ashrrev_i32_e32 v18, 31, v17
	v_lshlrev_b64 v[17:18], 3, v[17:18]
	v_add_co_u32 v39, vcc_lo, s6, v17
	v_add_co_ci_u32_e64 v40, null, s7, v18, vcc_lo
	s_clause 0x1
	global_load_dwordx4 v[17:20], v[23:24], off
	global_load_dwordx4 v[23:26], v[23:24], off offset:16
	s_waitcnt vmcnt(1)
	v_fma_f64 v[11:12], v[53:54], v[17:18], v[11:12]
	v_fma_f64 v[15:16], v[55:56], v[17:18], v[15:16]
	v_fma_f64 v[13:14], v[57:58], v[17:18], v[13:14]
	v_fma_f64 v[6:7], v[59:60], v[17:18], v[6:7]
	v_add_co_u32 v55, vcc_lo, 0x800, v4
	v_add_co_ci_u32_e64 v56, null, 0, v5, vcc_lo
	v_cvt_f64_f32_e32 v[59:60], v47
	v_add_co_u32 v4, s0, 0x1000, v4
	v_add_co_ci_u32_e64 v5, null, 0, v5, s0
	v_fma_f64 v[29:30], v[61:62], v[19:20], v[11:12]
	v_fma_f64 v[31:32], v[63:64], v[19:20], v[15:16]
	;; [unrolled: 1-line block ×3, first 2 shown]
	s_clause 0x1
	global_load_dwordx4 v[11:14], v[27:28], off
	global_load_dwordx4 v[15:18], v[27:28], off offset:16
	v_fma_f64 v[6:7], v[67:68], v[19:20], v[6:7]
	global_load_dwordx4 v[35:38], v[39:40], off
	v_cvt_f64_f32_e32 v[63:64], v48
	v_cvt_f64_f32_e32 v[65:66], v49
	;; [unrolled: 1-line block ×3, first 2 shown]
	global_load_dwordx4 v[47:50], v[55:56], off offset:1024
	s_waitcnt vmcnt(4)
	v_fma_f64 v[19:20], v[69:70], v[23:24], v[29:30]
	global_load_dwordx4 v[27:30], v[55:56], off
	v_fma_f64 v[41:42], v[71:72], v[23:24], v[31:32]
	v_fma_f64 v[43:44], v[73:74], v[23:24], v[33:34]
	;; [unrolled: 1-line block ×3, first 2 shown]
	global_load_dwordx4 v[31:34], v[55:56], off offset:16
	v_fma_f64 v[19:20], v[77:78], v[25:26], v[19:20]
	v_fma_f64 v[45:46], v[79:80], v[25:26], v[41:42]
	;; [unrolled: 1-line block ×4, first 2 shown]
	global_load_dwordx4 v[23:26], v[55:56], off offset:32
	global_load_dwordx4 v[39:42], v[39:40], off offset:16
	s_waitcnt vmcnt(7)
	v_fma_f64 v[19:20], v[85:86], v[11:12], v[19:20]
	v_fma_f64 v[53:54], v[87:88], v[11:12], v[45:46]
	v_fma_f64 v[57:58], v[89:90], v[11:12], v[51:52]
	v_fma_f64 v[6:7], v[91:92], v[11:12], v[6:7]
	global_load_dwordx4 v[43:46], v[55:56], off offset:48
	s_waitcnt vmcnt(4)
	v_cvt_f64_f32_e32 v[69:70], v27
	v_fma_f64 v[11:12], v[93:94], v[13:14], v[19:20]
	v_fma_f64 v[19:20], v[95:96], v[13:14], v[53:54]
	;; [unrolled: 1-line block ×4, first 2 shown]
	v_lshlrev_b32_e32 v13, 2, v1
	global_load_dwordx4 v[51:54], v[55:56], off offset:1040
	v_cvt_f64_f32_e32 v[71:72], v28
	v_cvt_f64_f32_e32 v[73:74], v29
	;; [unrolled: 1-line block ×3, first 2 shown]
	v_ashrrev_i32_e32 v14, 31, v13
	global_load_dwordx4 v[27:30], v[55:56], off offset:1056
	v_lshlrev_b64 v[13:14], 3, v[13:14]
	v_add_co_u32 v61, vcc_lo, s6, v13
	v_add_co_ci_u32_e64 v62, null, s7, v14, vcc_lo
	v_fma_f64 v[77:78], v[101:102], v[15:16], v[11:12]
	v_fma_f64 v[19:20], v[103:104], v[15:16], v[19:20]
	;; [unrolled: 1-line block ×3, first 2 shown]
	global_load_dwordx4 v[11:14], v[61:62], off
	v_fma_f64 v[6:7], v[107:108], v[15:16], v[6:7]
	global_load_dwordx4 v[55:58], v[55:56], off offset:1072
	v_cmp_ge_i32_e32 vcc_lo, v0, v22
	s_or_b32 s8, vcc_lo, s8
	v_fma_f64 v[15:16], v[59:60], v[17:18], v[77:78]
	global_load_dwordx4 v[59:62], v[61:62], off offset:16
	v_fma_f64 v[19:20], v[63:64], v[17:18], v[19:20]
	v_fma_f64 v[63:64], v[65:66], v[17:18], v[79:80]
	;; [unrolled: 1-line block ×3, first 2 shown]
	s_waitcnt vmcnt(8)
	v_cvt_f64_f32_e32 v[17:18], v31
	v_cvt_f64_f32_e32 v[31:32], v32
	;; [unrolled: 1-line block ×4, first 2 shown]
	s_waitcnt vmcnt(7)
	v_cvt_f64_f32_e32 v[67:68], v25
	v_cvt_f64_f32_e32 v[25:26], v26
	v_fma_f64 v[15:16], v[69:70], v[35:36], v[15:16]
	v_fma_f64 v[19:20], v[71:72], v[35:36], v[19:20]
	;; [unrolled: 1-line block ×4, first 2 shown]
	v_cvt_f64_f32_e32 v[35:36], v23
	v_cvt_f64_f32_e32 v[23:24], v24
	v_fma_f64 v[15:16], v[17:18], v[37:38], v[15:16]
	v_fma_f64 v[17:18], v[31:32], v[37:38], v[19:20]
	;; [unrolled: 1-line block ×4, first 2 shown]
	s_waitcnt vmcnt(6)
	v_fma_f64 v[15:16], v[35:36], v[39:40], v[15:16]
	v_cvt_f64_f32_e32 v[35:36], v49
	v_fma_f64 v[17:18], v[23:24], v[39:40], v[17:18]
	v_fma_f64 v[19:20], v[67:68], v[39:40], v[19:20]
	;; [unrolled: 1-line block ×3, first 2 shown]
	v_cvt_f64_f32_e32 v[23:24], v47
	v_cvt_f64_f32_e32 v[25:26], v48
	v_cvt_f64_f32_e32 v[39:40], v50
	s_waitcnt vmcnt(5)
	v_cvt_f64_f32_e32 v[31:32], v43
	v_cvt_f64_f32_e32 v[33:34], v44
	v_cvt_f64_f32_e32 v[37:38], v45
	v_cvt_f64_f32_e32 v[43:44], v46
	v_fma_f64 v[15:16], v[31:32], v[41:42], v[15:16]
	v_fma_f64 v[17:18], v[33:34], v[41:42], v[17:18]
	v_fma_f64 v[19:20], v[37:38], v[41:42], v[19:20]
	v_fma_f64 v[6:7], v[43:44], v[41:42], v[6:7]
	s_waitcnt vmcnt(4)
	v_cvt_f64_f32_e32 v[31:32], v51
	v_cvt_f64_f32_e32 v[33:34], v52
	;; [unrolled: 1-line block ×4, first 2 shown]
	s_waitcnt vmcnt(2)
	v_fma_f64 v[15:16], v[23:24], v[11:12], v[15:16]
	v_fma_f64 v[17:18], v[25:26], v[11:12], v[17:18]
	;; [unrolled: 1-line block ×4, first 2 shown]
	v_cvt_f64_f32_e32 v[11:12], v27
	v_cvt_f64_f32_e32 v[23:24], v28
	v_cvt_f64_f32_e32 v[25:26], v29
	v_cvt_f64_f32_e32 v[27:28], v30
	s_waitcnt vmcnt(1)
	v_cvt_f64_f32_e32 v[29:30], v56
	v_fma_f64 v[15:16], v[31:32], v[13:14], v[15:16]
	v_fma_f64 v[17:18], v[33:34], v[13:14], v[17:18]
	;; [unrolled: 1-line block ×4, first 2 shown]
	v_cvt_f64_f32_e32 v[13:14], v55
	v_cvt_f64_f32_e32 v[31:32], v57
	;; [unrolled: 1-line block ×3, first 2 shown]
	s_waitcnt vmcnt(0)
	v_fma_f64 v[11:12], v[11:12], v[59:60], v[15:16]
	v_fma_f64 v[15:16], v[23:24], v[59:60], v[17:18]
	;; [unrolled: 1-line block ×8, first 2 shown]
	s_andn2_b32 exec_lo, exec_lo, s8
	s_cbranch_execnz .LBB152_33
; %bb.34:
	s_or_b32 exec_lo, exec_lo, s8
.LBB152_35:
	s_or_b32 exec_lo, exec_lo, s3
.LBB152_36:
	s_or_b32 exec_lo, exec_lo, s1
.LBB152_37:
	v_mbcnt_lo_u32_b32 v24, -1, 0
	v_xor_b32_e32 v0, 8, v24
	v_cmp_gt_i32_e32 vcc_lo, 32, v0
	v_cndmask_b32_e32 v0, v24, v0, vcc_lo
	v_lshlrev_b32_e32 v20, 2, v0
	ds_bpermute_b32 v0, v20, v11
	ds_bpermute_b32 v1, v20, v12
	;; [unrolled: 1-line block ×8, first 2 shown]
	s_waitcnt lgkmcnt(6)
	v_add_f64 v[0:1], v[11:12], v[0:1]
	s_waitcnt lgkmcnt(4)
	v_add_f64 v[4:5], v[15:16], v[4:5]
	;; [unrolled: 2-line block ×3, first 2 shown]
	v_xor_b32_e32 v13, 4, v24
	s_waitcnt lgkmcnt(0)
	v_add_f64 v[6:7], v[6:7], v[19:20]
	v_cmp_gt_i32_e32 vcc_lo, 32, v13
	v_cndmask_b32_e32 v13, v24, v13, vcc_lo
	v_lshlrev_b32_e32 v20, 2, v13
	ds_bpermute_b32 v13, v20, v0
	ds_bpermute_b32 v14, v20, v1
	;; [unrolled: 1-line block ×8, first 2 shown]
	s_waitcnt lgkmcnt(6)
	v_add_f64 v[0:1], v[0:1], v[13:14]
	s_waitcnt lgkmcnt(4)
	v_add_f64 v[4:5], v[4:5], v[15:16]
	;; [unrolled: 2-line block ×4, first 2 shown]
	v_xor_b32_e32 v6, 2, v24
	v_cmp_gt_i32_e32 vcc_lo, 32, v6
	v_cndmask_b32_e32 v6, v24, v6, vcc_lo
	v_lshlrev_b32_e32 v11, 2, v6
	ds_bpermute_b32 v6, v11, v0
	ds_bpermute_b32 v7, v11, v1
	ds_bpermute_b32 v17, v11, v4
	ds_bpermute_b32 v18, v11, v5
	ds_bpermute_b32 v19, v11, v13
	ds_bpermute_b32 v20, v11, v14
	ds_bpermute_b32 v22, v11, v15
	ds_bpermute_b32 v23, v11, v16
	s_waitcnt lgkmcnt(6)
	v_add_f64 v[11:12], v[0:1], v[6:7]
	s_waitcnt lgkmcnt(4)
	v_add_f64 v[6:7], v[4:5], v[17:18]
	;; [unrolled: 2-line block ×3, first 2 shown]
	v_xor_b32_e32 v13, 1, v24
	s_waitcnt lgkmcnt(0)
	v_add_f64 v[4:5], v[15:16], v[22:23]
	v_cmp_gt_i32_e32 vcc_lo, 32, v13
	v_cndmask_b32_e32 v13, v24, v13, vcc_lo
	v_cmp_eq_u32_e32 vcc_lo, 15, v21
	v_lshlrev_b32_e32 v14, 2, v13
	ds_bpermute_b32 v19, v14, v11
	ds_bpermute_b32 v20, v14, v12
	;; [unrolled: 1-line block ×8, first 2 shown]
	s_and_b32 exec_lo, exec_lo, vcc_lo
	s_cbranch_execz .LBB152_10
; %bb.38:
	s_waitcnt lgkmcnt(6)
	v_add_f64 v[11:12], v[11:12], v[19:20]
	s_waitcnt lgkmcnt(4)
	v_add_f64 v[6:7], v[6:7], v[17:18]
	;; [unrolled: 2-line block ×4, first 2 shown]
	s_load_dwordx2 s[0:1], s[4:5], 0x50
	v_lshlrev_b32_e32 v10, 2, v10
	s_mov_b32 s2, exec_lo
	v_mul_f64 v[4:5], v[2:3], v[11:12]
	v_mul_f64 v[6:7], v[2:3], v[6:7]
	;; [unrolled: 1-line block ×4, first 2 shown]
	v_cmpx_eq_f64_e32 0, v[8:9]
	s_xor_b32 s2, exec_lo, s2
	s_cbranch_execz .LBB152_40
; %bb.39:
	v_ashrrev_i32_e32 v11, 31, v10
	v_lshlrev_b64 v[8:9], 3, v[10:11]
                                        ; implicit-def: $vgpr10
	s_waitcnt lgkmcnt(0)
	v_add_co_u32 v8, vcc_lo, s0, v8
	v_add_co_ci_u32_e64 v9, null, s1, v9, vcc_lo
	global_store_dwordx4 v[8:9], v[4:7], off
	global_store_dwordx4 v[8:9], v[0:3], off offset:16
                                        ; implicit-def: $vgpr8_vgpr9
                                        ; implicit-def: $vgpr4_vgpr5
                                        ; implicit-def: $vgpr0_vgpr1
.LBB152_40:
	s_andn2_saveexec_b32 s2, s2
	s_cbranch_execz .LBB152_10
; %bb.41:
	v_ashrrev_i32_e32 v11, 31, v10
	v_lshlrev_b64 v[10:11], 3, v[10:11]
	s_waitcnt lgkmcnt(0)
	v_add_co_u32 v18, vcc_lo, s0, v10
	v_add_co_ci_u32_e64 v19, null, s1, v11, vcc_lo
	s_clause 0x1
	global_load_dwordx4 v[10:13], v[18:19], off
	global_load_dwordx4 v[14:17], v[18:19], off offset:16
	s_waitcnt vmcnt(1)
	v_fma_f64 v[4:5], v[8:9], v[10:11], v[4:5]
	v_fma_f64 v[6:7], v[8:9], v[12:13], v[6:7]
	s_waitcnt vmcnt(0)
	v_fma_f64 v[0:1], v[8:9], v[14:15], v[0:1]
	v_fma_f64 v[2:3], v[8:9], v[16:17], v[2:3]
	global_store_dwordx4 v[18:19], v[4:7], off
	global_store_dwordx4 v[18:19], v[0:3], off offset:16
	s_endpgm
	.section	.rodata,"a",@progbits
	.p2align	6, 0x0
	.amdhsa_kernel _ZN9rocsparseL18bsrxmvn_4x4_kernelILj128ELj16EdiifddEEvT3_20rocsparse_direction_NS_24const_host_device_scalarIT1_EES1_PKS1_PKT2_SA_S7_PKT4_PKT5_S5_PT6_21rocsparse_index_base_b
		.amdhsa_group_segment_fixed_size 0
		.amdhsa_private_segment_fixed_size 0
		.amdhsa_kernarg_size 96
		.amdhsa_user_sgpr_count 6
		.amdhsa_user_sgpr_private_segment_buffer 1
		.amdhsa_user_sgpr_dispatch_ptr 0
		.amdhsa_user_sgpr_queue_ptr 0
		.amdhsa_user_sgpr_kernarg_segment_ptr 1
		.amdhsa_user_sgpr_dispatch_id 0
		.amdhsa_user_sgpr_flat_scratch_init 0
		.amdhsa_user_sgpr_private_segment_size 0
		.amdhsa_wavefront_size32 1
		.amdhsa_uses_dynamic_stack 0
		.amdhsa_system_sgpr_private_segment_wavefront_offset 0
		.amdhsa_system_sgpr_workgroup_id_x 1
		.amdhsa_system_sgpr_workgroup_id_y 0
		.amdhsa_system_sgpr_workgroup_id_z 0
		.amdhsa_system_sgpr_workgroup_info 0
		.amdhsa_system_vgpr_workitem_id 0
		.amdhsa_next_free_vgpr 110
		.amdhsa_next_free_sgpr 16
		.amdhsa_reserve_vcc 1
		.amdhsa_reserve_flat_scratch 0
		.amdhsa_float_round_mode_32 0
		.amdhsa_float_round_mode_16_64 0
		.amdhsa_float_denorm_mode_32 3
		.amdhsa_float_denorm_mode_16_64 3
		.amdhsa_dx10_clamp 1
		.amdhsa_ieee_mode 1
		.amdhsa_fp16_overflow 0
		.amdhsa_workgroup_processor_mode 1
		.amdhsa_memory_ordered 1
		.amdhsa_forward_progress 1
		.amdhsa_shared_vgpr_count 0
		.amdhsa_exception_fp_ieee_invalid_op 0
		.amdhsa_exception_fp_denorm_src 0
		.amdhsa_exception_fp_ieee_div_zero 0
		.amdhsa_exception_fp_ieee_overflow 0
		.amdhsa_exception_fp_ieee_underflow 0
		.amdhsa_exception_fp_ieee_inexact 0
		.amdhsa_exception_int_div_zero 0
	.end_amdhsa_kernel
	.section	.text._ZN9rocsparseL18bsrxmvn_4x4_kernelILj128ELj16EdiifddEEvT3_20rocsparse_direction_NS_24const_host_device_scalarIT1_EES1_PKS1_PKT2_SA_S7_PKT4_PKT5_S5_PT6_21rocsparse_index_base_b,"axG",@progbits,_ZN9rocsparseL18bsrxmvn_4x4_kernelILj128ELj16EdiifddEEvT3_20rocsparse_direction_NS_24const_host_device_scalarIT1_EES1_PKS1_PKT2_SA_S7_PKT4_PKT5_S5_PT6_21rocsparse_index_base_b,comdat
.Lfunc_end152:
	.size	_ZN9rocsparseL18bsrxmvn_4x4_kernelILj128ELj16EdiifddEEvT3_20rocsparse_direction_NS_24const_host_device_scalarIT1_EES1_PKS1_PKT2_SA_S7_PKT4_PKT5_S5_PT6_21rocsparse_index_base_b, .Lfunc_end152-_ZN9rocsparseL18bsrxmvn_4x4_kernelILj128ELj16EdiifddEEvT3_20rocsparse_direction_NS_24const_host_device_scalarIT1_EES1_PKS1_PKT2_SA_S7_PKT4_PKT5_S5_PT6_21rocsparse_index_base_b
                                        ; -- End function
	.set _ZN9rocsparseL18bsrxmvn_4x4_kernelILj128ELj16EdiifddEEvT3_20rocsparse_direction_NS_24const_host_device_scalarIT1_EES1_PKS1_PKT2_SA_S7_PKT4_PKT5_S5_PT6_21rocsparse_index_base_b.num_vgpr, 110
	.set _ZN9rocsparseL18bsrxmvn_4x4_kernelILj128ELj16EdiifddEEvT3_20rocsparse_direction_NS_24const_host_device_scalarIT1_EES1_PKS1_PKT2_SA_S7_PKT4_PKT5_S5_PT6_21rocsparse_index_base_b.num_agpr, 0
	.set _ZN9rocsparseL18bsrxmvn_4x4_kernelILj128ELj16EdiifddEEvT3_20rocsparse_direction_NS_24const_host_device_scalarIT1_EES1_PKS1_PKT2_SA_S7_PKT4_PKT5_S5_PT6_21rocsparse_index_base_b.numbered_sgpr, 16
	.set _ZN9rocsparseL18bsrxmvn_4x4_kernelILj128ELj16EdiifddEEvT3_20rocsparse_direction_NS_24const_host_device_scalarIT1_EES1_PKS1_PKT2_SA_S7_PKT4_PKT5_S5_PT6_21rocsparse_index_base_b.num_named_barrier, 0
	.set _ZN9rocsparseL18bsrxmvn_4x4_kernelILj128ELj16EdiifddEEvT3_20rocsparse_direction_NS_24const_host_device_scalarIT1_EES1_PKS1_PKT2_SA_S7_PKT4_PKT5_S5_PT6_21rocsparse_index_base_b.private_seg_size, 0
	.set _ZN9rocsparseL18bsrxmvn_4x4_kernelILj128ELj16EdiifddEEvT3_20rocsparse_direction_NS_24const_host_device_scalarIT1_EES1_PKS1_PKT2_SA_S7_PKT4_PKT5_S5_PT6_21rocsparse_index_base_b.uses_vcc, 1
	.set _ZN9rocsparseL18bsrxmvn_4x4_kernelILj128ELj16EdiifddEEvT3_20rocsparse_direction_NS_24const_host_device_scalarIT1_EES1_PKS1_PKT2_SA_S7_PKT4_PKT5_S5_PT6_21rocsparse_index_base_b.uses_flat_scratch, 0
	.set _ZN9rocsparseL18bsrxmvn_4x4_kernelILj128ELj16EdiifddEEvT3_20rocsparse_direction_NS_24const_host_device_scalarIT1_EES1_PKS1_PKT2_SA_S7_PKT4_PKT5_S5_PT6_21rocsparse_index_base_b.has_dyn_sized_stack, 0
	.set _ZN9rocsparseL18bsrxmvn_4x4_kernelILj128ELj16EdiifddEEvT3_20rocsparse_direction_NS_24const_host_device_scalarIT1_EES1_PKS1_PKT2_SA_S7_PKT4_PKT5_S5_PT6_21rocsparse_index_base_b.has_recursion, 0
	.set _ZN9rocsparseL18bsrxmvn_4x4_kernelILj128ELj16EdiifddEEvT3_20rocsparse_direction_NS_24const_host_device_scalarIT1_EES1_PKS1_PKT2_SA_S7_PKT4_PKT5_S5_PT6_21rocsparse_index_base_b.has_indirect_call, 0
	.section	.AMDGPU.csdata,"",@progbits
; Kernel info:
; codeLenInByte = 5136
; TotalNumSgprs: 18
; NumVgprs: 110
; ScratchSize: 0
; MemoryBound: 0
; FloatMode: 240
; IeeeMode: 1
; LDSByteSize: 0 bytes/workgroup (compile time only)
; SGPRBlocks: 0
; VGPRBlocks: 13
; NumSGPRsForWavesPerEU: 18
; NumVGPRsForWavesPerEU: 110
; Occupancy: 9
; WaveLimiterHint : 1
; COMPUTE_PGM_RSRC2:SCRATCH_EN: 0
; COMPUTE_PGM_RSRC2:USER_SGPR: 6
; COMPUTE_PGM_RSRC2:TRAP_HANDLER: 0
; COMPUTE_PGM_RSRC2:TGID_X_EN: 1
; COMPUTE_PGM_RSRC2:TGID_Y_EN: 0
; COMPUTE_PGM_RSRC2:TGID_Z_EN: 0
; COMPUTE_PGM_RSRC2:TIDIG_COMP_CNT: 0
	.section	.text._ZN9rocsparseL18bsrxmvn_4x4_kernelILj128ELj32EdiifddEEvT3_20rocsparse_direction_NS_24const_host_device_scalarIT1_EES1_PKS1_PKT2_SA_S7_PKT4_PKT5_S5_PT6_21rocsparse_index_base_b,"axG",@progbits,_ZN9rocsparseL18bsrxmvn_4x4_kernelILj128ELj32EdiifddEEvT3_20rocsparse_direction_NS_24const_host_device_scalarIT1_EES1_PKS1_PKT2_SA_S7_PKT4_PKT5_S5_PT6_21rocsparse_index_base_b,comdat
	.globl	_ZN9rocsparseL18bsrxmvn_4x4_kernelILj128ELj32EdiifddEEvT3_20rocsparse_direction_NS_24const_host_device_scalarIT1_EES1_PKS1_PKT2_SA_S7_PKT4_PKT5_S5_PT6_21rocsparse_index_base_b ; -- Begin function _ZN9rocsparseL18bsrxmvn_4x4_kernelILj128ELj32EdiifddEEvT3_20rocsparse_direction_NS_24const_host_device_scalarIT1_EES1_PKS1_PKT2_SA_S7_PKT4_PKT5_S5_PT6_21rocsparse_index_base_b
	.p2align	8
	.type	_ZN9rocsparseL18bsrxmvn_4x4_kernelILj128ELj32EdiifddEEvT3_20rocsparse_direction_NS_24const_host_device_scalarIT1_EES1_PKS1_PKT2_SA_S7_PKT4_PKT5_S5_PT6_21rocsparse_index_base_b,@function
_ZN9rocsparseL18bsrxmvn_4x4_kernelILj128ELj32EdiifddEEvT3_20rocsparse_direction_NS_24const_host_device_scalarIT1_EES1_PKS1_PKT2_SA_S7_PKT4_PKT5_S5_PT6_21rocsparse_index_base_b: ; @_ZN9rocsparseL18bsrxmvn_4x4_kernelILj128ELj32EdiifddEEvT3_20rocsparse_direction_NS_24const_host_device_scalarIT1_EES1_PKS1_PKT2_SA_S7_PKT4_PKT5_S5_PT6_21rocsparse_index_base_b
; %bb.0:
	s_clause 0x2
	s_load_dwordx2 s[2:3], s[4:5], 0x58
	s_load_dwordx2 s[8:9], s[4:5], 0x8
	;; [unrolled: 1-line block ×3, first 2 shown]
	s_waitcnt lgkmcnt(0)
	s_bitcmp1_b32 s3, 0
	v_mov_b32_e32 v2, s8
	v_mov_b32_e32 v3, s9
	s_cselect_b32 s3, -1, 0
	s_and_b32 vcc_lo, exec_lo, s3
	s_xor_b32 s3, s3, -1
	s_cbranch_vccnz .LBB153_2
; %bb.1:
	v_mov_b32_e32 v1, s8
	v_mov_b32_e32 v2, s9
	flat_load_dwordx2 v[2:3], v[1:2]
.LBB153_2:
	v_mov_b32_e32 v9, s1
	v_mov_b32_e32 v8, s0
	s_andn2_b32 vcc_lo, exec_lo, s3
	s_cbranch_vccnz .LBB153_4
; %bb.3:
	v_mov_b32_e32 v5, s1
	v_mov_b32_e32 v4, s0
	flat_load_dwordx2 v[8:9], v[4:5]
.LBB153_4:
	s_waitcnt vmcnt(0) lgkmcnt(0)
	v_cmp_neq_f64_e32 vcc_lo, 0, v[2:3]
	v_cmp_neq_f64_e64 s0, 1.0, v[8:9]
	s_or_b32 s0, vcc_lo, s0
	s_and_saveexec_b32 s1, s0
	s_cbranch_execz .LBB153_10
; %bb.5:
	s_clause 0x1
	s_load_dwordx2 s[8:9], s[4:5], 0x18
	s_load_dwordx2 s[0:1], s[4:5], 0x0
	v_lshrrev_b32_e32 v1, 5, v0
	v_lshl_or_b32 v10, s6, 2, v1
	s_waitcnt lgkmcnt(0)
	s_cmp_lg_u64 s[8:9], 0
	s_cbranch_scc0 .LBB153_11
; %bb.6:
	s_load_dword s3, s[4:5], 0x10
	s_mov_b32 s6, 0
                                        ; implicit-def: $vgpr1
	s_waitcnt lgkmcnt(0)
	v_cmp_gt_i32_e32 vcc_lo, s3, v10
	s_mov_b32 s3, 0
	s_and_saveexec_b32 s7, vcc_lo
	s_xor_b32 s7, exec_lo, s7
	s_cbranch_execz .LBB153_8
; %bb.7:
	v_ashrrev_i32_e32 v11, 31, v10
	s_mov_b32 s3, exec_lo
	v_lshlrev_b64 v[4:5], 2, v[10:11]
	v_add_co_u32 v4, vcc_lo, s8, v4
	v_add_co_ci_u32_e64 v5, null, s9, v5, vcc_lo
	global_load_dword v1, v[4:5], off
	s_waitcnt vmcnt(0)
	v_subrev_nc_u32_e32 v1, s2, v1
.LBB153_8:
	s_or_b32 exec_lo, exec_lo, s7
	s_and_b32 vcc_lo, exec_lo, s6
	s_cbranch_vccz .LBB153_12
.LBB153_9:
	v_cmp_gt_i32_e32 vcc_lo, s0, v10
	s_andn2_b32 s0, s3, exec_lo
	s_and_b32 s3, vcc_lo, exec_lo
	s_or_b32 s3, s0, s3
	s_and_b32 exec_lo, exec_lo, s3
	s_cbranch_execnz .LBB153_13
.LBB153_10:
	s_endpgm
.LBB153_11:
	s_mov_b32 s3, 0
                                        ; implicit-def: $vgpr1
	s_cbranch_execnz .LBB153_9
.LBB153_12:
	v_mov_b32_e32 v10, v1
	s_and_b32 exec_lo, exec_lo, s3
	s_cbranch_execz .LBB153_10
.LBB153_13:
	s_load_dwordx8 s[8:15], s[4:5], 0x20
	v_ashrrev_i32_e32 v11, 31, v10
	v_and_b32_e32 v21, 31, v0
	s_load_dwordx2 s[6:7], s[4:5], 0x40
	v_lshlrev_b64 v[4:5], 2, v[10:11]
	s_waitcnt lgkmcnt(0)
	v_add_co_u32 v6, vcc_lo, s8, v4
	v_add_co_ci_u32_e64 v7, null, s9, v5, vcc_lo
	v_add_co_u32 v1, vcc_lo, s10, v4
	v_add_co_ci_u32_e64 v4, null, s11, v5, vcc_lo
	global_load_dword v23, v[6:7], off
	v_add_co_u32 v6, vcc_lo, v6, 4
	v_add_co_ci_u32_e64 v5, null, 0, v7, vcc_lo
	s_cmp_eq_u64 s[10:11], 0
	s_cselect_b32 vcc_lo, -1, 0
	s_cmp_eq_u32 s1, 1
	v_cndmask_b32_e32 v5, v4, v5, vcc_lo
	v_cndmask_b32_e32 v4, v1, v6, vcc_lo
	global_load_dword v6, v[4:5], off
	s_waitcnt vmcnt(1)
	v_subrev_nc_u32_e32 v0, s2, v23
	v_add_nc_u32_e32 v0, v0, v21
	v_ashrrev_i32_e32 v1, 31, v0
	s_waitcnt vmcnt(0)
	v_subrev_nc_u32_e32 v22, s2, v6
	v_lshlrev_b64 v[4:5], 6, v[0:1]
	v_cmp_lt_i32_e64 s0, v0, v22
	v_add_co_u32 v4, vcc_lo, s14, v4
	v_add_co_ci_u32_e64 v5, null, s15, v5, vcc_lo
	s_cbranch_scc1 .LBB153_25
; %bb.14:
	v_mov_b32_e32 v6, 0
	v_mov_b32_e32 v11, 0
	;; [unrolled: 1-line block ×8, first 2 shown]
	s_and_saveexec_b32 s3, s0
	s_cbranch_execz .LBB153_24
; %bb.15:
	v_add_nc_u32_e32 v1, v23, v21
	v_not_b32_e32 v6, v23
	v_mov_b32_e32 v13, 0
	v_mov_b32_e32 v15, 0
	;; [unrolled: 1-line block ×3, first 2 shown]
	v_subrev_nc_u32_e32 v1, s2, v1
	v_mov_b32_e32 v14, 0
	v_mov_b32_e32 v16, 0
	;; [unrolled: 1-line block ×4, first 2 shown]
	v_add_nc_u32_e32 v1, 32, v1
	v_max_i32_e32 v1, v1, v22
	v_add3_u32 v1, s2, v1, v6
	v_mov_b32_e32 v6, 0
	v_mov_b32_e32 v7, 0
	v_sub_nc_u32_e32 v1, v1, v21
	v_and_b32_e32 v17, 0x60, v1
	v_cmp_ne_u32_e32 vcc_lo, 0x60, v17
	v_mov_b32_e32 v18, v5
	v_mov_b32_e32 v17, v4
	s_and_saveexec_b32 s1, vcc_lo
	s_cbranch_execz .LBB153_19
; %bb.16:
	v_lshrrev_b32_e32 v6, 5, v1
	v_mov_b32_e32 v18, v5
	v_mov_b32_e32 v15, 0
	;; [unrolled: 1-line block ×4, first 2 shown]
	v_add_nc_u32_e32 v11, 1, v6
	v_mov_b32_e32 v6, 0
	v_mov_b32_e32 v7, 0
	;; [unrolled: 1-line block ×4, first 2 shown]
	v_and_b32_e32 v19, 3, v11
	v_mov_b32_e32 v11, 0
	v_mov_b32_e32 v12, 0
	s_mov_b32 s8, 0
	v_sub_nc_u32_e32 v24, 0, v19
	v_mov_b32_e32 v19, v0
.LBB153_17:                             ; =>This Inner Loop Header: Depth=1
	v_ashrrev_i32_e32 v20, 31, v19
	v_add_co_u32 v24, s9, v24, 1
	s_or_b32 s8, s9, s8
	v_lshlrev_b64 v[25:26], 2, v[19:20]
	v_add_nc_u32_e32 v19, 32, v19
	v_add_co_u32 v25, vcc_lo, s12, v25
	v_add_co_ci_u32_e64 v26, null, s13, v26, vcc_lo
	global_load_dword v20, v[25:26], off
	s_clause 0x3
	global_load_dwordx4 v[25:28], v[17:18], off offset:48
	global_load_dwordx4 v[29:32], v[17:18], off offset:32
	;; [unrolled: 1-line block ×3, first 2 shown]
	global_load_dwordx4 v[37:40], v[17:18], off
	s_waitcnt vmcnt(4)
	v_subrev_nc_u32_e32 v20, s2, v20
	s_waitcnt vmcnt(3)
	v_cvt_f64_f32_e32 v[55:56], v25
	s_waitcnt vmcnt(2)
	v_cvt_f64_f32_e32 v[53:54], v29
	;; [unrolled: 2-line block ×4, first 2 shown]
	v_lshlrev_b32_e32 v41, 2, v20
	v_cvt_f64_f32_e32 v[37:38], v38
	v_cvt_f64_f32_e32 v[33:34], v34
	;; [unrolled: 1-line block ×4, first 2 shown]
	v_ashrrev_i32_e32 v42, 31, v41
	v_lshlrev_b64 v[41:42], 3, v[41:42]
	v_add_co_u32 v45, vcc_lo, s6, v41
	v_add_co_ci_u32_e64 v46, null, s7, v42, vcc_lo
	v_add_co_u32 v17, vcc_lo, 0x800, v17
	v_add_co_ci_u32_e64 v18, null, 0, v18, vcc_lo
	s_clause 0x1
	global_load_dwordx4 v[41:44], v[45:46], off
	global_load_dwordx4 v[45:48], v[45:46], off offset:16
	s_waitcnt vmcnt(1)
	v_fma_f64 v[13:14], v[49:50], v[41:42], v[13:14]
	v_fma_f64 v[15:16], v[51:52], v[41:42], v[15:16]
	;; [unrolled: 1-line block ×4, first 2 shown]
	v_cvt_f64_f32_e32 v[41:42], v39
	v_cvt_f64_f32_e32 v[49:50], v35
	;; [unrolled: 1-line block ×6, first 2 shown]
	v_fma_f64 v[13:14], v[37:38], v[43:44], v[13:14]
	v_fma_f64 v[15:16], v[33:34], v[43:44], v[15:16]
	;; [unrolled: 1-line block ×4, first 2 shown]
	v_cvt_f64_f32_e32 v[25:26], v40
	v_cvt_f64_f32_e32 v[29:30], v36
	s_waitcnt vmcnt(0)
	v_fma_f64 v[13:14], v[41:42], v[45:46], v[13:14]
	v_fma_f64 v[15:16], v[49:50], v[45:46], v[15:16]
	;; [unrolled: 1-line block ×8, first 2 shown]
	s_andn2_b32 exec_lo, exec_lo, s8
	s_cbranch_execnz .LBB153_17
; %bb.18:
	s_or_b32 exec_lo, exec_lo, s8
.LBB153_19:
	s_or_b32 exec_lo, exec_lo, s1
	s_mov_b32 s8, exec_lo
	v_cmpx_lt_u32_e32 0x5f, v1
	s_cbranch_execz .LBB153_23
; %bb.20:
	s_mov_b32 s9, 0
.LBB153_21:                             ; =>This Inner Loop Header: Depth=1
	v_ashrrev_i32_e32 v20, 31, v19
	v_lshlrev_b64 v[24:25], 2, v[19:20]
	v_add_nc_u32_e32 v19, 0x80, v19
	v_add_co_u32 v40, vcc_lo, s12, v24
	v_add_co_ci_u32_e64 v41, null, s13, v25, vcc_lo
	s_clause 0x1
	global_load_dword v1, v[40:41], off
	global_load_dword v20, v[40:41], off offset:128
	s_clause 0x3
	global_load_dwordx4 v[24:27], v[17:18], off offset:16
	global_load_dwordx4 v[28:31], v[17:18], off
	global_load_dwordx4 v[32:35], v[17:18], off offset:48
	global_load_dwordx4 v[36:39], v[17:18], off offset:32
	s_clause 0x1
	global_load_dword v104, v[40:41], off offset:256
	global_load_dword v105, v[40:41], off offset:384
	s_waitcnt vmcnt(7)
	v_subrev_nc_u32_e32 v1, s2, v1
	s_waitcnt vmcnt(5)
	v_cvt_f64_f32_e32 v[110:111], v24
	s_waitcnt vmcnt(4)
	v_cvt_f64_f32_e32 v[108:109], v28
	;; [unrolled: 2-line block ×3, first 2 shown]
	v_lshlrev_b32_e32 v40, 2, v1
	v_subrev_nc_u32_e32 v1, s2, v20
	s_waitcnt vmcnt(0)
	v_subrev_nc_u32_e32 v20, s2, v105
	v_cvt_f64_f32_e32 v[116:117], v36
	v_cvt_f64_f32_e32 v[24:25], v25
	v_ashrrev_i32_e32 v41, 31, v40
	v_lshlrev_b32_e32 v64, 2, v1
	v_subrev_nc_u32_e32 v1, s2, v104
	v_lshlrev_b32_e32 v114, 2, v20
	v_cvt_f64_f32_e32 v[28:29], v29
	v_lshlrev_b64 v[40:41], 3, v[40:41]
	v_ashrrev_i32_e32 v65, 31, v64
	v_lshlrev_b32_e32 v104, 2, v1
	v_cvt_f64_f32_e32 v[36:37], v37
	v_ashrrev_i32_e32 v115, 31, v114
	v_lshlrev_b64 v[64:65], 3, v[64:65]
	v_add_co_u32 v44, vcc_lo, s6, v40
	v_add_co_ci_u32_e64 v45, null, s7, v41, vcc_lo
	v_add_co_u32 v60, vcc_lo, 0x800, v17
	v_add_co_ci_u32_e64 v61, null, 0, v18, vcc_lo
	s_clause 0x1
	global_load_dwordx4 v[40:43], v[44:45], off
	global_load_dwordx4 v[44:47], v[44:45], off offset:16
	v_add_co_u32 v72, vcc_lo, v17, 0x1000
	v_add_co_ci_u32_e64 v73, null, 0, v18, vcc_lo
	s_clause 0x3
	global_load_dwordx4 v[48:51], v[60:61], off offset:32
	global_load_dwordx4 v[52:55], v[60:61], off offset:16
	global_load_dwordx4 v[56:59], v[72:73], off offset:-2048
	global_load_dwordx4 v[60:63], v[60:61], off offset:48
	v_add_co_u32 v68, vcc_lo, s6, v64
	v_add_co_ci_u32_e64 v69, null, s7, v65, vcc_lo
	v_add_co_u32 v84, vcc_lo, 0x1000, v17
	v_add_co_ci_u32_e64 v85, null, 0, v18, vcc_lo
	s_clause 0x1
	global_load_dwordx4 v[64:67], v[68:69], off
	global_load_dwordx4 v[68:71], v[68:69], off offset:16
	v_add_co_u32 v100, vcc_lo, 0x1800, v17
	v_add_co_ci_u32_e64 v101, null, 0, v18, vcc_lo
	s_clause 0x7
	global_load_dwordx4 v[72:75], v[72:73], off
	global_load_dwordx4 v[76:79], v[84:85], off offset:16
	global_load_dwordx4 v[80:83], v[84:85], off offset:32
	;; [unrolled: 1-line block ×3, first 2 shown]
	global_load_dwordx4 v[88:91], v[100:101], off
	global_load_dwordx4 v[92:95], v[100:101], off offset:16
	global_load_dwordx4 v[96:99], v[100:101], off offset:32
	global_load_dwordx4 v[100:103], v[100:101], off offset:48
	v_ashrrev_i32_e32 v105, 31, v104
	v_lshlrev_b64 v[114:115], 3, v[114:115]
	v_add_co_u32 v17, s1, 0x2000, v17
	v_add_co_ci_u32_e64 v18, null, 0, v18, s1
	v_lshlrev_b64 v[104:105], 3, v[104:105]
	v_add_co_u32 v112, vcc_lo, s6, v104
	v_add_co_ci_u32_e64 v113, null, s7, v105, vcc_lo
	v_add_co_u32 v114, vcc_lo, s6, v114
	v_add_co_ci_u32_e64 v115, null, s7, v115, vcc_lo
	global_load_dwordx4 v[104:107], v[112:113], off
	v_cmp_ge_i32_e32 vcc_lo, v19, v22
	s_or_b32 s9, vcc_lo, s9
	s_waitcnt vmcnt(16)
	v_fma_f64 v[108:109], v[108:109], v[40:41], v[13:14]
	v_fma_f64 v[15:16], v[110:111], v[40:41], v[15:16]
	;; [unrolled: 1-line block ×3, first 2 shown]
	global_load_dwordx4 v[11:14], v[112:113], off offset:16
	v_fma_f64 v[6:7], v[118:119], v[40:41], v[6:7]
	v_cvt_f64_f32_e32 v[112:113], v38
	v_cvt_f64_f32_e32 v[38:39], v39
	v_fma_f64 v[28:29], v[28:29], v[42:43], v[108:109]
	v_fma_f64 v[15:16], v[24:25], v[42:43], v[15:16]
	v_cvt_f64_f32_e32 v[24:25], v33
	v_fma_f64 v[32:33], v[36:37], v[42:43], v[110:111]
	v_cvt_f64_f32_e32 v[36:37], v26
	v_cvt_f64_f32_e32 v[26:27], v27
	v_fma_f64 v[6:7], v[24:25], v[42:43], v[6:7]
	s_clause 0x1
	global_load_dwordx4 v[40:43], v[114:115], off
	global_load_dwordx4 v[108:111], v[114:115], off offset:16
	v_cvt_f64_f32_e32 v[24:25], v30
	v_cvt_f64_f32_e32 v[114:115], v34
	;; [unrolled: 1-line block ×4, first 2 shown]
	s_waitcnt vmcnt(18)
	v_fma_f64 v[15:16], v[36:37], v[44:45], v[15:16]
	s_waitcnt vmcnt(16)
	v_cvt_f64_f32_e32 v[36:37], v52
	v_fma_f64 v[24:25], v[24:25], v[44:45], v[28:29]
	v_fma_f64 v[28:29], v[112:113], v[44:45], v[32:33]
	;; [unrolled: 1-line block ×3, first 2 shown]
	s_waitcnt vmcnt(15)
	v_cvt_f64_f32_e32 v[32:33], v56
	v_cvt_f64_f32_e32 v[44:45], v48
	s_waitcnt vmcnt(14)
	v_cvt_f64_f32_e32 v[112:113], v60
	v_fma_f64 v[15:16], v[26:27], v[46:47], v[15:16]
	v_fma_f64 v[24:25], v[30:31], v[46:47], v[24:25]
	;; [unrolled: 1-line block ×4, first 2 shown]
	v_cvt_f64_f32_e32 v[28:29], v57
	v_cvt_f64_f32_e32 v[30:31], v53
	v_cvt_f64_f32_e32 v[34:35], v49
	v_cvt_f64_f32_e32 v[38:39], v61
	s_waitcnt vmcnt(13)
	v_fma_f64 v[15:16], v[36:37], v[64:65], v[15:16]
	v_cvt_f64_f32_e32 v[36:37], v54
	v_cvt_f64_f32_e32 v[46:47], v62
	v_fma_f64 v[24:25], v[32:33], v[64:65], v[24:25]
	v_fma_f64 v[26:27], v[44:45], v[64:65], v[26:27]
	;; [unrolled: 1-line block ×3, first 2 shown]
	v_cvt_f64_f32_e32 v[32:33], v58
	v_cvt_f64_f32_e32 v[44:45], v50
	v_fma_f64 v[15:16], v[30:31], v[66:67], v[15:16]
	v_cvt_f64_f32_e32 v[30:31], v55
	v_fma_f64 v[24:25], v[28:29], v[66:67], v[24:25]
	v_fma_f64 v[26:27], v[34:35], v[66:67], v[26:27]
	;; [unrolled: 1-line block ×3, first 2 shown]
	v_cvt_f64_f32_e32 v[28:29], v59
	v_cvt_f64_f32_e32 v[34:35], v51
	;; [unrolled: 1-line block ×3, first 2 shown]
	s_waitcnt vmcnt(12)
	v_fma_f64 v[15:16], v[36:37], v[68:69], v[15:16]
	s_waitcnt vmcnt(10)
	v_cvt_f64_f32_e32 v[36:37], v76
	v_fma_f64 v[24:25], v[32:33], v[68:69], v[24:25]
	v_fma_f64 v[26:27], v[44:45], v[68:69], v[26:27]
	;; [unrolled: 1-line block ×3, first 2 shown]
	v_cvt_f64_f32_e32 v[32:33], v72
	s_waitcnt vmcnt(9)
	v_cvt_f64_f32_e32 v[44:45], v80
	s_waitcnt vmcnt(8)
	v_cvt_f64_f32_e32 v[46:47], v84
	v_fma_f64 v[15:16], v[30:31], v[70:71], v[15:16]
	v_cvt_f64_f32_e32 v[30:31], v77
	v_fma_f64 v[24:25], v[28:29], v[70:71], v[24:25]
	v_fma_f64 v[26:27], v[34:35], v[70:71], v[26:27]
	;; [unrolled: 1-line block ×3, first 2 shown]
	v_cvt_f64_f32_e32 v[28:29], v73
	v_cvt_f64_f32_e32 v[34:35], v81
	;; [unrolled: 1-line block ×3, first 2 shown]
	s_waitcnt vmcnt(3)
	v_fma_f64 v[15:16], v[36:37], v[104:105], v[15:16]
	v_cvt_f64_f32_e32 v[36:37], v78
	v_fma_f64 v[24:25], v[32:33], v[104:105], v[24:25]
	v_fma_f64 v[26:27], v[44:45], v[104:105], v[26:27]
	;; [unrolled: 1-line block ×3, first 2 shown]
	v_cvt_f64_f32_e32 v[32:33], v74
	v_cvt_f64_f32_e32 v[44:45], v82
	;; [unrolled: 1-line block ×3, first 2 shown]
	v_fma_f64 v[15:16], v[30:31], v[106:107], v[15:16]
	v_cvt_f64_f32_e32 v[30:31], v79
	v_fma_f64 v[24:25], v[28:29], v[106:107], v[24:25]
	v_fma_f64 v[26:27], v[34:35], v[106:107], v[26:27]
	;; [unrolled: 1-line block ×3, first 2 shown]
	v_cvt_f64_f32_e32 v[28:29], v75
	v_cvt_f64_f32_e32 v[34:35], v83
	;; [unrolled: 1-line block ×3, first 2 shown]
	s_waitcnt vmcnt(2)
	v_fma_f64 v[24:25], v[32:33], v[11:12], v[24:25]
	v_fma_f64 v[15:16], v[36:37], v[11:12], v[15:16]
	;; [unrolled: 1-line block ×4, first 2 shown]
	v_cvt_f64_f32_e32 v[11:12], v88
	v_cvt_f64_f32_e32 v[32:33], v92
	;; [unrolled: 1-line block ×4, first 2 shown]
	v_fma_f64 v[24:25], v[28:29], v[13:14], v[24:25]
	v_fma_f64 v[15:16], v[30:31], v[13:14], v[15:16]
	;; [unrolled: 1-line block ×4, first 2 shown]
	v_cvt_f64_f32_e32 v[13:14], v89
	v_cvt_f64_f32_e32 v[28:29], v93
	;; [unrolled: 1-line block ×5, first 2 shown]
	s_waitcnt vmcnt(1)
	v_fma_f64 v[11:12], v[11:12], v[40:41], v[24:25]
	v_fma_f64 v[15:16], v[32:33], v[40:41], v[15:16]
	;; [unrolled: 1-line block ×4, first 2 shown]
	v_cvt_f64_f32_e32 v[26:27], v90
	v_cvt_f64_f32_e32 v[32:33], v94
	;; [unrolled: 1-line block ×3, first 2 shown]
	v_fma_f64 v[11:12], v[13:14], v[42:43], v[11:12]
	v_fma_f64 v[13:14], v[28:29], v[42:43], v[15:16]
	;; [unrolled: 1-line block ×4, first 2 shown]
	v_cvt_f64_f32_e32 v[24:25], v91
	v_cvt_f64_f32_e32 v[28:29], v95
	;; [unrolled: 1-line block ×4, first 2 shown]
	s_waitcnt vmcnt(0)
	v_fma_f64 v[11:12], v[26:27], v[108:109], v[11:12]
	v_fma_f64 v[26:27], v[32:33], v[108:109], v[13:14]
	;; [unrolled: 1-line block ×8, first 2 shown]
	s_andn2_b32 exec_lo, exec_lo, s9
	s_cbranch_execnz .LBB153_21
; %bb.22:
	s_or_b32 exec_lo, exec_lo, s9
.LBB153_23:
	s_or_b32 exec_lo, exec_lo, s8
.LBB153_24:
	s_or_b32 exec_lo, exec_lo, s3
	s_cbranch_execz .LBB153_26
	s_branch .LBB153_37
.LBB153_25:
                                        ; implicit-def: $vgpr6_vgpr7
                                        ; implicit-def: $vgpr11_vgpr12
                                        ; implicit-def: $vgpr15_vgpr16
                                        ; implicit-def: $vgpr13_vgpr14
.LBB153_26:
	v_mov_b32_e32 v6, 0
	v_mov_b32_e32 v11, 0
	;; [unrolled: 1-line block ×8, first 2 shown]
	s_and_saveexec_b32 s1, s0
	s_cbranch_execz .LBB153_36
; %bb.27:
	v_add_nc_u32_e32 v1, v23, v21
	v_not_b32_e32 v6, v23
	v_mov_b32_e32 v13, 0
	v_mov_b32_e32 v15, 0
	;; [unrolled: 1-line block ×3, first 2 shown]
	v_subrev_nc_u32_e32 v1, s2, v1
	v_mov_b32_e32 v14, 0
	v_mov_b32_e32 v16, 0
	;; [unrolled: 1-line block ×3, first 2 shown]
	s_mov_b32 s0, exec_lo
	v_add_nc_u32_e32 v1, 32, v1
	v_max_i32_e32 v1, v1, v22
	v_add3_u32 v1, s2, v1, v6
	v_mov_b32_e32 v6, 0
	v_mov_b32_e32 v7, 0
	v_sub_nc_u32_e32 v17, v1, v21
	v_and_b32_e32 v1, 0x60, v17
	v_cmpx_ne_u32_e32 0x60, v1
	s_cbranch_execz .LBB153_31
; %bb.28:
	v_lshrrev_b32_e32 v1, 5, v17
	v_mov_b32_e32 v6, 0
	v_mov_b32_e32 v11, 0
	;; [unrolled: 1-line block ×4, first 2 shown]
	v_add_nc_u32_e32 v1, 1, v1
	v_mov_b32_e32 v7, 0
	v_mov_b32_e32 v12, 0
	;; [unrolled: 1-line block ×4, first 2 shown]
	v_and_b32_e32 v1, 3, v1
	s_mov_b32 s3, 0
	v_sub_nc_u32_e32 v18, 0, v1
.LBB153_29:                             ; =>This Inner Loop Header: Depth=1
	v_ashrrev_i32_e32 v1, 31, v0
	v_add_co_u32 v18, s8, v18, 1
	s_or_b32 s3, s8, s3
	v_lshlrev_b64 v[19:20], 2, v[0:1]
	v_add_nc_u32_e32 v0, 32, v0
	v_add_co_u32 v19, vcc_lo, s12, v19
	v_add_co_ci_u32_e64 v20, null, s13, v20, vcc_lo
	global_load_dword v1, v[19:20], off
	s_clause 0x1
	global_load_dwordx4 v[23:26], v[4:5], off offset:16
	global_load_dwordx4 v[27:30], v[4:5], off
	s_waitcnt vmcnt(2)
	v_subrev_nc_u32_e32 v1, s2, v1
	s_waitcnt vmcnt(1)
	v_cvt_f64_f32_e32 v[49:50], v23
	s_waitcnt vmcnt(0)
	v_cvt_f64_f32_e32 v[47:48], v29
	v_cvt_f64_f32_e32 v[29:30], v30
	;; [unrolled: 1-line block ×3, first 2 shown]
	v_lshlrev_b32_e32 v19, 2, v1
	v_cvt_f64_f32_e32 v[51:52], v25
	v_cvt_f64_f32_e32 v[25:26], v26
	v_ashrrev_i32_e32 v20, 31, v19
	v_lshlrev_b64 v[19:20], 3, v[19:20]
	v_add_co_u32 v19, vcc_lo, s6, v19
	v_add_co_ci_u32_e64 v20, null, s7, v20, vcc_lo
	s_clause 0x1
	global_load_dwordx4 v[31:34], v[19:20], off
	global_load_dwordx4 v[35:38], v[19:20], off offset:16
	s_clause 0x1
	global_load_dwordx4 v[39:42], v[4:5], off offset:32
	global_load_dwordx4 v[43:46], v[4:5], off offset:48
	v_cvt_f64_f32_e32 v[19:20], v27
	v_cvt_f64_f32_e32 v[27:28], v28
	v_add_co_u32 v4, vcc_lo, 0x800, v4
	v_add_co_ci_u32_e64 v5, null, 0, v5, vcc_lo
	s_waitcnt vmcnt(3)
	v_fma_f64 v[13:14], v[19:20], v[31:32], v[13:14]
	v_fma_f64 v[15:16], v[27:28], v[31:32], v[15:16]
	;; [unrolled: 1-line block ×4, first 2 shown]
	s_waitcnt vmcnt(1)
	v_cvt_f64_f32_e32 v[19:20], v39
	v_cvt_f64_f32_e32 v[27:28], v40
	;; [unrolled: 1-line block ×4, first 2 shown]
	s_waitcnt vmcnt(0)
	v_cvt_f64_f32_e32 v[39:40], v46
	v_fma_f64 v[13:14], v[49:50], v[33:34], v[13:14]
	v_fma_f64 v[15:16], v[23:24], v[33:34], v[15:16]
	;; [unrolled: 1-line block ×4, first 2 shown]
	v_cvt_f64_f32_e32 v[23:24], v43
	v_cvt_f64_f32_e32 v[25:26], v44
	;; [unrolled: 1-line block ×3, first 2 shown]
	v_fma_f64 v[13:14], v[19:20], v[35:36], v[13:14]
	v_fma_f64 v[15:16], v[27:28], v[35:36], v[15:16]
	v_fma_f64 v[11:12], v[29:30], v[35:36], v[11:12]
	v_fma_f64 v[6:7], v[31:32], v[35:36], v[6:7]
	v_fma_f64 v[13:14], v[23:24], v[37:38], v[13:14]
	v_fma_f64 v[15:16], v[25:26], v[37:38], v[15:16]
	v_fma_f64 v[11:12], v[33:34], v[37:38], v[11:12]
	v_fma_f64 v[6:7], v[39:40], v[37:38], v[6:7]
	s_andn2_b32 exec_lo, exec_lo, s3
	s_cbranch_execnz .LBB153_29
; %bb.30:
	s_or_b32 exec_lo, exec_lo, s3
.LBB153_31:
	s_or_b32 exec_lo, exec_lo, s0
	s_mov_b32 s3, exec_lo
	v_cmpx_lt_u32_e32 0x5f, v17
	s_cbranch_execz .LBB153_35
; %bb.32:
	s_mov_b32 s8, 0
.LBB153_33:                             ; =>This Inner Loop Header: Depth=1
	v_ashrrev_i32_e32 v1, 31, v0
	v_lshlrev_b64 v[17:18], 2, v[0:1]
	v_add_nc_u32_e32 v0, 0x80, v0
	v_add_co_u32 v43, vcc_lo, s12, v17
	v_add_co_ci_u32_e64 v44, null, s13, v18, vcc_lo
	v_add_co_u32 v59, vcc_lo, v4, 0x1000
	v_add_co_ci_u32_e64 v60, null, 0, v5, vcc_lo
	s_clause 0x1
	global_load_dword v1, v[43:44], off
	global_load_dword v45, v[43:44], off offset:128
	s_clause 0x2
	global_load_dwordx4 v[17:20], v[4:5], off
	global_load_dwordx4 v[23:26], v[4:5], off offset:16
	global_load_dwordx4 v[27:30], v[4:5], off offset:32
	v_add_co_u32 v63, vcc_lo, 0x800, v4
	v_add_co_ci_u32_e64 v64, null, 0, v5, vcc_lo
	s_clause 0x2
	global_load_dwordx4 v[31:34], v[4:5], off offset:48
	global_load_dwordx4 v[35:38], v[59:60], off offset:-2048
	global_load_dwordx4 v[39:42], v[63:64], off offset:16
	s_clause 0x1
	global_load_dword v109, v[43:44], off offset:256
	global_load_dword v110, v[43:44], off offset:384
	s_waitcnt vmcnt(9)
	v_subrev_nc_u32_e32 v1, s2, v1
	s_waitcnt vmcnt(8)
	v_subrev_nc_u32_e32 v44, s2, v45
	s_waitcnt vmcnt(7)
	v_cvt_f64_f32_e32 v[71:72], v17
	v_cvt_f64_f32_e32 v[73:74], v18
	;; [unrolled: 1-line block ×3, first 2 shown]
	v_lshlrev_b32_e32 v43, 2, v1
	v_lshlrev_b32_e32 v45, 2, v44
	v_cvt_f64_f32_e32 v[77:78], v20
	s_waitcnt vmcnt(6)
	v_cvt_f64_f32_e32 v[79:80], v23
	s_waitcnt vmcnt(1)
	v_subrev_nc_u32_e32 v1, s2, v109
	v_ashrrev_i32_e32 v44, 31, v43
	v_ashrrev_i32_e32 v46, 31, v45
	v_cvt_f64_f32_e32 v[81:82], v24
	v_cvt_f64_f32_e32 v[101:102], v35
	v_lshlrev_b32_e32 v23, 2, v1
	v_lshlrev_b64 v[43:44], 3, v[43:44]
	v_lshlrev_b64 v[45:46], 3, v[45:46]
	v_cvt_f64_f32_e32 v[103:104], v36
	v_cvt_f64_f32_e32 v[83:84], v25
	v_ashrrev_i32_e32 v24, 31, v23
	v_cvt_f64_f32_e32 v[85:86], v26
	v_add_co_u32 v47, vcc_lo, s6, v43
	v_add_co_ci_u32_e64 v48, null, s7, v44, vcc_lo
	v_add_co_u32 v67, vcc_lo, s6, v45
	v_add_co_ci_u32_e64 v68, null, s7, v46, vcc_lo
	s_clause 0x2
	global_load_dwordx4 v[43:46], v[47:48], off
	global_load_dwordx4 v[47:50], v[47:48], off offset:16
	global_load_dwordx4 v[51:54], v[67:68], off
	s_clause 0x2
	global_load_dwordx4 v[55:58], v[63:64], off offset:32
	global_load_dwordx4 v[59:62], v[59:60], off
	global_load_dwordx4 v[63:66], v[63:64], off offset:48
	global_load_dwordx4 v[17:20], v[67:68], off offset:16
	v_lshlrev_b64 v[23:24], 3, v[23:24]
	v_add_co_u32 v69, vcc_lo, 0x1000, v4
	v_add_co_ci_u32_e64 v70, null, 0, v5, vcc_lo
	v_cvt_f64_f32_e32 v[87:88], v27
	v_add_co_u32 v35, vcc_lo, s6, v23
	v_add_co_ci_u32_e64 v36, null, s7, v24, vcc_lo
	v_cvt_f64_f32_e32 v[67:68], v28
	v_cvt_f64_f32_e32 v[93:94], v31
	;; [unrolled: 1-line block ×3, first 2 shown]
	global_load_dwordx4 v[23:26], v[69:70], off offset:16
	v_cvt_f64_f32_e32 v[89:90], v29
	v_cvt_f64_f32_e32 v[91:92], v30
	s_waitcnt vmcnt(8)
	v_subrev_nc_u32_e32 v1, s2, v110
	v_cvt_f64_f32_e32 v[97:98], v33
	v_cvt_f64_f32_e32 v[99:100], v34
	;; [unrolled: 1-line block ×4, first 2 shown]
	s_waitcnt vmcnt(7)
	v_fma_f64 v[27:28], v[71:72], v[43:44], v[13:14]
	v_fma_f64 v[31:32], v[75:76], v[43:44], v[11:12]
	global_load_dwordx4 v[11:14], v[35:36], off
	v_fma_f64 v[15:16], v[73:74], v[43:44], v[15:16]
	v_fma_f64 v[6:7], v[77:78], v[43:44], v[6:7]
	global_load_dwordx4 v[35:38], v[35:36], off offset:16
	v_fma_f64 v[43:44], v[79:80], v[45:46], v[27:28]
	global_load_dwordx4 v[27:30], v[69:70], off offset:32
	;; [unrolled: 2-line block ×3, first 2 shown]
	v_fma_f64 v[15:16], v[81:82], v[45:46], v[15:16]
	v_fma_f64 v[6:7], v[85:86], v[45:46], v[6:7]
	v_lshlrev_b32_e32 v45, 2, v1
	v_add_co_u32 v79, vcc_lo, 0x1800, v4
	v_add_co_ci_u32_e64 v80, null, 0, v5, vcc_lo
	v_ashrrev_i32_e32 v46, 31, v45
	v_cvt_f64_f32_e32 v[85:86], v39
	v_add_co_u32 v4, s0, 0x2000, v4
	v_add_co_ci_u32_e64 v5, null, 0, v5, s0
	v_lshlrev_b64 v[45:46], 3, v[45:46]
	s_waitcnt vmcnt(10)
	v_fma_f64 v[73:74], v[87:88], v[47:48], v[43:44]
	v_add_co_u32 v81, vcc_lo, s6, v45
	v_add_co_ci_u32_e64 v82, null, s7, v46, vcc_lo
	global_load_dwordx4 v[43:46], v[79:80], off
	v_fma_f64 v[15:16], v[67:68], v[47:48], v[15:16]
	v_fma_f64 v[75:76], v[89:90], v[47:48], v[71:72]
	global_load_dwordx4 v[67:70], v[79:80], off offset:16
	v_fma_f64 v[6:7], v[91:92], v[47:48], v[6:7]
	v_cvt_f64_f32_e32 v[87:88], v40
	v_cvt_f64_f32_e32 v[89:90], v41
	;; [unrolled: 1-line block ×3, first 2 shown]
	global_load_dwordx4 v[39:42], v[79:80], off offset:48
	v_cmp_ge_i32_e32 vcc_lo, v0, v22
	s_or_b32 s8, vcc_lo, s8
	v_fma_f64 v[47:48], v[93:94], v[49:50], v[73:74]
	global_load_dwordx4 v[71:74], v[81:82], off
	v_fma_f64 v[15:16], v[95:96], v[49:50], v[15:16]
	v_fma_f64 v[83:84], v[97:98], v[49:50], v[75:76]
	global_load_dwordx4 v[75:78], v[79:80], off offset:32
	v_fma_f64 v[6:7], v[99:100], v[49:50], v[6:7]
	s_waitcnt vmcnt(14)
	v_fma_f64 v[79:80], v[101:102], v[51:52], v[47:48]
	global_load_dwordx4 v[47:50], v[81:82], off offset:16
	v_fma_f64 v[15:16], v[103:104], v[51:52], v[15:16]
	v_fma_f64 v[81:82], v[105:106], v[51:52], v[83:84]
	s_waitcnt vmcnt(14)
	v_cvt_f64_f32_e32 v[83:84], v57
	v_fma_f64 v[6:7], v[107:108], v[51:52], v[6:7]
	v_cvt_f64_f32_e32 v[51:52], v55
	v_cvt_f64_f32_e32 v[55:56], v56
	;; [unrolled: 1-line block ×3, first 2 shown]
	v_fma_f64 v[79:80], v[85:86], v[53:54], v[79:80]
	s_waitcnt vmcnt(12)
	v_cvt_f64_f32_e32 v[85:86], v65
	v_cvt_f64_f32_e32 v[65:66], v66
	v_fma_f64 v[15:16], v[87:88], v[53:54], v[15:16]
	v_fma_f64 v[81:82], v[89:90], v[53:54], v[81:82]
	;; [unrolled: 1-line block ×3, first 2 shown]
	v_cvt_f64_f32_e32 v[53:54], v63
	v_cvt_f64_f32_e32 v[63:64], v64
	s_waitcnt vmcnt(11)
	v_fma_f64 v[51:52], v[51:52], v[17:18], v[79:80]
	v_fma_f64 v[15:16], v[55:56], v[17:18], v[15:16]
	;; [unrolled: 1-line block ×4, first 2 shown]
	v_cvt_f64_f32_e32 v[17:18], v59
	v_cvt_f64_f32_e32 v[57:58], v60
	;; [unrolled: 1-line block ×4, first 2 shown]
	v_fma_f64 v[51:52], v[53:54], v[19:20], v[51:52]
	v_fma_f64 v[15:16], v[63:64], v[19:20], v[15:16]
	v_fma_f64 v[53:54], v[85:86], v[19:20], v[55:56]
	s_waitcnt vmcnt(10)
	v_cvt_f64_f32_e32 v[55:56], v25
	v_fma_f64 v[6:7], v[65:66], v[19:20], v[6:7]
	v_cvt_f64_f32_e32 v[19:20], v23
	v_cvt_f64_f32_e32 v[23:24], v24
	;; [unrolled: 1-line block ×3, first 2 shown]
	s_waitcnt vmcnt(9)
	v_fma_f64 v[17:18], v[17:18], v[11:12], v[51:52]
	v_fma_f64 v[15:16], v[57:58], v[11:12], v[15:16]
	v_fma_f64 v[51:52], v[59:60], v[11:12], v[53:54]
	v_fma_f64 v[6:7], v[61:62], v[11:12], v[6:7]
	s_waitcnt vmcnt(7)
	v_cvt_f64_f32_e32 v[11:12], v27
	v_cvt_f64_f32_e32 v[27:28], v28
	v_cvt_f64_f32_e32 v[53:54], v29
	v_cvt_f64_f32_e32 v[29:30], v30
	v_fma_f64 v[17:18], v[19:20], v[13:14], v[17:18]
	v_fma_f64 v[15:16], v[23:24], v[13:14], v[15:16]
	v_fma_f64 v[19:20], v[55:56], v[13:14], v[51:52]
	v_fma_f64 v[6:7], v[25:26], v[13:14], v[6:7]
	s_waitcnt vmcnt(6)
	v_cvt_f64_f32_e32 v[13:14], v31
	v_cvt_f64_f32_e32 v[23:24], v32
	v_cvt_f64_f32_e32 v[25:26], v33
	v_cvt_f64_f32_e32 v[31:32], v34
	;; [unrolled: 9-line block ×4, first 2 shown]
	s_waitcnt vmcnt(2)
	v_fma_f64 v[11:12], v[19:20], v[71:72], v[11:12]
	v_fma_f64 v[13:14], v[27:28], v[71:72], v[13:14]
	;; [unrolled: 1-line block ×4, first 2 shown]
	s_waitcnt vmcnt(1)
	v_cvt_f64_f32_e32 v[19:20], v75
	v_cvt_f64_f32_e32 v[27:28], v76
	v_cvt_f64_f32_e32 v[29:30], v77
	v_cvt_f64_f32_e32 v[33:34], v78
	v_fma_f64 v[11:12], v[17:18], v[73:74], v[11:12]
	v_fma_f64 v[13:14], v[23:24], v[73:74], v[13:14]
	;; [unrolled: 1-line block ×4, first 2 shown]
	v_cvt_f64_f32_e32 v[17:18], v39
	v_cvt_f64_f32_e32 v[23:24], v40
	;; [unrolled: 1-line block ×4, first 2 shown]
	s_waitcnt vmcnt(0)
	v_fma_f64 v[11:12], v[19:20], v[47:48], v[11:12]
	v_fma_f64 v[19:20], v[27:28], v[47:48], v[13:14]
	;; [unrolled: 1-line block ×8, first 2 shown]
	s_andn2_b32 exec_lo, exec_lo, s8
	s_cbranch_execnz .LBB153_33
; %bb.34:
	s_or_b32 exec_lo, exec_lo, s8
.LBB153_35:
	s_or_b32 exec_lo, exec_lo, s3
.LBB153_36:
	s_or_b32 exec_lo, exec_lo, s1
.LBB153_37:
	v_mbcnt_lo_u32_b32 v24, -1, 0
	v_xor_b32_e32 v0, 16, v24
	v_cmp_gt_i32_e32 vcc_lo, 32, v0
	v_cndmask_b32_e32 v0, v24, v0, vcc_lo
	v_lshlrev_b32_e32 v20, 2, v0
	ds_bpermute_b32 v0, v20, v13
	ds_bpermute_b32 v1, v20, v14
	;; [unrolled: 1-line block ×8, first 2 shown]
	s_waitcnt lgkmcnt(6)
	v_add_f64 v[0:1], v[13:14], v[0:1]
	v_xor_b32_e32 v13, 8, v24
	s_waitcnt lgkmcnt(4)
	v_add_f64 v[4:5], v[15:16], v[4:5]
	s_waitcnt lgkmcnt(2)
	v_add_f64 v[11:12], v[11:12], v[17:18]
	;; [unrolled: 2-line block ×3, first 2 shown]
	v_cmp_gt_i32_e32 vcc_lo, 32, v13
	v_cndmask_b32_e32 v13, v24, v13, vcc_lo
	v_lshlrev_b32_e32 v20, 2, v13
	ds_bpermute_b32 v13, v20, v0
	ds_bpermute_b32 v14, v20, v1
	;; [unrolled: 1-line block ×8, first 2 shown]
	s_waitcnt lgkmcnt(6)
	v_add_f64 v[0:1], v[0:1], v[13:14]
	v_xor_b32_e32 v13, 4, v24
	s_waitcnt lgkmcnt(4)
	v_add_f64 v[4:5], v[4:5], v[15:16]
	s_waitcnt lgkmcnt(2)
	v_add_f64 v[11:12], v[11:12], v[17:18]
	;; [unrolled: 2-line block ×3, first 2 shown]
	v_cmp_gt_i32_e32 vcc_lo, 32, v13
	v_cndmask_b32_e32 v13, v24, v13, vcc_lo
	v_lshlrev_b32_e32 v20, 2, v13
	ds_bpermute_b32 v13, v20, v0
	ds_bpermute_b32 v14, v20, v1
	;; [unrolled: 1-line block ×8, first 2 shown]
	s_waitcnt lgkmcnt(6)
	v_add_f64 v[0:1], v[0:1], v[13:14]
	s_waitcnt lgkmcnt(4)
	v_add_f64 v[4:5], v[4:5], v[15:16]
	;; [unrolled: 2-line block ×4, first 2 shown]
	v_xor_b32_e32 v6, 2, v24
	v_cmp_gt_i32_e32 vcc_lo, 32, v6
	v_cndmask_b32_e32 v6, v24, v6, vcc_lo
	v_lshlrev_b32_e32 v11, 2, v6
	ds_bpermute_b32 v6, v11, v0
	ds_bpermute_b32 v7, v11, v1
	;; [unrolled: 1-line block ×8, first 2 shown]
	s_waitcnt lgkmcnt(6)
	v_add_f64 v[11:12], v[0:1], v[6:7]
	s_waitcnt lgkmcnt(4)
	v_add_f64 v[6:7], v[4:5], v[17:18]
	;; [unrolled: 2-line block ×3, first 2 shown]
	v_xor_b32_e32 v13, 1, v24
	s_waitcnt lgkmcnt(0)
	v_add_f64 v[4:5], v[15:16], v[22:23]
	v_cmp_gt_i32_e32 vcc_lo, 32, v13
	v_cndmask_b32_e32 v13, v24, v13, vcc_lo
	v_cmp_eq_u32_e32 vcc_lo, 31, v21
	v_lshlrev_b32_e32 v14, 2, v13
	ds_bpermute_b32 v19, v14, v11
	ds_bpermute_b32 v20, v14, v12
	;; [unrolled: 1-line block ×8, first 2 shown]
	s_and_b32 exec_lo, exec_lo, vcc_lo
	s_cbranch_execz .LBB153_10
; %bb.38:
	s_waitcnt lgkmcnt(6)
	v_add_f64 v[11:12], v[11:12], v[19:20]
	s_waitcnt lgkmcnt(4)
	v_add_f64 v[6:7], v[6:7], v[17:18]
	;; [unrolled: 2-line block ×4, first 2 shown]
	s_load_dwordx2 s[0:1], s[4:5], 0x50
	v_lshlrev_b32_e32 v10, 2, v10
	s_mov_b32 s2, exec_lo
	v_mul_f64 v[4:5], v[2:3], v[11:12]
	v_mul_f64 v[6:7], v[2:3], v[6:7]
	;; [unrolled: 1-line block ×4, first 2 shown]
	v_cmpx_eq_f64_e32 0, v[8:9]
	s_xor_b32 s2, exec_lo, s2
	s_cbranch_execz .LBB153_40
; %bb.39:
	v_ashrrev_i32_e32 v11, 31, v10
	v_lshlrev_b64 v[8:9], 3, v[10:11]
                                        ; implicit-def: $vgpr10
	s_waitcnt lgkmcnt(0)
	v_add_co_u32 v8, vcc_lo, s0, v8
	v_add_co_ci_u32_e64 v9, null, s1, v9, vcc_lo
	global_store_dwordx4 v[8:9], v[4:7], off
	global_store_dwordx4 v[8:9], v[0:3], off offset:16
                                        ; implicit-def: $vgpr8_vgpr9
                                        ; implicit-def: $vgpr4_vgpr5
                                        ; implicit-def: $vgpr0_vgpr1
.LBB153_40:
	s_andn2_saveexec_b32 s2, s2
	s_cbranch_execz .LBB153_10
; %bb.41:
	v_ashrrev_i32_e32 v11, 31, v10
	v_lshlrev_b64 v[10:11], 3, v[10:11]
	s_waitcnt lgkmcnt(0)
	v_add_co_u32 v18, vcc_lo, s0, v10
	v_add_co_ci_u32_e64 v19, null, s1, v11, vcc_lo
	s_clause 0x1
	global_load_dwordx4 v[10:13], v[18:19], off
	global_load_dwordx4 v[14:17], v[18:19], off offset:16
	s_waitcnt vmcnt(1)
	v_fma_f64 v[4:5], v[8:9], v[10:11], v[4:5]
	v_fma_f64 v[6:7], v[8:9], v[12:13], v[6:7]
	s_waitcnt vmcnt(0)
	v_fma_f64 v[0:1], v[8:9], v[14:15], v[0:1]
	v_fma_f64 v[2:3], v[8:9], v[16:17], v[2:3]
	global_store_dwordx4 v[18:19], v[4:7], off
	global_store_dwordx4 v[18:19], v[0:3], off offset:16
	s_endpgm
	.section	.rodata,"a",@progbits
	.p2align	6, 0x0
	.amdhsa_kernel _ZN9rocsparseL18bsrxmvn_4x4_kernelILj128ELj32EdiifddEEvT3_20rocsparse_direction_NS_24const_host_device_scalarIT1_EES1_PKS1_PKT2_SA_S7_PKT4_PKT5_S5_PT6_21rocsparse_index_base_b
		.amdhsa_group_segment_fixed_size 0
		.amdhsa_private_segment_fixed_size 0
		.amdhsa_kernarg_size 96
		.amdhsa_user_sgpr_count 6
		.amdhsa_user_sgpr_private_segment_buffer 1
		.amdhsa_user_sgpr_dispatch_ptr 0
		.amdhsa_user_sgpr_queue_ptr 0
		.amdhsa_user_sgpr_kernarg_segment_ptr 1
		.amdhsa_user_sgpr_dispatch_id 0
		.amdhsa_user_sgpr_flat_scratch_init 0
		.amdhsa_user_sgpr_private_segment_size 0
		.amdhsa_wavefront_size32 1
		.amdhsa_uses_dynamic_stack 0
		.amdhsa_system_sgpr_private_segment_wavefront_offset 0
		.amdhsa_system_sgpr_workgroup_id_x 1
		.amdhsa_system_sgpr_workgroup_id_y 0
		.amdhsa_system_sgpr_workgroup_id_z 0
		.amdhsa_system_sgpr_workgroup_info 0
		.amdhsa_system_vgpr_workitem_id 0
		.amdhsa_next_free_vgpr 120
		.amdhsa_next_free_sgpr 16
		.amdhsa_reserve_vcc 1
		.amdhsa_reserve_flat_scratch 0
		.amdhsa_float_round_mode_32 0
		.amdhsa_float_round_mode_16_64 0
		.amdhsa_float_denorm_mode_32 3
		.amdhsa_float_denorm_mode_16_64 3
		.amdhsa_dx10_clamp 1
		.amdhsa_ieee_mode 1
		.amdhsa_fp16_overflow 0
		.amdhsa_workgroup_processor_mode 1
		.amdhsa_memory_ordered 1
		.amdhsa_forward_progress 1
		.amdhsa_shared_vgpr_count 0
		.amdhsa_exception_fp_ieee_invalid_op 0
		.amdhsa_exception_fp_denorm_src 0
		.amdhsa_exception_fp_ieee_div_zero 0
		.amdhsa_exception_fp_ieee_overflow 0
		.amdhsa_exception_fp_ieee_underflow 0
		.amdhsa_exception_fp_ieee_inexact 0
		.amdhsa_exception_int_div_zero 0
	.end_amdhsa_kernel
	.section	.text._ZN9rocsparseL18bsrxmvn_4x4_kernelILj128ELj32EdiifddEEvT3_20rocsparse_direction_NS_24const_host_device_scalarIT1_EES1_PKS1_PKT2_SA_S7_PKT4_PKT5_S5_PT6_21rocsparse_index_base_b,"axG",@progbits,_ZN9rocsparseL18bsrxmvn_4x4_kernelILj128ELj32EdiifddEEvT3_20rocsparse_direction_NS_24const_host_device_scalarIT1_EES1_PKS1_PKT2_SA_S7_PKT4_PKT5_S5_PT6_21rocsparse_index_base_b,comdat
.Lfunc_end153:
	.size	_ZN9rocsparseL18bsrxmvn_4x4_kernelILj128ELj32EdiifddEEvT3_20rocsparse_direction_NS_24const_host_device_scalarIT1_EES1_PKS1_PKT2_SA_S7_PKT4_PKT5_S5_PT6_21rocsparse_index_base_b, .Lfunc_end153-_ZN9rocsparseL18bsrxmvn_4x4_kernelILj128ELj32EdiifddEEvT3_20rocsparse_direction_NS_24const_host_device_scalarIT1_EES1_PKS1_PKT2_SA_S7_PKT4_PKT5_S5_PT6_21rocsparse_index_base_b
                                        ; -- End function
	.set _ZN9rocsparseL18bsrxmvn_4x4_kernelILj128ELj32EdiifddEEvT3_20rocsparse_direction_NS_24const_host_device_scalarIT1_EES1_PKS1_PKT2_SA_S7_PKT4_PKT5_S5_PT6_21rocsparse_index_base_b.num_vgpr, 120
	.set _ZN9rocsparseL18bsrxmvn_4x4_kernelILj128ELj32EdiifddEEvT3_20rocsparse_direction_NS_24const_host_device_scalarIT1_EES1_PKS1_PKT2_SA_S7_PKT4_PKT5_S5_PT6_21rocsparse_index_base_b.num_agpr, 0
	.set _ZN9rocsparseL18bsrxmvn_4x4_kernelILj128ELj32EdiifddEEvT3_20rocsparse_direction_NS_24const_host_device_scalarIT1_EES1_PKS1_PKT2_SA_S7_PKT4_PKT5_S5_PT6_21rocsparse_index_base_b.numbered_sgpr, 16
	.set _ZN9rocsparseL18bsrxmvn_4x4_kernelILj128ELj32EdiifddEEvT3_20rocsparse_direction_NS_24const_host_device_scalarIT1_EES1_PKS1_PKT2_SA_S7_PKT4_PKT5_S5_PT6_21rocsparse_index_base_b.num_named_barrier, 0
	.set _ZN9rocsparseL18bsrxmvn_4x4_kernelILj128ELj32EdiifddEEvT3_20rocsparse_direction_NS_24const_host_device_scalarIT1_EES1_PKS1_PKT2_SA_S7_PKT4_PKT5_S5_PT6_21rocsparse_index_base_b.private_seg_size, 0
	.set _ZN9rocsparseL18bsrxmvn_4x4_kernelILj128ELj32EdiifddEEvT3_20rocsparse_direction_NS_24const_host_device_scalarIT1_EES1_PKS1_PKT2_SA_S7_PKT4_PKT5_S5_PT6_21rocsparse_index_base_b.uses_vcc, 1
	.set _ZN9rocsparseL18bsrxmvn_4x4_kernelILj128ELj32EdiifddEEvT3_20rocsparse_direction_NS_24const_host_device_scalarIT1_EES1_PKS1_PKT2_SA_S7_PKT4_PKT5_S5_PT6_21rocsparse_index_base_b.uses_flat_scratch, 0
	.set _ZN9rocsparseL18bsrxmvn_4x4_kernelILj128ELj32EdiifddEEvT3_20rocsparse_direction_NS_24const_host_device_scalarIT1_EES1_PKS1_PKT2_SA_S7_PKT4_PKT5_S5_PT6_21rocsparse_index_base_b.has_dyn_sized_stack, 0
	.set _ZN9rocsparseL18bsrxmvn_4x4_kernelILj128ELj32EdiifddEEvT3_20rocsparse_direction_NS_24const_host_device_scalarIT1_EES1_PKS1_PKT2_SA_S7_PKT4_PKT5_S5_PT6_21rocsparse_index_base_b.has_recursion, 0
	.set _ZN9rocsparseL18bsrxmvn_4x4_kernelILj128ELj32EdiifddEEvT3_20rocsparse_direction_NS_24const_host_device_scalarIT1_EES1_PKS1_PKT2_SA_S7_PKT4_PKT5_S5_PT6_21rocsparse_index_base_b.has_indirect_call, 0
	.section	.AMDGPU.csdata,"",@progbits
; Kernel info:
; codeLenInByte = 5440
; TotalNumSgprs: 18
; NumVgprs: 120
; ScratchSize: 0
; MemoryBound: 0
; FloatMode: 240
; IeeeMode: 1
; LDSByteSize: 0 bytes/workgroup (compile time only)
; SGPRBlocks: 0
; VGPRBlocks: 14
; NumSGPRsForWavesPerEU: 18
; NumVGPRsForWavesPerEU: 120
; Occupancy: 8
; WaveLimiterHint : 1
; COMPUTE_PGM_RSRC2:SCRATCH_EN: 0
; COMPUTE_PGM_RSRC2:USER_SGPR: 6
; COMPUTE_PGM_RSRC2:TRAP_HANDLER: 0
; COMPUTE_PGM_RSRC2:TGID_X_EN: 1
; COMPUTE_PGM_RSRC2:TGID_Y_EN: 0
; COMPUTE_PGM_RSRC2:TGID_Z_EN: 0
; COMPUTE_PGM_RSRC2:TIDIG_COMP_CNT: 0
	.section	.text._ZN9rocsparseL18bsrxmvn_4x4_kernelILj128ELj64EdiifddEEvT3_20rocsparse_direction_NS_24const_host_device_scalarIT1_EES1_PKS1_PKT2_SA_S7_PKT4_PKT5_S5_PT6_21rocsparse_index_base_b,"axG",@progbits,_ZN9rocsparseL18bsrxmvn_4x4_kernelILj128ELj64EdiifddEEvT3_20rocsparse_direction_NS_24const_host_device_scalarIT1_EES1_PKS1_PKT2_SA_S7_PKT4_PKT5_S5_PT6_21rocsparse_index_base_b,comdat
	.globl	_ZN9rocsparseL18bsrxmvn_4x4_kernelILj128ELj64EdiifddEEvT3_20rocsparse_direction_NS_24const_host_device_scalarIT1_EES1_PKS1_PKT2_SA_S7_PKT4_PKT5_S5_PT6_21rocsparse_index_base_b ; -- Begin function _ZN9rocsparseL18bsrxmvn_4x4_kernelILj128ELj64EdiifddEEvT3_20rocsparse_direction_NS_24const_host_device_scalarIT1_EES1_PKS1_PKT2_SA_S7_PKT4_PKT5_S5_PT6_21rocsparse_index_base_b
	.p2align	8
	.type	_ZN9rocsparseL18bsrxmvn_4x4_kernelILj128ELj64EdiifddEEvT3_20rocsparse_direction_NS_24const_host_device_scalarIT1_EES1_PKS1_PKT2_SA_S7_PKT4_PKT5_S5_PT6_21rocsparse_index_base_b,@function
_ZN9rocsparseL18bsrxmvn_4x4_kernelILj128ELj64EdiifddEEvT3_20rocsparse_direction_NS_24const_host_device_scalarIT1_EES1_PKS1_PKT2_SA_S7_PKT4_PKT5_S5_PT6_21rocsparse_index_base_b: ; @_ZN9rocsparseL18bsrxmvn_4x4_kernelILj128ELj64EdiifddEEvT3_20rocsparse_direction_NS_24const_host_device_scalarIT1_EES1_PKS1_PKT2_SA_S7_PKT4_PKT5_S5_PT6_21rocsparse_index_base_b
; %bb.0:
	s_clause 0x2
	s_load_dwordx2 s[2:3], s[4:5], 0x58
	s_load_dwordx2 s[8:9], s[4:5], 0x8
	;; [unrolled: 1-line block ×3, first 2 shown]
	s_waitcnt lgkmcnt(0)
	s_bitcmp1_b32 s3, 0
	v_mov_b32_e32 v2, s8
	v_mov_b32_e32 v3, s9
	s_cselect_b32 s3, -1, 0
	s_and_b32 vcc_lo, exec_lo, s3
	s_xor_b32 s3, s3, -1
	s_cbranch_vccnz .LBB154_2
; %bb.1:
	v_mov_b32_e32 v1, s8
	v_mov_b32_e32 v2, s9
	flat_load_dwordx2 v[2:3], v[1:2]
.LBB154_2:
	v_mov_b32_e32 v9, s1
	v_mov_b32_e32 v8, s0
	s_andn2_b32 vcc_lo, exec_lo, s3
	s_cbranch_vccnz .LBB154_4
; %bb.3:
	v_mov_b32_e32 v5, s1
	v_mov_b32_e32 v4, s0
	flat_load_dwordx2 v[8:9], v[4:5]
.LBB154_4:
	s_waitcnt vmcnt(0) lgkmcnt(0)
	v_cmp_neq_f64_e32 vcc_lo, 0, v[2:3]
	v_cmp_neq_f64_e64 s0, 1.0, v[8:9]
	s_or_b32 s0, vcc_lo, s0
	s_and_saveexec_b32 s1, s0
	s_cbranch_execz .LBB154_10
; %bb.5:
	s_clause 0x1
	s_load_dwordx2 s[8:9], s[4:5], 0x18
	s_load_dwordx2 s[0:1], s[4:5], 0x0
	v_lshrrev_b32_e32 v1, 6, v0
	v_lshl_or_b32 v10, s6, 1, v1
	s_waitcnt lgkmcnt(0)
	s_cmp_lg_u64 s[8:9], 0
	s_cbranch_scc0 .LBB154_11
; %bb.6:
	s_load_dword s3, s[4:5], 0x10
	s_mov_b32 s6, 0
                                        ; implicit-def: $vgpr1
	s_waitcnt lgkmcnt(0)
	v_cmp_gt_i32_e32 vcc_lo, s3, v10
	s_mov_b32 s3, 0
	s_and_saveexec_b32 s7, vcc_lo
	s_xor_b32 s7, exec_lo, s7
	s_cbranch_execz .LBB154_8
; %bb.7:
	v_ashrrev_i32_e32 v11, 31, v10
	s_mov_b32 s3, exec_lo
	v_lshlrev_b64 v[4:5], 2, v[10:11]
	v_add_co_u32 v4, vcc_lo, s8, v4
	v_add_co_ci_u32_e64 v5, null, s9, v5, vcc_lo
	global_load_dword v1, v[4:5], off
	s_waitcnt vmcnt(0)
	v_subrev_nc_u32_e32 v1, s2, v1
.LBB154_8:
	s_or_b32 exec_lo, exec_lo, s7
	s_and_b32 vcc_lo, exec_lo, s6
	s_cbranch_vccz .LBB154_12
.LBB154_9:
	v_cmp_gt_i32_e32 vcc_lo, s0, v10
	s_andn2_b32 s0, s3, exec_lo
	s_and_b32 s3, vcc_lo, exec_lo
	s_or_b32 s3, s0, s3
	s_and_b32 exec_lo, exec_lo, s3
	s_cbranch_execnz .LBB154_13
.LBB154_10:
	s_endpgm
.LBB154_11:
	s_mov_b32 s3, 0
                                        ; implicit-def: $vgpr1
	s_cbranch_execnz .LBB154_9
.LBB154_12:
	v_mov_b32_e32 v10, v1
	s_and_b32 exec_lo, exec_lo, s3
	s_cbranch_execz .LBB154_10
.LBB154_13:
	s_load_dwordx8 s[8:15], s[4:5], 0x20
	v_ashrrev_i32_e32 v11, 31, v10
	v_and_b32_e32 v21, 63, v0
	s_load_dwordx2 s[6:7], s[4:5], 0x40
	v_lshlrev_b64 v[4:5], 2, v[10:11]
	s_waitcnt lgkmcnt(0)
	v_add_co_u32 v6, vcc_lo, s8, v4
	v_add_co_ci_u32_e64 v7, null, s9, v5, vcc_lo
	v_add_co_u32 v1, vcc_lo, s10, v4
	v_add_co_ci_u32_e64 v4, null, s11, v5, vcc_lo
	global_load_dword v23, v[6:7], off
	v_add_co_u32 v6, vcc_lo, v6, 4
	v_add_co_ci_u32_e64 v5, null, 0, v7, vcc_lo
	s_cmp_eq_u64 s[10:11], 0
	s_cselect_b32 vcc_lo, -1, 0
	s_cmp_eq_u32 s1, 1
	v_cndmask_b32_e32 v5, v4, v5, vcc_lo
	v_cndmask_b32_e32 v4, v1, v6, vcc_lo
	global_load_dword v6, v[4:5], off
	s_waitcnt vmcnt(1)
	v_subrev_nc_u32_e32 v0, s2, v23
	v_add_nc_u32_e32 v0, v0, v21
	v_ashrrev_i32_e32 v1, 31, v0
	s_waitcnt vmcnt(0)
	v_subrev_nc_u32_e32 v22, s2, v6
	v_lshlrev_b64 v[4:5], 6, v[0:1]
	v_cmp_lt_i32_e64 s0, v0, v22
	v_add_co_u32 v4, vcc_lo, s14, v4
	v_add_co_ci_u32_e64 v5, null, s15, v5, vcc_lo
	s_cbranch_scc1 .LBB154_25
; %bb.14:
	v_mov_b32_e32 v6, 0
	v_mov_b32_e32 v11, 0
	v_mov_b32_e32 v15, 0
	v_mov_b32_e32 v13, 0
	v_mov_b32_e32 v7, 0
	v_mov_b32_e32 v12, 0
	v_mov_b32_e32 v16, 0
	v_mov_b32_e32 v14, 0
	s_and_saveexec_b32 s3, s0
	s_cbranch_execz .LBB154_24
; %bb.15:
	v_add_nc_u32_e32 v1, v23, v21
	v_not_b32_e32 v6, v23
	v_mov_b32_e32 v13, 0
	v_mov_b32_e32 v15, 0
	;; [unrolled: 1-line block ×3, first 2 shown]
	v_subrev_nc_u32_e32 v1, s2, v1
	v_mov_b32_e32 v14, 0
	v_mov_b32_e32 v16, 0
	;; [unrolled: 1-line block ×4, first 2 shown]
	v_add_nc_u32_e32 v1, 64, v1
	v_max_i32_e32 v1, v1, v22
	v_add3_u32 v1, s2, v1, v6
	v_mov_b32_e32 v6, 0
	v_mov_b32_e32 v7, 0
	v_sub_nc_u32_e32 v1, v1, v21
	v_and_b32_e32 v17, 0xc0, v1
	v_cmp_ne_u32_e32 vcc_lo, 0xc0, v17
	v_mov_b32_e32 v18, v5
	v_mov_b32_e32 v17, v4
	s_and_saveexec_b32 s1, vcc_lo
	s_cbranch_execz .LBB154_19
; %bb.16:
	v_lshrrev_b32_e32 v6, 6, v1
	v_mov_b32_e32 v18, v5
	v_mov_b32_e32 v15, 0
	;; [unrolled: 1-line block ×4, first 2 shown]
	v_add_nc_u32_e32 v11, 1, v6
	v_mov_b32_e32 v6, 0
	v_mov_b32_e32 v7, 0
	;; [unrolled: 1-line block ×4, first 2 shown]
	v_and_b32_e32 v19, 3, v11
	v_mov_b32_e32 v11, 0
	v_mov_b32_e32 v12, 0
	s_mov_b32 s8, 0
	v_sub_nc_u32_e32 v24, 0, v19
	v_mov_b32_e32 v19, v0
.LBB154_17:                             ; =>This Inner Loop Header: Depth=1
	v_ashrrev_i32_e32 v20, 31, v19
	v_add_co_u32 v24, s9, v24, 1
	s_or_b32 s8, s9, s8
	v_lshlrev_b64 v[25:26], 2, v[19:20]
	v_add_nc_u32_e32 v19, 64, v19
	v_add_co_u32 v25, vcc_lo, s12, v25
	v_add_co_ci_u32_e64 v26, null, s13, v26, vcc_lo
	global_load_dword v20, v[25:26], off
	s_clause 0x3
	global_load_dwordx4 v[25:28], v[17:18], off offset:48
	global_load_dwordx4 v[29:32], v[17:18], off offset:32
	;; [unrolled: 1-line block ×3, first 2 shown]
	global_load_dwordx4 v[37:40], v[17:18], off
	s_waitcnt vmcnt(4)
	v_subrev_nc_u32_e32 v20, s2, v20
	s_waitcnt vmcnt(3)
	v_cvt_f64_f32_e32 v[55:56], v25
	s_waitcnt vmcnt(2)
	v_cvt_f64_f32_e32 v[53:54], v29
	;; [unrolled: 2-line block ×4, first 2 shown]
	v_lshlrev_b32_e32 v41, 2, v20
	v_cvt_f64_f32_e32 v[37:38], v38
	v_cvt_f64_f32_e32 v[33:34], v34
	;; [unrolled: 1-line block ×4, first 2 shown]
	v_ashrrev_i32_e32 v42, 31, v41
	v_lshlrev_b64 v[41:42], 3, v[41:42]
	v_add_co_u32 v45, vcc_lo, s6, v41
	v_add_co_ci_u32_e64 v46, null, s7, v42, vcc_lo
	v_add_co_u32 v17, vcc_lo, 0x1000, v17
	v_add_co_ci_u32_e64 v18, null, 0, v18, vcc_lo
	s_clause 0x1
	global_load_dwordx4 v[41:44], v[45:46], off
	global_load_dwordx4 v[45:48], v[45:46], off offset:16
	s_waitcnt vmcnt(1)
	v_fma_f64 v[13:14], v[49:50], v[41:42], v[13:14]
	v_fma_f64 v[15:16], v[51:52], v[41:42], v[15:16]
	;; [unrolled: 1-line block ×4, first 2 shown]
	v_cvt_f64_f32_e32 v[41:42], v39
	v_cvt_f64_f32_e32 v[49:50], v35
	;; [unrolled: 1-line block ×6, first 2 shown]
	v_fma_f64 v[13:14], v[37:38], v[43:44], v[13:14]
	v_fma_f64 v[15:16], v[33:34], v[43:44], v[15:16]
	;; [unrolled: 1-line block ×4, first 2 shown]
	v_cvt_f64_f32_e32 v[25:26], v40
	v_cvt_f64_f32_e32 v[29:30], v36
	s_waitcnt vmcnt(0)
	v_fma_f64 v[13:14], v[41:42], v[45:46], v[13:14]
	v_fma_f64 v[15:16], v[49:50], v[45:46], v[15:16]
	;; [unrolled: 1-line block ×8, first 2 shown]
	s_andn2_b32 exec_lo, exec_lo, s8
	s_cbranch_execnz .LBB154_17
; %bb.18:
	s_or_b32 exec_lo, exec_lo, s8
.LBB154_19:
	s_or_b32 exec_lo, exec_lo, s1
	s_mov_b32 s8, exec_lo
	v_cmpx_lt_u32_e32 0xbf, v1
	s_cbranch_execz .LBB154_23
; %bb.20:
	s_mov_b32 s9, 0
.LBB154_21:                             ; =>This Inner Loop Header: Depth=1
	v_ashrrev_i32_e32 v20, 31, v19
	v_lshlrev_b64 v[24:25], 2, v[19:20]
	v_add_nc_u32_e32 v19, 0x100, v19
	v_add_co_u32 v56, vcc_lo, s12, v24
	v_add_co_ci_u32_e64 v57, null, s13, v25, vcc_lo
	v_add_co_u32 v52, vcc_lo, 0x1000, v17
	v_add_co_ci_u32_e64 v53, null, 0, v18, vcc_lo
	s_clause 0x1
	global_load_dword v1, v[56:57], off
	global_load_dword v20, v[56:57], off offset:256
	s_clause 0x7
	global_load_dwordx4 v[24:27], v[17:18], off
	global_load_dwordx4 v[28:31], v[17:18], off offset:16
	global_load_dwordx4 v[32:35], v[17:18], off offset:48
	;; [unrolled: 1-line block ×5, first 2 shown]
	global_load_dwordx4 v[48:51], v[52:53], off
	global_load_dwordx4 v[52:55], v[52:53], off offset:16
	s_clause 0x1
	global_load_dword v110, v[56:57], off offset:512
	global_load_dword v111, v[56:57], off offset:768
	s_waitcnt vmcnt(8)
	v_cvt_f64_f32_e32 v[86:87], v28
	v_cvt_f64_f32_e32 v[90:91], v29
	;; [unrolled: 1-line block ×4, first 2 shown]
	s_waitcnt vmcnt(6)
	v_cvt_f64_f32_e32 v[100:101], v38
	v_subrev_nc_u32_e32 v1, s2, v1
	v_subrev_nc_u32_e32 v20, s2, v20
	v_cvt_f64_f32_e32 v[80:81], v24
	v_cvt_f64_f32_e32 v[82:83], v25
	;; [unrolled: 1-line block ×3, first 2 shown]
	v_lshlrev_b32_e32 v56, 2, v1
	v_lshlrev_b32_e32 v64, 2, v20
	s_waitcnt vmcnt(1)
	v_subrev_nc_u32_e32 v1, s2, v110
	v_cvt_f64_f32_e32 v[88:89], v27
	v_cvt_f64_f32_e32 v[106:107], v39
	v_ashrrev_i32_e32 v57, 31, v56
	v_ashrrev_i32_e32 v65, 31, v64
	v_lshlrev_b32_e32 v28, 2, v1
	v_cvt_f64_f32_e32 v[96:97], v36
	v_cvt_f64_f32_e32 v[98:99], v32
	v_lshlrev_b64 v[56:57], 3, v[56:57]
	v_lshlrev_b64 v[64:65], 3, v[64:65]
	v_ashrrev_i32_e32 v29, 31, v28
	v_cvt_f64_f32_e32 v[102:103], v33
	v_cvt_f64_f32_e32 v[104:105], v34
	;; [unrolled: 1-line block ×3, first 2 shown]
	v_add_co_u32 v60, vcc_lo, s6, v56
	v_add_co_ci_u32_e64 v61, null, s7, v57, vcc_lo
	v_add_co_u32 v76, vcc_lo, s6, v64
	s_clause 0x1
	global_load_dwordx4 v[56:59], v[60:61], off
	global_load_dwordx4 v[60:63], v[60:61], off offset:16
	v_add_co_ci_u32_e64 v77, null, s7, v65, vcc_lo
	v_add_co_u32 v78, vcc_lo, 0x2000, v17
	v_add_co_ci_u32_e64 v79, null, 0, v18, vcc_lo
	global_load_dwordx4 v[64:67], v[76:77], off
	s_clause 0x1
	global_load_dwordx4 v[68:71], v[78:79], off
	global_load_dwordx4 v[72:75], v[78:79], off offset:16
	global_load_dwordx4 v[24:27], v[76:77], off offset:16
	v_lshlrev_b64 v[28:29], 3, v[28:29]
	v_cvt_f64_f32_e32 v[36:37], v37
	s_waitcnt vmcnt(6)
	v_subrev_nc_u32_e32 v1, s2, v111
	v_add_co_u32 v76, vcc_lo, s6, v28
	v_add_co_ci_u32_e64 v77, null, s7, v29, vcc_lo
	global_load_dwordx4 v[28:31], v[78:79], off offset:32
	global_load_dwordx4 v[32:35], v[76:77], off
	s_waitcnt vmcnt(7)
	v_fma_f64 v[38:39], v[80:81], v[56:57], v[13:14]
	v_fma_f64 v[80:81], v[86:87], v[56:57], v[15:16]
	global_load_dwordx4 v[13:16], v[78:79], off offset:48
	v_fma_f64 v[11:12], v[96:97], v[56:57], v[11:12]
	v_fma_f64 v[6:7], v[98:99], v[56:57], v[6:7]
	v_add_co_u32 v86, vcc_lo, 0x3000, v17
	v_add_co_ci_u32_e64 v87, null, 0, v18, vcc_lo
	v_add_co_u32 v17, s1, 0x4000, v17
	v_add_co_ci_u32_e64 v18, null, 0, v18, s1
	v_fma_f64 v[78:79], v[82:83], v[58:59], v[38:39]
	v_fma_f64 v[80:81], v[90:91], v[58:59], v[80:81]
	v_lshlrev_b32_e32 v82, 2, v1
	v_fma_f64 v[11:12], v[36:37], v[58:59], v[11:12]
	v_fma_f64 v[6:7], v[102:103], v[58:59], v[6:7]
	global_load_dwordx4 v[56:59], v[76:77], off offset:16
	global_load_dwordx4 v[36:39], v[86:87], off
	v_ashrrev_i32_e32 v83, 31, v82
	v_lshlrev_b64 v[76:77], 3, v[82:83]
	v_add_co_u32 v96, vcc_lo, s6, v76
	v_add_co_ci_u32_e64 v97, null, s7, v77, vcc_lo
	s_waitcnt vmcnt(9)
	v_fma_f64 v[90:91], v[84:85], v[60:61], v[78:79]
	global_load_dwordx4 v[76:79], v[86:87], off offset:32
	v_fma_f64 v[92:93], v[92:93], v[60:61], v[80:81]
	s_clause 0x1
	global_load_dwordx4 v[80:83], v[86:87], off offset:16
	global_load_dwordx4 v[84:87], v[86:87], off offset:48
	v_fma_f64 v[11:12], v[100:101], v[60:61], v[11:12]
	v_fma_f64 v[6:7], v[104:105], v[60:61], v[6:7]
	v_cvt_f64_f32_e32 v[100:101], v44
	v_cvt_f64_f32_e32 v[44:45], v45
	v_cmp_ge_i32_e32 vcc_lo, v19, v22
	s_or_b32 s9, vcc_lo, s9
	v_fma_f64 v[60:61], v[88:89], v[62:63], v[90:91]
	global_load_dwordx4 v[88:91], v[96:97], off
	v_fma_f64 v[98:99], v[94:95], v[62:63], v[92:93]
	global_load_dwordx4 v[92:95], v[96:97], off offset:16
	v_cvt_f64_f32_e32 v[96:97], v52
	v_fma_f64 v[11:12], v[106:107], v[62:63], v[11:12]
	v_fma_f64 v[6:7], v[108:109], v[62:63], v[6:7]
	v_cvt_f64_f32_e32 v[62:63], v48
	v_cvt_f64_f32_e32 v[48:49], v49
	;; [unrolled: 1-line block ×3, first 2 shown]
	s_waitcnt vmcnt(13)
	v_fma_f64 v[96:97], v[96:97], v[64:65], v[98:99]
	v_fma_f64 v[11:12], v[100:101], v[64:65], v[11:12]
	;; [unrolled: 1-line block ×3, first 2 shown]
	v_cvt_f64_f32_e32 v[62:63], v40
	v_cvt_f64_f32_e32 v[40:41], v41
	v_fma_f64 v[52:53], v[52:53], v[66:67], v[96:97]
	v_fma_f64 v[11:12], v[44:45], v[66:67], v[11:12]
	v_cvt_f64_f32_e32 v[44:45], v54
	v_fma_f64 v[48:49], v[48:49], v[66:67], v[60:61]
	v_fma_f64 v[6:7], v[62:63], v[64:65], v[6:7]
	v_cvt_f64_f32_e32 v[60:61], v50
	v_cvt_f64_f32_e32 v[62:63], v42
	;; [unrolled: 1-line block ×5, first 2 shown]
	s_waitcnt vmcnt(10)
	v_fma_f64 v[44:45], v[44:45], v[24:25], v[52:53]
	s_waitcnt vmcnt(9)
	v_cvt_f64_f32_e32 v[52:53], v28
	v_fma_f64 v[6:7], v[40:41], v[66:67], v[6:7]
	v_cvt_f64_f32_e32 v[40:41], v46
	v_cvt_f64_f32_e32 v[46:47], v47
	v_fma_f64 v[48:49], v[60:61], v[24:25], v[48:49]
	v_cvt_f64_f32_e32 v[28:29], v29
	v_fma_f64 v[44:45], v[54:55], v[26:27], v[44:45]
	v_fma_f64 v[6:7], v[62:63], v[24:25], v[6:7]
	v_fma_f64 v[11:12], v[40:41], v[24:25], v[11:12]
	v_cvt_f64_f32_e32 v[24:25], v68
	v_cvt_f64_f32_e32 v[40:41], v72
	v_fma_f64 v[48:49], v[50:51], v[26:27], v[48:49]
	v_fma_f64 v[6:7], v[42:43], v[26:27], v[6:7]
	;; [unrolled: 1-line block ×3, first 2 shown]
	v_cvt_f64_f32_e32 v[26:27], v69
	v_cvt_f64_f32_e32 v[42:43], v73
	s_waitcnt vmcnt(8)
	v_fma_f64 v[24:25], v[24:25], v[32:33], v[48:49]
	v_fma_f64 v[40:41], v[40:41], v[32:33], v[44:45]
	v_cvt_f64_f32_e32 v[44:45], v74
	v_cvt_f64_f32_e32 v[46:47], v30
	;; [unrolled: 1-line block ×3, first 2 shown]
	v_fma_f64 v[11:12], v[52:53], v[32:33], v[11:12]
	v_fma_f64 v[24:25], v[26:27], v[34:35], v[24:25]
	;; [unrolled: 1-line block ×4, first 2 shown]
	v_cvt_f64_f32_e32 v[28:29], v75
	s_waitcnt vmcnt(7)
	v_cvt_f64_f32_e32 v[60:61], v13
	v_cvt_f64_f32_e32 v[13:14], v14
	;; [unrolled: 1-line block ×4, first 2 shown]
	v_fma_f64 v[6:7], v[60:61], v[32:33], v[6:7]
	v_cvt_f64_f32_e32 v[32:33], v70
	s_waitcnt vmcnt(6)
	v_fma_f64 v[26:27], v[44:45], v[56:57], v[26:27]
	v_fma_f64 v[11:12], v[46:47], v[56:57], v[11:12]
	s_waitcnt vmcnt(4)
	v_cvt_f64_f32_e32 v[40:41], v76
	v_fma_f64 v[6:7], v[13:14], v[34:35], v[6:7]
	v_cvt_f64_f32_e32 v[13:14], v71
	v_fma_f64 v[24:25], v[32:33], v[56:57], v[24:25]
	v_cvt_f64_f32_e32 v[32:33], v36
	s_waitcnt vmcnt(3)
	v_cvt_f64_f32_e32 v[34:35], v80
	s_waitcnt vmcnt(2)
	v_cvt_f64_f32_e32 v[42:43], v84
	v_fma_f64 v[11:12], v[30:31], v[58:59], v[11:12]
	v_cvt_f64_f32_e32 v[30:31], v85
	v_fma_f64 v[6:7], v[48:49], v[56:57], v[6:7]
	v_fma_f64 v[13:14], v[13:14], v[58:59], v[24:25]
	;; [unrolled: 1-line block ×3, first 2 shown]
	v_cvt_f64_f32_e32 v[26:27], v81
	v_cvt_f64_f32_e32 v[28:29], v77
	s_waitcnt vmcnt(1)
	v_fma_f64 v[11:12], v[40:41], v[88:89], v[11:12]
	v_cvt_f64_f32_e32 v[40:41], v86
	v_fma_f64 v[6:7], v[15:16], v[58:59], v[6:7]
	v_cvt_f64_f32_e32 v[15:16], v37
	v_fma_f64 v[13:14], v[32:33], v[88:89], v[13:14]
	v_fma_f64 v[24:25], v[34:35], v[88:89], v[24:25]
	v_cvt_f64_f32_e32 v[32:33], v38
	v_cvt_f64_f32_e32 v[34:35], v82
	;; [unrolled: 1-line block ×3, first 2 shown]
	v_fma_f64 v[11:12], v[28:29], v[90:91], v[11:12]
	v_cvt_f64_f32_e32 v[28:29], v79
	v_fma_f64 v[6:7], v[42:43], v[88:89], v[6:7]
	v_fma_f64 v[13:14], v[15:16], v[90:91], v[13:14]
	;; [unrolled: 1-line block ×3, first 2 shown]
	v_cvt_f64_f32_e32 v[24:25], v39
	v_cvt_f64_f32_e32 v[26:27], v83
	s_waitcnt vmcnt(0)
	v_fma_f64 v[11:12], v[36:37], v[92:93], v[11:12]
	v_fma_f64 v[6:7], v[30:31], v[90:91], v[6:7]
	v_cvt_f64_f32_e32 v[30:31], v87
	v_fma_f64 v[13:14], v[32:33], v[92:93], v[13:14]
	v_fma_f64 v[15:16], v[34:35], v[92:93], v[15:16]
	;; [unrolled: 1-line block ×7, first 2 shown]
	s_andn2_b32 exec_lo, exec_lo, s9
	s_cbranch_execnz .LBB154_21
; %bb.22:
	s_or_b32 exec_lo, exec_lo, s9
.LBB154_23:
	s_or_b32 exec_lo, exec_lo, s8
.LBB154_24:
	s_or_b32 exec_lo, exec_lo, s3
	s_cbranch_execz .LBB154_26
	s_branch .LBB154_37
.LBB154_25:
                                        ; implicit-def: $vgpr6_vgpr7
                                        ; implicit-def: $vgpr11_vgpr12
                                        ; implicit-def: $vgpr15_vgpr16
                                        ; implicit-def: $vgpr13_vgpr14
.LBB154_26:
	v_mov_b32_e32 v6, 0
	v_mov_b32_e32 v11, 0
	;; [unrolled: 1-line block ×8, first 2 shown]
	s_and_saveexec_b32 s1, s0
	s_cbranch_execz .LBB154_36
; %bb.27:
	v_add_nc_u32_e32 v1, v23, v21
	v_not_b32_e32 v6, v23
	v_mov_b32_e32 v13, 0
	v_mov_b32_e32 v15, 0
	;; [unrolled: 1-line block ×3, first 2 shown]
	v_subrev_nc_u32_e32 v1, s2, v1
	v_mov_b32_e32 v14, 0
	v_mov_b32_e32 v16, 0
	;; [unrolled: 1-line block ×3, first 2 shown]
	s_mov_b32 s0, exec_lo
	v_add_nc_u32_e32 v1, 64, v1
	v_max_i32_e32 v1, v1, v22
	v_add3_u32 v1, s2, v1, v6
	v_mov_b32_e32 v6, 0
	v_mov_b32_e32 v7, 0
	v_sub_nc_u32_e32 v17, v1, v21
	v_and_b32_e32 v1, 0xc0, v17
	v_cmpx_ne_u32_e32 0xc0, v1
	s_cbranch_execz .LBB154_31
; %bb.28:
	v_lshrrev_b32_e32 v1, 6, v17
	v_mov_b32_e32 v6, 0
	v_mov_b32_e32 v11, 0
	;; [unrolled: 1-line block ×4, first 2 shown]
	v_add_nc_u32_e32 v1, 1, v1
	v_mov_b32_e32 v7, 0
	v_mov_b32_e32 v12, 0
	;; [unrolled: 1-line block ×4, first 2 shown]
	v_and_b32_e32 v1, 3, v1
	s_mov_b32 s3, 0
	v_sub_nc_u32_e32 v18, 0, v1
.LBB154_29:                             ; =>This Inner Loop Header: Depth=1
	v_ashrrev_i32_e32 v1, 31, v0
	v_add_co_u32 v18, s8, v18, 1
	s_or_b32 s3, s8, s3
	v_lshlrev_b64 v[19:20], 2, v[0:1]
	v_add_nc_u32_e32 v0, 64, v0
	v_add_co_u32 v19, vcc_lo, s12, v19
	v_add_co_ci_u32_e64 v20, null, s13, v20, vcc_lo
	global_load_dword v1, v[19:20], off
	s_clause 0x1
	global_load_dwordx4 v[23:26], v[4:5], off offset:16
	global_load_dwordx4 v[27:30], v[4:5], off
	s_waitcnt vmcnt(2)
	v_subrev_nc_u32_e32 v1, s2, v1
	s_waitcnt vmcnt(1)
	v_cvt_f64_f32_e32 v[49:50], v23
	s_waitcnt vmcnt(0)
	v_cvt_f64_f32_e32 v[47:48], v29
	v_cvt_f64_f32_e32 v[29:30], v30
	;; [unrolled: 1-line block ×3, first 2 shown]
	v_lshlrev_b32_e32 v19, 2, v1
	v_cvt_f64_f32_e32 v[51:52], v25
	v_cvt_f64_f32_e32 v[25:26], v26
	v_ashrrev_i32_e32 v20, 31, v19
	v_lshlrev_b64 v[19:20], 3, v[19:20]
	v_add_co_u32 v19, vcc_lo, s6, v19
	v_add_co_ci_u32_e64 v20, null, s7, v20, vcc_lo
	s_clause 0x1
	global_load_dwordx4 v[31:34], v[19:20], off
	global_load_dwordx4 v[35:38], v[19:20], off offset:16
	s_clause 0x1
	global_load_dwordx4 v[39:42], v[4:5], off offset:32
	global_load_dwordx4 v[43:46], v[4:5], off offset:48
	v_cvt_f64_f32_e32 v[19:20], v27
	v_cvt_f64_f32_e32 v[27:28], v28
	v_add_co_u32 v4, vcc_lo, 0x1000, v4
	v_add_co_ci_u32_e64 v5, null, 0, v5, vcc_lo
	s_waitcnt vmcnt(3)
	v_fma_f64 v[13:14], v[19:20], v[31:32], v[13:14]
	v_fma_f64 v[15:16], v[27:28], v[31:32], v[15:16]
	;; [unrolled: 1-line block ×4, first 2 shown]
	s_waitcnt vmcnt(1)
	v_cvt_f64_f32_e32 v[19:20], v39
	v_cvt_f64_f32_e32 v[27:28], v40
	;; [unrolled: 1-line block ×4, first 2 shown]
	s_waitcnt vmcnt(0)
	v_cvt_f64_f32_e32 v[39:40], v46
	v_fma_f64 v[13:14], v[49:50], v[33:34], v[13:14]
	v_fma_f64 v[15:16], v[23:24], v[33:34], v[15:16]
	;; [unrolled: 1-line block ×4, first 2 shown]
	v_cvt_f64_f32_e32 v[23:24], v43
	v_cvt_f64_f32_e32 v[25:26], v44
	;; [unrolled: 1-line block ×3, first 2 shown]
	v_fma_f64 v[13:14], v[19:20], v[35:36], v[13:14]
	v_fma_f64 v[15:16], v[27:28], v[35:36], v[15:16]
	;; [unrolled: 1-line block ×8, first 2 shown]
	s_andn2_b32 exec_lo, exec_lo, s3
	s_cbranch_execnz .LBB154_29
; %bb.30:
	s_or_b32 exec_lo, exec_lo, s3
.LBB154_31:
	s_or_b32 exec_lo, exec_lo, s0
	s_mov_b32 s3, exec_lo
	v_cmpx_lt_u32_e32 0xbf, v17
	s_cbranch_execz .LBB154_35
; %bb.32:
	s_mov_b32 s8, 0
.LBB154_33:                             ; =>This Inner Loop Header: Depth=1
	s_clause 0x2
	global_load_dwordx4 v[17:20], v[4:5], off
	global_load_dwordx4 v[23:26], v[4:5], off offset:16
	global_load_dwordx4 v[27:30], v[4:5], off offset:32
	v_ashrrev_i32_e32 v1, 31, v0
	v_add_co_u32 v47, vcc_lo, 0x1000, v4
	v_add_co_ci_u32_e64 v48, null, 0, v5, vcc_lo
	v_lshlrev_b64 v[51:52], 2, v[0:1]
	s_clause 0x4
	global_load_dwordx4 v[31:34], v[4:5], off offset:48
	global_load_dwordx4 v[35:38], v[47:48], off
	global_load_dwordx4 v[39:42], v[47:48], off offset:16
	global_load_dwordx4 v[43:46], v[47:48], off offset:32
	;; [unrolled: 1-line block ×3, first 2 shown]
	v_add_nc_u32_e32 v0, 0x100, v0
	v_add_co_u32 v51, vcc_lo, s12, v51
	v_add_co_ci_u32_e64 v52, null, s13, v52, vcc_lo
	s_waitcnt vmcnt(7)
	v_cvt_f64_f32_e32 v[57:58], v19
	v_cvt_f64_f32_e32 v[59:60], v20
	s_clause 0x3
	global_load_dword v1, v[51:52], off
	global_load_dword v19, v[51:52], off offset:256
	global_load_dword v20, v[51:52], off offset:512
	;; [unrolled: 1-line block ×3, first 2 shown]
	v_cvt_f64_f32_e32 v[53:54], v17
	v_cvt_f64_f32_e32 v[55:56], v18
	s_waitcnt vmcnt(10)
	v_cvt_f64_f32_e32 v[61:62], v23
	v_cvt_f64_f32_e32 v[63:64], v24
	s_waitcnt vmcnt(9)
	v_cvt_f64_f32_e32 v[69:70], v27
	v_cvt_f64_f32_e32 v[71:72], v28
	;; [unrolled: 1-line block ×3, first 2 shown]
	s_waitcnt vmcnt(6)
	v_cvt_f64_f32_e32 v[93:94], v39
	v_cvt_f64_f32_e32 v[67:68], v26
	v_cvt_f64_f32_e32 v[95:96], v40
	v_cvt_f64_f32_e32 v[73:74], v29
	v_cvt_f64_f32_e32 v[75:76], v30
	v_cvt_f64_f32_e32 v[77:78], v31
	v_cvt_f64_f32_e32 v[79:80], v32
	v_cvt_f64_f32_e32 v[81:82], v33
	v_cvt_f64_f32_e32 v[83:84], v34
	s_waitcnt vmcnt(5)
	v_cvt_f64_f32_e32 v[101:102], v43
	v_cvt_f64_f32_e32 v[103:104], v44
	;; [unrolled: 1-line block ×10, first 2 shown]
	s_waitcnt vmcnt(3)
	v_subrev_nc_u32_e32 v1, s2, v1
	v_lshlrev_b32_e32 v17, 2, v1
	s_waitcnt vmcnt(2)
	v_subrev_nc_u32_e32 v1, s2, v19
	v_ashrrev_i32_e32 v18, 31, v17
	v_lshlrev_b64 v[17:18], 3, v[17:18]
	v_add_co_u32 v23, vcc_lo, s6, v17
	v_lshlrev_b32_e32 v17, 2, v1
	v_add_co_ci_u32_e64 v24, null, s7, v18, vcc_lo
	s_waitcnt vmcnt(1)
	v_subrev_nc_u32_e32 v1, s2, v20
	v_ashrrev_i32_e32 v18, 31, v17
	v_lshlrev_b64 v[17:18], 3, v[17:18]
	v_add_co_u32 v27, vcc_lo, s6, v17
	v_lshlrev_b32_e32 v17, 2, v1
	v_add_co_ci_u32_e64 v28, null, s7, v18, vcc_lo
	s_waitcnt vmcnt(0)
	v_subrev_nc_u32_e32 v1, s2, v109
	v_ashrrev_i32_e32 v18, 31, v17
	v_lshlrev_b64 v[17:18], 3, v[17:18]
	v_add_co_u32 v39, vcc_lo, s6, v17
	v_add_co_ci_u32_e64 v40, null, s7, v18, vcc_lo
	s_clause 0x1
	global_load_dwordx4 v[17:20], v[23:24], off
	global_load_dwordx4 v[23:26], v[23:24], off offset:16
	v_add_co_u32 v43, vcc_lo, 0x2000, v4
	v_add_co_ci_u32_e64 v44, null, 0, v5, vcc_lo
	s_waitcnt vmcnt(1)
	v_fma_f64 v[13:14], v[53:54], v[17:18], v[13:14]
	v_fma_f64 v[15:16], v[55:56], v[17:18], v[15:16]
	;; [unrolled: 1-line block ×4, first 2 shown]
	v_add_co_u32 v55, vcc_lo, 0x3000, v4
	v_add_co_ci_u32_e64 v56, null, 0, v5, vcc_lo
	v_cvt_f64_f32_e32 v[59:60], v47
	v_add_co_u32 v4, s0, 0x4000, v4
	v_add_co_ci_u32_e64 v5, null, 0, v5, s0
	v_fma_f64 v[29:30], v[61:62], v[19:20], v[13:14]
	v_fma_f64 v[31:32], v[63:64], v[19:20], v[15:16]
	;; [unrolled: 1-line block ×3, first 2 shown]
	s_clause 0x1
	global_load_dwordx4 v[11:14], v[27:28], off
	global_load_dwordx4 v[15:18], v[27:28], off offset:16
	v_fma_f64 v[6:7], v[67:68], v[19:20], v[6:7]
	global_load_dwordx4 v[35:38], v[39:40], off
	v_cvt_f64_f32_e32 v[63:64], v48
	v_cvt_f64_f32_e32 v[65:66], v49
	;; [unrolled: 1-line block ×3, first 2 shown]
	global_load_dwordx4 v[47:50], v[55:56], off
	s_waitcnt vmcnt(4)
	v_fma_f64 v[19:20], v[69:70], v[23:24], v[29:30]
	global_load_dwordx4 v[27:30], v[43:44], off
	v_fma_f64 v[41:42], v[71:72], v[23:24], v[31:32]
	v_fma_f64 v[45:46], v[73:74], v[23:24], v[33:34]
	;; [unrolled: 1-line block ×3, first 2 shown]
	global_load_dwordx4 v[31:34], v[43:44], off offset:16
	v_fma_f64 v[19:20], v[77:78], v[25:26], v[19:20]
	v_fma_f64 v[51:52], v[79:80], v[25:26], v[41:42]
	v_fma_f64 v[53:54], v[81:82], v[25:26], v[45:46]
	v_fma_f64 v[6:7], v[83:84], v[25:26], v[6:7]
	global_load_dwordx4 v[23:26], v[43:44], off offset:32
	global_load_dwordx4 v[39:42], v[39:40], off offset:16
	;; [unrolled: 1-line block ×3, first 2 shown]
	s_waitcnt vmcnt(8)
	v_fma_f64 v[19:20], v[85:86], v[11:12], v[19:20]
	v_fma_f64 v[51:52], v[87:88], v[11:12], v[51:52]
	v_fma_f64 v[57:58], v[89:90], v[11:12], v[53:54]
	v_fma_f64 v[6:7], v[91:92], v[11:12], v[6:7]
	s_waitcnt vmcnt(4)
	v_cvt_f64_f32_e32 v[69:70], v27
	v_fma_f64 v[11:12], v[93:94], v[13:14], v[19:20]
	v_fma_f64 v[19:20], v[95:96], v[13:14], v[51:52]
	;; [unrolled: 1-line block ×4, first 2 shown]
	v_lshlrev_b32_e32 v13, 2, v1
	global_load_dwordx4 v[51:54], v[55:56], off offset:16
	v_cvt_f64_f32_e32 v[71:72], v28
	v_cvt_f64_f32_e32 v[73:74], v29
	;; [unrolled: 1-line block ×3, first 2 shown]
	v_ashrrev_i32_e32 v14, 31, v13
	global_load_dwordx4 v[27:30], v[55:56], off offset:32
	v_lshlrev_b64 v[13:14], 3, v[13:14]
	v_add_co_u32 v61, vcc_lo, s6, v13
	v_add_co_ci_u32_e64 v62, null, s7, v14, vcc_lo
	v_fma_f64 v[77:78], v[101:102], v[15:16], v[11:12]
	v_fma_f64 v[19:20], v[103:104], v[15:16], v[19:20]
	;; [unrolled: 1-line block ×3, first 2 shown]
	global_load_dwordx4 v[11:14], v[61:62], off
	v_fma_f64 v[6:7], v[107:108], v[15:16], v[6:7]
	global_load_dwordx4 v[55:58], v[55:56], off offset:48
	v_cmp_ge_i32_e32 vcc_lo, v0, v22
	s_or_b32 s8, vcc_lo, s8
	v_fma_f64 v[15:16], v[59:60], v[17:18], v[77:78]
	global_load_dwordx4 v[59:62], v[61:62], off offset:16
	v_fma_f64 v[19:20], v[63:64], v[17:18], v[19:20]
	v_fma_f64 v[63:64], v[65:66], v[17:18], v[79:80]
	;; [unrolled: 1-line block ×3, first 2 shown]
	s_waitcnt vmcnt(8)
	v_cvt_f64_f32_e32 v[17:18], v31
	v_cvt_f64_f32_e32 v[31:32], v32
	;; [unrolled: 1-line block ×4, first 2 shown]
	s_waitcnt vmcnt(7)
	v_cvt_f64_f32_e32 v[67:68], v25
	v_cvt_f64_f32_e32 v[25:26], v26
	v_fma_f64 v[15:16], v[69:70], v[35:36], v[15:16]
	v_fma_f64 v[19:20], v[71:72], v[35:36], v[19:20]
	;; [unrolled: 1-line block ×4, first 2 shown]
	v_cvt_f64_f32_e32 v[35:36], v23
	v_cvt_f64_f32_e32 v[23:24], v24
	v_fma_f64 v[15:16], v[17:18], v[37:38], v[15:16]
	v_fma_f64 v[17:18], v[31:32], v[37:38], v[19:20]
	;; [unrolled: 1-line block ×4, first 2 shown]
	s_waitcnt vmcnt(5)
	v_cvt_f64_f32_e32 v[31:32], v43
	v_cvt_f64_f32_e32 v[33:34], v44
	;; [unrolled: 1-line block ×4, first 2 shown]
	v_fma_f64 v[15:16], v[35:36], v[39:40], v[15:16]
	v_cvt_f64_f32_e32 v[35:36], v49
	v_fma_f64 v[17:18], v[23:24], v[39:40], v[17:18]
	v_fma_f64 v[19:20], v[67:68], v[39:40], v[19:20]
	;; [unrolled: 1-line block ×3, first 2 shown]
	v_cvt_f64_f32_e32 v[23:24], v47
	v_cvt_f64_f32_e32 v[25:26], v48
	;; [unrolled: 1-line block ×3, first 2 shown]
	v_fma_f64 v[15:16], v[31:32], v[41:42], v[15:16]
	v_fma_f64 v[17:18], v[33:34], v[41:42], v[17:18]
	;; [unrolled: 1-line block ×4, first 2 shown]
	s_waitcnt vmcnt(4)
	v_cvt_f64_f32_e32 v[31:32], v51
	v_cvt_f64_f32_e32 v[33:34], v52
	;; [unrolled: 1-line block ×4, first 2 shown]
	s_waitcnt vmcnt(2)
	v_fma_f64 v[15:16], v[23:24], v[11:12], v[15:16]
	v_fma_f64 v[17:18], v[25:26], v[11:12], v[17:18]
	v_fma_f64 v[19:20], v[35:36], v[11:12], v[19:20]
	v_fma_f64 v[6:7], v[39:40], v[11:12], v[6:7]
	v_cvt_f64_f32_e32 v[11:12], v27
	v_cvt_f64_f32_e32 v[23:24], v28
	v_cvt_f64_f32_e32 v[25:26], v29
	v_cvt_f64_f32_e32 v[27:28], v30
	s_waitcnt vmcnt(1)
	v_cvt_f64_f32_e32 v[29:30], v56
	v_fma_f64 v[15:16], v[31:32], v[13:14], v[15:16]
	v_fma_f64 v[17:18], v[33:34], v[13:14], v[17:18]
	;; [unrolled: 1-line block ×4, first 2 shown]
	v_cvt_f64_f32_e32 v[13:14], v55
	v_cvt_f64_f32_e32 v[31:32], v57
	;; [unrolled: 1-line block ×3, first 2 shown]
	s_waitcnt vmcnt(0)
	v_fma_f64 v[11:12], v[11:12], v[59:60], v[15:16]
	v_fma_f64 v[15:16], v[23:24], v[59:60], v[17:18]
	;; [unrolled: 1-line block ×8, first 2 shown]
	s_andn2_b32 exec_lo, exec_lo, s8
	s_cbranch_execnz .LBB154_33
; %bb.34:
	s_or_b32 exec_lo, exec_lo, s8
.LBB154_35:
	s_or_b32 exec_lo, exec_lo, s3
.LBB154_36:
	s_or_b32 exec_lo, exec_lo, s1
.LBB154_37:
	v_mbcnt_lo_u32_b32 v24, -1, 0
	v_or_b32_e32 v0, 32, v24
	v_cmp_gt_i32_e32 vcc_lo, 32, v0
	v_cndmask_b32_e32 v0, v24, v0, vcc_lo
	v_lshlrev_b32_e32 v20, 2, v0
	ds_bpermute_b32 v0, v20, v13
	ds_bpermute_b32 v1, v20, v14
	ds_bpermute_b32 v4, v20, v15
	ds_bpermute_b32 v5, v20, v16
	ds_bpermute_b32 v17, v20, v11
	ds_bpermute_b32 v18, v20, v12
	ds_bpermute_b32 v19, v20, v6
	ds_bpermute_b32 v20, v20, v7
	s_waitcnt lgkmcnt(6)
	v_add_f64 v[0:1], v[13:14], v[0:1]
	v_xor_b32_e32 v13, 16, v24
	s_waitcnt lgkmcnt(4)
	v_add_f64 v[4:5], v[15:16], v[4:5]
	s_waitcnt lgkmcnt(2)
	v_add_f64 v[11:12], v[11:12], v[17:18]
	s_waitcnt lgkmcnt(0)
	v_add_f64 v[6:7], v[6:7], v[19:20]
	v_cmp_gt_i32_e32 vcc_lo, 32, v13
	v_cndmask_b32_e32 v13, v24, v13, vcc_lo
	v_lshlrev_b32_e32 v20, 2, v13
	ds_bpermute_b32 v13, v20, v0
	ds_bpermute_b32 v14, v20, v1
	ds_bpermute_b32 v15, v20, v4
	ds_bpermute_b32 v16, v20, v5
	ds_bpermute_b32 v17, v20, v11
	ds_bpermute_b32 v18, v20, v12
	ds_bpermute_b32 v19, v20, v6
	ds_bpermute_b32 v20, v20, v7
	s_waitcnt lgkmcnt(6)
	v_add_f64 v[0:1], v[0:1], v[13:14]
	v_xor_b32_e32 v13, 8, v24
	s_waitcnt lgkmcnt(4)
	v_add_f64 v[4:5], v[4:5], v[15:16]
	s_waitcnt lgkmcnt(2)
	v_add_f64 v[11:12], v[11:12], v[17:18]
	s_waitcnt lgkmcnt(0)
	v_add_f64 v[6:7], v[6:7], v[19:20]
	;; [unrolled: 20-line block ×3, first 2 shown]
	v_cmp_gt_i32_e32 vcc_lo, 32, v13
	v_cndmask_b32_e32 v13, v24, v13, vcc_lo
	v_lshlrev_b32_e32 v20, 2, v13
	ds_bpermute_b32 v13, v20, v0
	ds_bpermute_b32 v14, v20, v1
	ds_bpermute_b32 v15, v20, v4
	ds_bpermute_b32 v16, v20, v5
	ds_bpermute_b32 v17, v20, v11
	ds_bpermute_b32 v18, v20, v12
	ds_bpermute_b32 v19, v20, v6
	ds_bpermute_b32 v20, v20, v7
	s_waitcnt lgkmcnt(6)
	v_add_f64 v[0:1], v[0:1], v[13:14]
	s_waitcnt lgkmcnt(4)
	v_add_f64 v[4:5], v[4:5], v[15:16]
	;; [unrolled: 2-line block ×4, first 2 shown]
	v_xor_b32_e32 v6, 2, v24
	v_cmp_gt_i32_e32 vcc_lo, 32, v6
	v_cndmask_b32_e32 v6, v24, v6, vcc_lo
	v_lshlrev_b32_e32 v11, 2, v6
	ds_bpermute_b32 v6, v11, v0
	ds_bpermute_b32 v7, v11, v1
	;; [unrolled: 1-line block ×8, first 2 shown]
	s_waitcnt lgkmcnt(6)
	v_add_f64 v[11:12], v[0:1], v[6:7]
	s_waitcnt lgkmcnt(4)
	v_add_f64 v[6:7], v[4:5], v[17:18]
	;; [unrolled: 2-line block ×3, first 2 shown]
	v_xor_b32_e32 v13, 1, v24
	s_waitcnt lgkmcnt(0)
	v_add_f64 v[4:5], v[15:16], v[22:23]
	v_cmp_gt_i32_e32 vcc_lo, 32, v13
	v_cndmask_b32_e32 v13, v24, v13, vcc_lo
	v_cmp_eq_u32_e32 vcc_lo, 63, v21
	v_lshlrev_b32_e32 v14, 2, v13
	ds_bpermute_b32 v19, v14, v11
	ds_bpermute_b32 v20, v14, v12
	;; [unrolled: 1-line block ×8, first 2 shown]
	s_and_b32 exec_lo, exec_lo, vcc_lo
	s_cbranch_execz .LBB154_10
; %bb.38:
	s_waitcnt lgkmcnt(6)
	v_add_f64 v[11:12], v[11:12], v[19:20]
	s_waitcnt lgkmcnt(4)
	v_add_f64 v[6:7], v[6:7], v[17:18]
	;; [unrolled: 2-line block ×4, first 2 shown]
	s_load_dwordx2 s[0:1], s[4:5], 0x50
	v_lshlrev_b32_e32 v10, 2, v10
	s_mov_b32 s2, exec_lo
	v_mul_f64 v[4:5], v[2:3], v[11:12]
	v_mul_f64 v[6:7], v[2:3], v[6:7]
	;; [unrolled: 1-line block ×4, first 2 shown]
	v_cmpx_eq_f64_e32 0, v[8:9]
	s_xor_b32 s2, exec_lo, s2
	s_cbranch_execz .LBB154_40
; %bb.39:
	v_ashrrev_i32_e32 v11, 31, v10
	v_lshlrev_b64 v[8:9], 3, v[10:11]
                                        ; implicit-def: $vgpr10
	s_waitcnt lgkmcnt(0)
	v_add_co_u32 v8, vcc_lo, s0, v8
	v_add_co_ci_u32_e64 v9, null, s1, v9, vcc_lo
	global_store_dwordx4 v[8:9], v[4:7], off
	global_store_dwordx4 v[8:9], v[0:3], off offset:16
                                        ; implicit-def: $vgpr8_vgpr9
                                        ; implicit-def: $vgpr4_vgpr5
                                        ; implicit-def: $vgpr0_vgpr1
.LBB154_40:
	s_andn2_saveexec_b32 s2, s2
	s_cbranch_execz .LBB154_10
; %bb.41:
	v_ashrrev_i32_e32 v11, 31, v10
	v_lshlrev_b64 v[10:11], 3, v[10:11]
	s_waitcnt lgkmcnt(0)
	v_add_co_u32 v18, vcc_lo, s0, v10
	v_add_co_ci_u32_e64 v19, null, s1, v11, vcc_lo
	s_clause 0x1
	global_load_dwordx4 v[10:13], v[18:19], off
	global_load_dwordx4 v[14:17], v[18:19], off offset:16
	s_waitcnt vmcnt(1)
	v_fma_f64 v[4:5], v[8:9], v[10:11], v[4:5]
	v_fma_f64 v[6:7], v[8:9], v[12:13], v[6:7]
	s_waitcnt vmcnt(0)
	v_fma_f64 v[0:1], v[8:9], v[14:15], v[0:1]
	v_fma_f64 v[2:3], v[8:9], v[16:17], v[2:3]
	global_store_dwordx4 v[18:19], v[4:7], off
	global_store_dwordx4 v[18:19], v[0:3], off offset:16
	s_endpgm
	.section	.rodata,"a",@progbits
	.p2align	6, 0x0
	.amdhsa_kernel _ZN9rocsparseL18bsrxmvn_4x4_kernelILj128ELj64EdiifddEEvT3_20rocsparse_direction_NS_24const_host_device_scalarIT1_EES1_PKS1_PKT2_SA_S7_PKT4_PKT5_S5_PT6_21rocsparse_index_base_b
		.amdhsa_group_segment_fixed_size 0
		.amdhsa_private_segment_fixed_size 0
		.amdhsa_kernarg_size 96
		.amdhsa_user_sgpr_count 6
		.amdhsa_user_sgpr_private_segment_buffer 1
		.amdhsa_user_sgpr_dispatch_ptr 0
		.amdhsa_user_sgpr_queue_ptr 0
		.amdhsa_user_sgpr_kernarg_segment_ptr 1
		.amdhsa_user_sgpr_dispatch_id 0
		.amdhsa_user_sgpr_flat_scratch_init 0
		.amdhsa_user_sgpr_private_segment_size 0
		.amdhsa_wavefront_size32 1
		.amdhsa_uses_dynamic_stack 0
		.amdhsa_system_sgpr_private_segment_wavefront_offset 0
		.amdhsa_system_sgpr_workgroup_id_x 1
		.amdhsa_system_sgpr_workgroup_id_y 0
		.amdhsa_system_sgpr_workgroup_id_z 0
		.amdhsa_system_sgpr_workgroup_info 0
		.amdhsa_system_vgpr_workitem_id 0
		.amdhsa_next_free_vgpr 112
		.amdhsa_next_free_sgpr 16
		.amdhsa_reserve_vcc 1
		.amdhsa_reserve_flat_scratch 0
		.amdhsa_float_round_mode_32 0
		.amdhsa_float_round_mode_16_64 0
		.amdhsa_float_denorm_mode_32 3
		.amdhsa_float_denorm_mode_16_64 3
		.amdhsa_dx10_clamp 1
		.amdhsa_ieee_mode 1
		.amdhsa_fp16_overflow 0
		.amdhsa_workgroup_processor_mode 1
		.amdhsa_memory_ordered 1
		.amdhsa_forward_progress 1
		.amdhsa_shared_vgpr_count 0
		.amdhsa_exception_fp_ieee_invalid_op 0
		.amdhsa_exception_fp_denorm_src 0
		.amdhsa_exception_fp_ieee_div_zero 0
		.amdhsa_exception_fp_ieee_overflow 0
		.amdhsa_exception_fp_ieee_underflow 0
		.amdhsa_exception_fp_ieee_inexact 0
		.amdhsa_exception_int_div_zero 0
	.end_amdhsa_kernel
	.section	.text._ZN9rocsparseL18bsrxmvn_4x4_kernelILj128ELj64EdiifddEEvT3_20rocsparse_direction_NS_24const_host_device_scalarIT1_EES1_PKS1_PKT2_SA_S7_PKT4_PKT5_S5_PT6_21rocsparse_index_base_b,"axG",@progbits,_ZN9rocsparseL18bsrxmvn_4x4_kernelILj128ELj64EdiifddEEvT3_20rocsparse_direction_NS_24const_host_device_scalarIT1_EES1_PKS1_PKT2_SA_S7_PKT4_PKT5_S5_PT6_21rocsparse_index_base_b,comdat
.Lfunc_end154:
	.size	_ZN9rocsparseL18bsrxmvn_4x4_kernelILj128ELj64EdiifddEEvT3_20rocsparse_direction_NS_24const_host_device_scalarIT1_EES1_PKS1_PKT2_SA_S7_PKT4_PKT5_S5_PT6_21rocsparse_index_base_b, .Lfunc_end154-_ZN9rocsparseL18bsrxmvn_4x4_kernelILj128ELj64EdiifddEEvT3_20rocsparse_direction_NS_24const_host_device_scalarIT1_EES1_PKS1_PKT2_SA_S7_PKT4_PKT5_S5_PT6_21rocsparse_index_base_b
                                        ; -- End function
	.set _ZN9rocsparseL18bsrxmvn_4x4_kernelILj128ELj64EdiifddEEvT3_20rocsparse_direction_NS_24const_host_device_scalarIT1_EES1_PKS1_PKT2_SA_S7_PKT4_PKT5_S5_PT6_21rocsparse_index_base_b.num_vgpr, 112
	.set _ZN9rocsparseL18bsrxmvn_4x4_kernelILj128ELj64EdiifddEEvT3_20rocsparse_direction_NS_24const_host_device_scalarIT1_EES1_PKS1_PKT2_SA_S7_PKT4_PKT5_S5_PT6_21rocsparse_index_base_b.num_agpr, 0
	.set _ZN9rocsparseL18bsrxmvn_4x4_kernelILj128ELj64EdiifddEEvT3_20rocsparse_direction_NS_24const_host_device_scalarIT1_EES1_PKS1_PKT2_SA_S7_PKT4_PKT5_S5_PT6_21rocsparse_index_base_b.numbered_sgpr, 16
	.set _ZN9rocsparseL18bsrxmvn_4x4_kernelILj128ELj64EdiifddEEvT3_20rocsparse_direction_NS_24const_host_device_scalarIT1_EES1_PKS1_PKT2_SA_S7_PKT4_PKT5_S5_PT6_21rocsparse_index_base_b.num_named_barrier, 0
	.set _ZN9rocsparseL18bsrxmvn_4x4_kernelILj128ELj64EdiifddEEvT3_20rocsparse_direction_NS_24const_host_device_scalarIT1_EES1_PKS1_PKT2_SA_S7_PKT4_PKT5_S5_PT6_21rocsparse_index_base_b.private_seg_size, 0
	.set _ZN9rocsparseL18bsrxmvn_4x4_kernelILj128ELj64EdiifddEEvT3_20rocsparse_direction_NS_24const_host_device_scalarIT1_EES1_PKS1_PKT2_SA_S7_PKT4_PKT5_S5_PT6_21rocsparse_index_base_b.uses_vcc, 1
	.set _ZN9rocsparseL18bsrxmvn_4x4_kernelILj128ELj64EdiifddEEvT3_20rocsparse_direction_NS_24const_host_device_scalarIT1_EES1_PKS1_PKT2_SA_S7_PKT4_PKT5_S5_PT6_21rocsparse_index_base_b.uses_flat_scratch, 0
	.set _ZN9rocsparseL18bsrxmvn_4x4_kernelILj128ELj64EdiifddEEvT3_20rocsparse_direction_NS_24const_host_device_scalarIT1_EES1_PKS1_PKT2_SA_S7_PKT4_PKT5_S5_PT6_21rocsparse_index_base_b.has_dyn_sized_stack, 0
	.set _ZN9rocsparseL18bsrxmvn_4x4_kernelILj128ELj64EdiifddEEvT3_20rocsparse_direction_NS_24const_host_device_scalarIT1_EES1_PKS1_PKT2_SA_S7_PKT4_PKT5_S5_PT6_21rocsparse_index_base_b.has_recursion, 0
	.set _ZN9rocsparseL18bsrxmvn_4x4_kernelILj128ELj64EdiifddEEvT3_20rocsparse_direction_NS_24const_host_device_scalarIT1_EES1_PKS1_PKT2_SA_S7_PKT4_PKT5_S5_PT6_21rocsparse_index_base_b.has_indirect_call, 0
	.section	.AMDGPU.csdata,"",@progbits
; Kernel info:
; codeLenInByte = 5504
; TotalNumSgprs: 18
; NumVgprs: 112
; ScratchSize: 0
; MemoryBound: 0
; FloatMode: 240
; IeeeMode: 1
; LDSByteSize: 0 bytes/workgroup (compile time only)
; SGPRBlocks: 0
; VGPRBlocks: 13
; NumSGPRsForWavesPerEU: 18
; NumVGPRsForWavesPerEU: 112
; Occupancy: 9
; WaveLimiterHint : 1
; COMPUTE_PGM_RSRC2:SCRATCH_EN: 0
; COMPUTE_PGM_RSRC2:USER_SGPR: 6
; COMPUTE_PGM_RSRC2:TRAP_HANDLER: 0
; COMPUTE_PGM_RSRC2:TGID_X_EN: 1
; COMPUTE_PGM_RSRC2:TGID_Y_EN: 0
; COMPUTE_PGM_RSRC2:TGID_Z_EN: 0
; COMPUTE_PGM_RSRC2:TIDIG_COMP_CNT: 0
	.section	.text._ZN9rocsparseL18bsrxmvn_4x4_kernelILj128ELj4EdlifddEEvT3_20rocsparse_direction_NS_24const_host_device_scalarIT1_EES1_PKS1_PKT2_SA_S7_PKT4_PKT5_S5_PT6_21rocsparse_index_base_b,"axG",@progbits,_ZN9rocsparseL18bsrxmvn_4x4_kernelILj128ELj4EdlifddEEvT3_20rocsparse_direction_NS_24const_host_device_scalarIT1_EES1_PKS1_PKT2_SA_S7_PKT4_PKT5_S5_PT6_21rocsparse_index_base_b,comdat
	.globl	_ZN9rocsparseL18bsrxmvn_4x4_kernelILj128ELj4EdlifddEEvT3_20rocsparse_direction_NS_24const_host_device_scalarIT1_EES1_PKS1_PKT2_SA_S7_PKT4_PKT5_S5_PT6_21rocsparse_index_base_b ; -- Begin function _ZN9rocsparseL18bsrxmvn_4x4_kernelILj128ELj4EdlifddEEvT3_20rocsparse_direction_NS_24const_host_device_scalarIT1_EES1_PKS1_PKT2_SA_S7_PKT4_PKT5_S5_PT6_21rocsparse_index_base_b
	.p2align	8
	.type	_ZN9rocsparseL18bsrxmvn_4x4_kernelILj128ELj4EdlifddEEvT3_20rocsparse_direction_NS_24const_host_device_scalarIT1_EES1_PKS1_PKT2_SA_S7_PKT4_PKT5_S5_PT6_21rocsparse_index_base_b,@function
_ZN9rocsparseL18bsrxmvn_4x4_kernelILj128ELj4EdlifddEEvT3_20rocsparse_direction_NS_24const_host_device_scalarIT1_EES1_PKS1_PKT2_SA_S7_PKT4_PKT5_S5_PT6_21rocsparse_index_base_b: ; @_ZN9rocsparseL18bsrxmvn_4x4_kernelILj128ELj4EdlifddEEvT3_20rocsparse_direction_NS_24const_host_device_scalarIT1_EES1_PKS1_PKT2_SA_S7_PKT4_PKT5_S5_PT6_21rocsparse_index_base_b
; %bb.0:
	s_clause 0x2
	s_load_dwordx2 s[2:3], s[4:5], 0x58
	s_load_dwordx2 s[8:9], s[4:5], 0x8
	;; [unrolled: 1-line block ×3, first 2 shown]
	s_waitcnt lgkmcnt(0)
	s_bitcmp1_b32 s3, 0
	v_mov_b32_e32 v2, s8
	v_mov_b32_e32 v3, s9
	s_cselect_b32 s3, -1, 0
	s_and_b32 vcc_lo, exec_lo, s3
	s_xor_b32 s3, s3, -1
	s_cbranch_vccnz .LBB155_2
; %bb.1:
	v_mov_b32_e32 v1, s8
	v_mov_b32_e32 v2, s9
	flat_load_dwordx2 v[2:3], v[1:2]
.LBB155_2:
	v_mov_b32_e32 v9, s1
	v_mov_b32_e32 v8, s0
	s_andn2_b32 vcc_lo, exec_lo, s3
	s_cbranch_vccnz .LBB155_4
; %bb.3:
	v_mov_b32_e32 v5, s1
	v_mov_b32_e32 v4, s0
	flat_load_dwordx2 v[8:9], v[4:5]
.LBB155_4:
	s_waitcnt vmcnt(0) lgkmcnt(0)
	v_cmp_neq_f64_e32 vcc_lo, 0, v[2:3]
	v_cmp_neq_f64_e64 s0, 1.0, v[8:9]
	s_or_b32 s0, vcc_lo, s0
	s_and_saveexec_b32 s1, s0
	s_cbranch_execz .LBB155_10
; %bb.5:
	s_clause 0x1
	s_load_dwordx2 s[8:9], s[4:5], 0x18
	s_load_dwordx2 s[0:1], s[4:5], 0x0
	v_lshrrev_b32_e32 v1, 2, v0
	v_lshl_or_b32 v10, s6, 5, v1
	s_waitcnt lgkmcnt(0)
	s_cmp_lg_u64 s[8:9], 0
	s_cbranch_scc0 .LBB155_11
; %bb.6:
	s_load_dword s3, s[4:5], 0x10
	s_mov_b32 s6, 0
                                        ; implicit-def: $vgpr1
	s_waitcnt lgkmcnt(0)
	v_cmp_gt_i32_e32 vcc_lo, s3, v10
	s_mov_b32 s3, 0
	s_and_saveexec_b32 s7, vcc_lo
	s_xor_b32 s7, exec_lo, s7
	s_cbranch_execz .LBB155_8
; %bb.7:
	v_ashrrev_i32_e32 v11, 31, v10
	s_mov_b32 s3, exec_lo
	v_lshlrev_b64 v[4:5], 2, v[10:11]
	v_add_co_u32 v4, vcc_lo, s8, v4
	v_add_co_ci_u32_e64 v5, null, s9, v5, vcc_lo
	global_load_dword v1, v[4:5], off
	s_waitcnt vmcnt(0)
	v_subrev_nc_u32_e32 v1, s2, v1
.LBB155_8:
	s_or_b32 exec_lo, exec_lo, s7
	s_and_b32 vcc_lo, exec_lo, s6
	s_cbranch_vccz .LBB155_12
.LBB155_9:
	v_cmp_gt_i32_e32 vcc_lo, s0, v10
	s_andn2_b32 s0, s3, exec_lo
	s_and_b32 s3, vcc_lo, exec_lo
	s_or_b32 s3, s0, s3
	s_and_b32 exec_lo, exec_lo, s3
	s_cbranch_execnz .LBB155_13
.LBB155_10:
	s_endpgm
.LBB155_11:
	s_mov_b32 s3, 0
                                        ; implicit-def: $vgpr1
	s_cbranch_execnz .LBB155_9
.LBB155_12:
	v_mov_b32_e32 v10, v1
	s_and_b32 exec_lo, exec_lo, s3
	s_cbranch_execz .LBB155_10
.LBB155_13:
	s_load_dwordx8 s[8:15], s[4:5], 0x20
	v_ashrrev_i32_e32 v11, 31, v10
	v_and_b32_e32 v31, 3, v0
	s_load_dwordx2 s[6:7], s[4:5], 0x40
	v_lshlrev_b64 v[4:5], 3, v[10:11]
	s_waitcnt lgkmcnt(0)
	v_add_co_u32 v6, vcc_lo, s8, v4
	v_add_co_ci_u32_e64 v7, null, s9, v5, vcc_lo
	v_add_co_u32 v1, vcc_lo, s10, v4
	v_add_co_ci_u32_e64 v4, null, s11, v5, vcc_lo
	v_add_co_u32 v11, vcc_lo, v6, 8
	global_load_dwordx2 v[19:20], v[6:7], off
	v_add_co_ci_u32_e64 v5, null, 0, v7, vcc_lo
	s_cmp_eq_u64 s[10:11], 0
	s_cselect_b32 vcc_lo, -1, 0
	s_cmp_eq_u32 s1, 1
	v_cndmask_b32_e32 v5, v4, v5, vcc_lo
	v_cndmask_b32_e32 v4, v1, v11, vcc_lo
	global_load_dwordx2 v[4:5], v[4:5], off
	s_waitcnt vmcnt(1)
	v_sub_co_u32 v0, vcc_lo, v19, s2
	v_subrev_co_ci_u32_e64 v1, null, 0, v20, vcc_lo
	v_add_co_u32 v0, vcc_lo, v0, v31
	v_add_co_ci_u32_e64 v1, null, 0, v1, vcc_lo
	v_lshlrev_b64 v[6:7], 6, v[0:1]
	s_waitcnt vmcnt(0)
	v_sub_co_u32 v4, vcc_lo, v4, s2
	v_subrev_co_ci_u32_e64 v5, null, 0, v5, vcc_lo
	v_add_co_u32 v6, vcc_lo, s14, v6
	v_cmp_lt_i64_e64 s0, v[0:1], v[4:5]
	v_add_co_ci_u32_e64 v7, null, s15, v7, vcc_lo
	s_cbranch_scc1 .LBB155_25
; %bb.14:
	v_mov_b32_e32 v11, 0
	v_mov_b32_e32 v13, 0
	;; [unrolled: 1-line block ×8, first 2 shown]
	s_and_saveexec_b32 s3, s0
	s_cbranch_execz .LBB155_24
; %bb.15:
	v_or_b32_e32 v11, 4, v31
	v_not_b32_e32 v14, v19
	v_not_b32_e32 v13, v20
	v_mov_b32_e32 v22, 0
	v_mov_b32_e32 v17, 0
	v_sub_co_u32 v11, s1, v11, s2
	v_sub_co_ci_u32_e64 v12, null, 0, 0, s1
	v_sub_co_u32 v15, s1, s2, v31
	v_add_co_u32 v11, vcc_lo, v11, v19
	v_add_co_ci_u32_e64 v12, null, v12, v20, vcc_lo
	v_sub_co_ci_u32_e64 v16, null, 0, 0, s1
	v_mov_b32_e32 v24, v1
	v_cmp_gt_i64_e32 vcc_lo, v[11:12], v[4:5]
	v_mov_b32_e32 v18, 0
	v_mov_b32_e32 v23, v0
	v_cndmask_b32_e32 v12, v5, v12, vcc_lo
	v_cndmask_b32_e32 v11, v4, v11, vcc_lo
	v_add_co_u32 v14, vcc_lo, v15, v14
	v_add_co_ci_u32_e64 v13, null, v16, v13, vcc_lo
	v_mov_b32_e32 v15, 0
	v_add_co_u32 v25, vcc_lo, v14, v11
	v_add_co_ci_u32_e64 v26, null, v13, v12, vcc_lo
	v_mov_b32_e32 v13, 0
	v_and_b32_e32 v21, 12, v25
	v_mov_b32_e32 v11, 0
	v_mov_b32_e32 v16, 0
	;; [unrolled: 1-line block ×4, first 2 shown]
	v_cmp_ne_u64_e32 vcc_lo, 12, v[21:22]
	v_mov_b32_e32 v22, v7
	v_mov_b32_e32 v21, v6
	s_and_saveexec_b32 s8, vcc_lo
	s_cbranch_execz .LBB155_19
; %bb.16:
	v_lshrrev_b32_e32 v11, 2, v25
	v_lshlrev_b64 v[17:18], 2, v[0:1]
	v_mov_b32_e32 v22, v7
	v_mov_b32_e32 v13, 0
	;; [unrolled: 1-line block ×3, first 2 shown]
	v_add_nc_u32_e32 v23, 1, v11
	v_mov_b32_e32 v11, 0
	v_add_co_u32 v27, vcc_lo, s12, v17
	v_add_co_ci_u32_e64 v28, null, s13, v18, vcc_lo
	v_and_b32_e32 v23, 3, v23
	v_mov_b32_e32 v17, 0
	v_mov_b32_e32 v12, 0
	;; [unrolled: 1-line block ×4, first 2 shown]
	v_sub_co_u32 v29, s1, 0, v23
	v_mov_b32_e32 v24, v1
	v_mov_b32_e32 v16, 0
	v_sub_co_ci_u32_e64 v30, null, 0, 0, s1
	v_mov_b32_e32 v18, 0
	v_mov_b32_e32 v23, v0
	s_mov_b32 s9, 0
.LBB155_17:                             ; =>This Inner Loop Header: Depth=1
	global_load_dword v48, v[27:28], off
	s_clause 0x3
	global_load_dwordx4 v[32:35], v[21:22], off offset:48
	global_load_dwordx4 v[36:39], v[21:22], off offset:32
	;; [unrolled: 1-line block ×3, first 2 shown]
	global_load_dwordx4 v[44:47], v[21:22], off
	v_add_co_u32 v27, s1, v27, 16
	v_add_co_ci_u32_e64 v28, null, 0, v28, s1
	s_waitcnt vmcnt(4)
	v_subrev_nc_u32_e32 v48, s2, v48
	s_waitcnt vmcnt(3)
	v_cvt_f64_f32_e32 v[62:63], v32
	s_waitcnt vmcnt(2)
	v_cvt_f64_f32_e32 v[60:61], v36
	;; [unrolled: 2-line block ×4, first 2 shown]
	v_lshlrev_b32_e32 v48, 2, v48
	v_cvt_f64_f32_e32 v[44:45], v45
	v_cvt_f64_f32_e32 v[40:41], v41
	;; [unrolled: 1-line block ×4, first 2 shown]
	v_ashrrev_i32_e32 v49, 31, v48
	v_lshlrev_b64 v[48:49], 3, v[48:49]
	v_add_co_u32 v52, vcc_lo, s6, v48
	v_add_co_ci_u32_e64 v53, null, s7, v49, vcc_lo
	v_add_co_u32 v21, vcc_lo, 0x100, v21
	v_add_co_ci_u32_e64 v22, null, 0, v22, vcc_lo
	s_clause 0x1
	global_load_dwordx4 v[48:51], v[52:53], off
	global_load_dwordx4 v[52:55], v[52:53], off offset:16
	v_add_co_u32 v29, vcc_lo, v29, 1
	v_add_co_ci_u32_e64 v30, null, 0, v30, vcc_lo
	v_add_co_u32 v23, vcc_lo, v23, 4
	v_add_co_ci_u32_e64 v24, null, 0, v24, vcc_lo
	v_cmp_eq_u64_e32 vcc_lo, 0, v[29:30]
	s_or_b32 s9, vcc_lo, s9
	s_waitcnt vmcnt(1)
	v_fma_f64 v[17:18], v[56:57], v[48:49], v[17:18]
	v_fma_f64 v[15:16], v[58:59], v[48:49], v[15:16]
	;; [unrolled: 1-line block ×4, first 2 shown]
	v_cvt_f64_f32_e32 v[48:49], v46
	v_cvt_f64_f32_e32 v[56:57], v42
	;; [unrolled: 1-line block ×6, first 2 shown]
	v_fma_f64 v[17:18], v[44:45], v[50:51], v[17:18]
	v_fma_f64 v[15:16], v[40:41], v[50:51], v[15:16]
	v_fma_f64 v[13:14], v[36:37], v[50:51], v[13:14]
	v_fma_f64 v[11:12], v[32:33], v[50:51], v[11:12]
	v_cvt_f64_f32_e32 v[32:33], v47
	v_cvt_f64_f32_e32 v[36:37], v43
	s_waitcnt vmcnt(0)
	v_fma_f64 v[17:18], v[48:49], v[52:53], v[17:18]
	v_fma_f64 v[15:16], v[56:57], v[52:53], v[15:16]
	;; [unrolled: 1-line block ×8, first 2 shown]
	s_andn2_b32 exec_lo, exec_lo, s9
	s_cbranch_execnz .LBB155_17
; %bb.18:
	s_or_b32 exec_lo, exec_lo, s9
.LBB155_19:
	s_or_b32 exec_lo, exec_lo, s8
	s_mov_b32 s8, exec_lo
	v_cmpx_lt_u64_e32 11, v[25:26]
	s_cbranch_execz .LBB155_23
; %bb.20:
	v_lshlrev_b64 v[25:26], 2, v[23:24]
	s_mov_b32 s9, 0
	v_add_co_u32 v25, vcc_lo, s12, v25
	v_add_co_ci_u32_e64 v26, null, s13, v26, vcc_lo
	v_add_co_u32 v25, vcc_lo, v25, 32
	v_add_co_ci_u32_e64 v26, null, 0, v26, vcc_lo
.LBB155_21:                             ; =>This Inner Loop Header: Depth=1
	s_clause 0x3
	global_load_dword v44, v[25:26], off offset:-32
	global_load_dword v68, v[25:26], off offset:-16
	global_load_dword v92, v[25:26], off
	global_load_dword v116, v[25:26], off offset:16
	s_clause 0x3
	global_load_dwordx4 v[27:30], v[21:22], off
	global_load_dwordx4 v[32:35], v[21:22], off offset:16
	global_load_dwordx4 v[36:39], v[21:22], off offset:32
	;; [unrolled: 1-line block ×3, first 2 shown]
	v_add_co_u32 v25, s1, v25, 64
	v_add_co_ci_u32_e64 v26, null, 0, v26, s1
	s_waitcnt vmcnt(7)
	v_subrev_nc_u32_e32 v44, s2, v44
	s_waitcnt vmcnt(6)
	v_subrev_nc_u32_e32 v68, s2, v68
	;; [unrolled: 2-line block ×4, first 2 shown]
	s_waitcnt vmcnt(3)
	v_cvt_f64_f32_e32 v[124:125], v27
	v_lshlrev_b32_e32 v44, 2, v44
	v_lshlrev_b32_e32 v68, 2, v68
	;; [unrolled: 1-line block ×4, first 2 shown]
	s_waitcnt vmcnt(2)
	v_cvt_f64_f32_e32 v[126:127], v32
	v_ashrrev_i32_e32 v45, 31, v44
	v_ashrrev_i32_e32 v69, 31, v68
	;; [unrolled: 1-line block ×4, first 2 shown]
	s_waitcnt vmcnt(1)
	v_cvt_f64_f32_e32 v[128:129], v36
	v_lshlrev_b64 v[44:45], 3, v[44:45]
	v_lshlrev_b64 v[68:69], 3, v[68:69]
	;; [unrolled: 1-line block ×4, first 2 shown]
	s_waitcnt vmcnt(0)
	v_cvt_f64_f32_e32 v[130:131], v40
	v_cvt_f64_f32_e32 v[27:28], v28
	v_add_co_u32 v48, vcc_lo, s6, v44
	v_add_co_ci_u32_e64 v49, null, s7, v45, vcc_lo
	v_add_co_u32 v72, vcc_lo, s6, v68
	v_add_co_ci_u32_e64 v73, null, s7, v69, vcc_lo
	s_clause 0x1
	global_load_dwordx4 v[44:47], v[48:49], off
	global_load_dwordx4 v[48:51], v[48:49], off offset:16
	s_clause 0x3
	global_load_dwordx4 v[52:55], v[21:22], off offset:304
	global_load_dwordx4 v[56:59], v[21:22], off offset:288
	;; [unrolled: 1-line block ×4, first 2 shown]
	s_clause 0x1
	global_load_dwordx4 v[68:71], v[72:73], off
	global_load_dwordx4 v[72:75], v[72:73], off offset:16
	s_clause 0x3
	global_load_dwordx4 v[76:79], v[21:22], off offset:560
	global_load_dwordx4 v[80:83], v[21:22], off offset:544
	;; [unrolled: 1-line block ×4, first 2 shown]
	v_add_co_u32 v96, vcc_lo, s6, v92
	v_add_co_ci_u32_e64 v97, null, s7, v93, vcc_lo
	s_clause 0x1
	global_load_dwordx4 v[92:95], v[96:97], off
	global_load_dwordx4 v[96:99], v[96:97], off offset:16
	s_clause 0x3
	global_load_dwordx4 v[100:103], v[21:22], off offset:784
	global_load_dwordx4 v[104:107], v[21:22], off offset:768
	;; [unrolled: 1-line block ×4, first 2 shown]
	v_add_co_u32 v120, vcc_lo, s6, v116
	v_add_co_ci_u32_e64 v121, null, s7, v117, vcc_lo
	v_cvt_f64_f32_e32 v[32:33], v33
	v_cvt_f64_f32_e32 v[36:37], v37
	;; [unrolled: 1-line block ×3, first 2 shown]
	s_clause 0x1
	global_load_dwordx4 v[116:119], v[120:121], off
	global_load_dwordx4 v[120:123], v[120:121], off offset:16
	v_add_co_u32 v23, vcc_lo, v23, 16
	v_add_co_ci_u32_e64 v24, null, 0, v24, vcc_lo
	v_add_co_u32 v21, vcc_lo, 0x400, v21
	v_add_co_ci_u32_e64 v22, null, 0, v22, vcc_lo
	v_cmp_ge_i64_e32 vcc_lo, v[23:24], v[4:5]
	s_or_b32 s9, vcc_lo, s9
	s_waitcnt vmcnt(19)
	v_fma_f64 v[17:18], v[124:125], v[44:45], v[17:18]
	v_fma_f64 v[15:16], v[126:127], v[44:45], v[15:16]
	;; [unrolled: 1-line block ×4, first 2 shown]
	v_cvt_f64_f32_e32 v[44:45], v29
	v_cvt_f64_f32_e32 v[124:125], v34
	v_cvt_f64_f32_e32 v[29:30], v30
	v_cvt_f64_f32_e32 v[34:35], v35
	v_fma_f64 v[17:18], v[27:28], v[46:47], v[17:18]
	v_cvt_f64_f32_e32 v[27:28], v38
	v_fma_f64 v[15:16], v[32:33], v[46:47], v[15:16]
	v_cvt_f64_f32_e32 v[32:33], v42
	v_fma_f64 v[13:14], v[36:37], v[46:47], v[13:14]
	v_fma_f64 v[11:12], v[40:41], v[46:47], v[11:12]
	v_cvt_f64_f32_e32 v[36:37], v39
	v_cvt_f64_f32_e32 v[38:39], v43
	s_waitcnt vmcnt(16)
	v_cvt_f64_f32_e32 v[40:41], v56
	v_cvt_f64_f32_e32 v[42:43], v52
	v_fma_f64 v[17:18], v[44:45], v[48:49], v[17:18]
	v_fma_f64 v[15:16], v[124:125], v[48:49], v[15:16]
	;; [unrolled: 1-line block ×4, first 2 shown]
	s_waitcnt vmcnt(14)
	v_cvt_f64_f32_e32 v[27:28], v64
	v_cvt_f64_f32_e32 v[32:33], v60
	v_fma_f64 v[17:18], v[29:30], v[50:51], v[17:18]
	v_cvt_f64_f32_e32 v[29:30], v65
	v_fma_f64 v[15:16], v[34:35], v[50:51], v[15:16]
	;; [unrolled: 2-line block ×3, first 2 shown]
	v_fma_f64 v[11:12], v[38:39], v[50:51], v[11:12]
	v_cvt_f64_f32_e32 v[36:37], v57
	v_cvt_f64_f32_e32 v[38:39], v53
	s_waitcnt vmcnt(13)
	v_fma_f64 v[17:18], v[27:28], v[68:69], v[17:18]
	v_cvt_f64_f32_e32 v[27:28], v66
	v_fma_f64 v[15:16], v[32:33], v[68:69], v[15:16]
	v_cvt_f64_f32_e32 v[32:33], v62
	v_fma_f64 v[13:14], v[40:41], v[68:69], v[13:14]
	v_fma_f64 v[11:12], v[42:43], v[68:69], v[11:12]
	v_cvt_f64_f32_e32 v[40:41], v58
	v_cvt_f64_f32_e32 v[42:43], v54
	v_fma_f64 v[17:18], v[29:30], v[70:71], v[17:18]
	v_cvt_f64_f32_e32 v[29:30], v67
	v_fma_f64 v[15:16], v[34:35], v[70:71], v[15:16]
	;; [unrolled: 2-line block ×3, first 2 shown]
	v_fma_f64 v[11:12], v[38:39], v[70:71], v[11:12]
	v_cvt_f64_f32_e32 v[36:37], v59
	v_cvt_f64_f32_e32 v[38:39], v55
	s_waitcnt vmcnt(12)
	v_fma_f64 v[17:18], v[27:28], v[72:73], v[17:18]
	s_waitcnt vmcnt(8)
	v_cvt_f64_f32_e32 v[27:28], v88
	v_fma_f64 v[15:16], v[32:33], v[72:73], v[15:16]
	v_cvt_f64_f32_e32 v[32:33], v84
	v_fma_f64 v[13:14], v[40:41], v[72:73], v[13:14]
	v_fma_f64 v[11:12], v[42:43], v[72:73], v[11:12]
	v_cvt_f64_f32_e32 v[40:41], v80
	v_cvt_f64_f32_e32 v[42:43], v76
	v_fma_f64 v[17:18], v[29:30], v[74:75], v[17:18]
	v_cvt_f64_f32_e32 v[29:30], v89
	v_fma_f64 v[15:16], v[34:35], v[74:75], v[15:16]
	;; [unrolled: 2-line block ×3, first 2 shown]
	v_fma_f64 v[11:12], v[38:39], v[74:75], v[11:12]
	v_cvt_f64_f32_e32 v[36:37], v81
	v_cvt_f64_f32_e32 v[38:39], v77
	s_waitcnt vmcnt(7)
	v_fma_f64 v[17:18], v[27:28], v[92:93], v[17:18]
	v_cvt_f64_f32_e32 v[27:28], v90
	v_fma_f64 v[15:16], v[32:33], v[92:93], v[15:16]
	v_cvt_f64_f32_e32 v[32:33], v86
	v_fma_f64 v[13:14], v[40:41], v[92:93], v[13:14]
	v_fma_f64 v[11:12], v[42:43], v[92:93], v[11:12]
	v_cvt_f64_f32_e32 v[40:41], v82
	v_cvt_f64_f32_e32 v[42:43], v78
	v_fma_f64 v[17:18], v[29:30], v[94:95], v[17:18]
	v_cvt_f64_f32_e32 v[29:30], v91
	v_fma_f64 v[15:16], v[34:35], v[94:95], v[15:16]
	;; [unrolled: 2-line block ×3, first 2 shown]
	v_fma_f64 v[11:12], v[38:39], v[94:95], v[11:12]
	v_cvt_f64_f32_e32 v[36:37], v83
	v_cvt_f64_f32_e32 v[38:39], v79
	s_waitcnt vmcnt(6)
	v_fma_f64 v[17:18], v[27:28], v[96:97], v[17:18]
	s_waitcnt vmcnt(4)
	v_cvt_f64_f32_e32 v[27:28], v104
	v_fma_f64 v[15:16], v[32:33], v[96:97], v[15:16]
	v_cvt_f64_f32_e32 v[32:33], v100
	v_fma_f64 v[13:14], v[40:41], v[96:97], v[13:14]
	v_fma_f64 v[11:12], v[42:43], v[96:97], v[11:12]
	s_waitcnt vmcnt(3)
	v_cvt_f64_f32_e32 v[40:41], v108
	s_waitcnt vmcnt(2)
	v_cvt_f64_f32_e32 v[42:43], v112
	v_fma_f64 v[17:18], v[29:30], v[98:99], v[17:18]
	v_cvt_f64_f32_e32 v[29:30], v105
	v_fma_f64 v[15:16], v[34:35], v[98:99], v[15:16]
	;; [unrolled: 2-line block ×3, first 2 shown]
	v_fma_f64 v[11:12], v[38:39], v[98:99], v[11:12]
	v_cvt_f64_f32_e32 v[36:37], v109
	v_cvt_f64_f32_e32 v[38:39], v113
	s_waitcnt vmcnt(1)
	v_fma_f64 v[17:18], v[27:28], v[116:117], v[17:18]
	v_cvt_f64_f32_e32 v[27:28], v106
	v_fma_f64 v[15:16], v[32:33], v[116:117], v[15:16]
	v_cvt_f64_f32_e32 v[32:33], v102
	v_fma_f64 v[13:14], v[40:41], v[116:117], v[13:14]
	v_fma_f64 v[11:12], v[42:43], v[116:117], v[11:12]
	v_cvt_f64_f32_e32 v[40:41], v110
	v_cvt_f64_f32_e32 v[42:43], v114
	v_fma_f64 v[17:18], v[29:30], v[118:119], v[17:18]
	v_cvt_f64_f32_e32 v[29:30], v107
	v_fma_f64 v[15:16], v[34:35], v[118:119], v[15:16]
	;; [unrolled: 2-line block ×3, first 2 shown]
	v_fma_f64 v[11:12], v[38:39], v[118:119], v[11:12]
	v_cvt_f64_f32_e32 v[36:37], v111
	v_cvt_f64_f32_e32 v[38:39], v115
	s_waitcnt vmcnt(0)
	v_fma_f64 v[17:18], v[27:28], v[120:121], v[17:18]
	v_fma_f64 v[15:16], v[32:33], v[120:121], v[15:16]
	;; [unrolled: 1-line block ×8, first 2 shown]
	s_andn2_b32 exec_lo, exec_lo, s9
	s_cbranch_execnz .LBB155_21
; %bb.22:
	s_or_b32 exec_lo, exec_lo, s9
.LBB155_23:
	s_or_b32 exec_lo, exec_lo, s8
.LBB155_24:
	s_or_b32 exec_lo, exec_lo, s3
	s_cbranch_execz .LBB155_26
	s_branch .LBB155_37
.LBB155_25:
                                        ; implicit-def: $vgpr11_vgpr12
                                        ; implicit-def: $vgpr13_vgpr14
                                        ; implicit-def: $vgpr15_vgpr16
                                        ; implicit-def: $vgpr17_vgpr18
.LBB155_26:
	v_mov_b32_e32 v11, 0
	v_mov_b32_e32 v13, 0
	;; [unrolled: 1-line block ×8, first 2 shown]
	s_and_saveexec_b32 s1, s0
	s_cbranch_execz .LBB155_36
; %bb.27:
	v_or_b32_e32 v11, 4, v31
	v_not_b32_e32 v14, v19
	v_not_b32_e32 v13, v20
	v_sub_co_u32 v11, s0, v11, s2
	v_sub_co_ci_u32_e64 v12, null, 0, 0, s0
	v_sub_co_u32 v15, s0, s2, v31
	v_add_co_u32 v11, vcc_lo, v11, v19
	v_add_co_ci_u32_e64 v12, null, v12, v20, vcc_lo
	v_sub_co_ci_u32_e64 v16, null, 0, 0, s0
	v_cmp_gt_i64_e32 vcc_lo, v[11:12], v[4:5]
	v_cndmask_b32_e32 v17, v5, v12, vcc_lo
	v_cndmask_b32_e32 v11, v4, v11, vcc_lo
	v_add_co_u32 v12, vcc_lo, v15, v14
	v_add_co_ci_u32_e64 v13, null, v16, v13, vcc_lo
	v_mov_b32_e32 v15, 0
	v_add_co_u32 v19, vcc_lo, v12, v11
	v_mov_b32_e32 v12, 0
	v_add_co_ci_u32_e64 v20, null, v13, v17, vcc_lo
	v_and_b32_e32 v11, 12, v19
	v_mov_b32_e32 v17, 0
	v_mov_b32_e32 v13, 0
	v_mov_b32_e32 v18, 0
	v_mov_b32_e32 v16, 0
	v_cmp_ne_u64_e32 vcc_lo, 12, v[11:12]
	v_mov_b32_e32 v11, 0
	v_mov_b32_e32 v14, 0
	;; [unrolled: 1-line block ×3, first 2 shown]
	s_and_saveexec_b32 s3, vcc_lo
	s_cbranch_execz .LBB155_31
; %bb.28:
	v_lshrrev_b32_e32 v11, 2, v19
	v_lshlrev_b64 v[21:22], 2, v[0:1]
	v_mov_b32_e32 v13, 0
	v_mov_b32_e32 v15, 0
	;; [unrolled: 1-line block ×3, first 2 shown]
	v_add_nc_u32_e32 v23, 1, v11
	v_mov_b32_e32 v11, 0
	v_add_co_u32 v21, vcc_lo, s12, v21
	v_mov_b32_e32 v12, 0
	v_and_b32_e32 v23, 3, v23
	v_mov_b32_e32 v14, 0
	v_mov_b32_e32 v16, 0
	;; [unrolled: 1-line block ×3, first 2 shown]
	v_add_co_ci_u32_e64 v22, null, s13, v22, vcc_lo
	v_sub_co_u32 v23, s0, 0, v23
	v_sub_co_ci_u32_e64 v24, null, 0, 0, s0
	s_mov_b32 s8, 0
.LBB155_29:                             ; =>This Inner Loop Header: Depth=1
	global_load_dword v29, v[21:22], off
	s_clause 0x1
	global_load_dwordx4 v[25:28], v[6:7], off offset:16
	global_load_dwordx4 v[32:35], v[6:7], off
	v_add_co_u32 v21, s0, v21, 16
	v_add_co_ci_u32_e64 v22, null, 0, v22, s0
	s_waitcnt vmcnt(2)
	v_subrev_nc_u32_e32 v29, s2, v29
	s_waitcnt vmcnt(1)
	v_cvt_f64_f32_e32 v[54:55], v25
	s_waitcnt vmcnt(0)
	v_cvt_f64_f32_e32 v[52:53], v34
	v_cvt_f64_f32_e32 v[34:35], v35
	;; [unrolled: 1-line block ×3, first 2 shown]
	v_lshlrev_b32_e32 v29, 2, v29
	v_cvt_f64_f32_e32 v[56:57], v27
	v_cvt_f64_f32_e32 v[27:28], v28
	v_ashrrev_i32_e32 v30, 31, v29
	v_lshlrev_b64 v[29:30], 3, v[29:30]
	v_add_co_u32 v29, vcc_lo, s6, v29
	v_add_co_ci_u32_e64 v30, null, s7, v30, vcc_lo
	s_clause 0x1
	global_load_dwordx4 v[36:39], v[29:30], off
	global_load_dwordx4 v[40:43], v[29:30], off offset:16
	s_clause 0x1
	global_load_dwordx4 v[44:47], v[6:7], off offset:32
	global_load_dwordx4 v[48:51], v[6:7], off offset:48
	v_cvt_f64_f32_e32 v[29:30], v32
	v_cvt_f64_f32_e32 v[32:33], v33
	v_add_co_u32 v6, vcc_lo, 0x100, v6
	v_add_co_ci_u32_e64 v7, null, 0, v7, vcc_lo
	v_add_co_u32 v23, vcc_lo, v23, 1
	v_add_co_ci_u32_e64 v24, null, 0, v24, vcc_lo
	;; [unrolled: 2-line block ×3, first 2 shown]
	v_cmp_eq_u64_e32 vcc_lo, 0, v[23:24]
	s_or_b32 s8, vcc_lo, s8
	s_waitcnt vmcnt(3)
	v_fma_f64 v[17:18], v[29:30], v[36:37], v[17:18]
	v_fma_f64 v[15:16], v[32:33], v[36:37], v[15:16]
	;; [unrolled: 1-line block ×4, first 2 shown]
	s_waitcnt vmcnt(1)
	v_cvt_f64_f32_e32 v[29:30], v44
	v_cvt_f64_f32_e32 v[32:33], v45
	;; [unrolled: 1-line block ×4, first 2 shown]
	s_waitcnt vmcnt(0)
	v_cvt_f64_f32_e32 v[44:45], v51
	v_fma_f64 v[17:18], v[54:55], v[38:39], v[17:18]
	v_fma_f64 v[15:16], v[25:26], v[38:39], v[15:16]
	;; [unrolled: 1-line block ×4, first 2 shown]
	v_cvt_f64_f32_e32 v[25:26], v48
	v_cvt_f64_f32_e32 v[27:28], v49
	;; [unrolled: 1-line block ×3, first 2 shown]
	v_fma_f64 v[17:18], v[29:30], v[40:41], v[17:18]
	v_fma_f64 v[15:16], v[32:33], v[40:41], v[15:16]
	;; [unrolled: 1-line block ×8, first 2 shown]
	s_andn2_b32 exec_lo, exec_lo, s8
	s_cbranch_execnz .LBB155_29
; %bb.30:
	s_or_b32 exec_lo, exec_lo, s8
.LBB155_31:
	s_or_b32 exec_lo, exec_lo, s3
	s_mov_b32 s3, exec_lo
	v_cmpx_lt_u64_e32 11, v[19:20]
	s_cbranch_execz .LBB155_35
; %bb.32:
	v_lshlrev_b64 v[19:20], 2, v[0:1]
	s_mov_b32 s8, 0
	v_add_co_u32 v19, vcc_lo, s12, v19
	v_add_co_ci_u32_e64 v20, null, s13, v20, vcc_lo
	v_add_co_u32 v19, vcc_lo, v19, 32
	v_add_co_ci_u32_e64 v20, null, 0, v20, vcc_lo
.LBB155_33:                             ; =>This Inner Loop Header: Depth=1
	s_clause 0x2
	global_load_dword v29, v[19:20], off offset:-32
	global_load_dword v52, v[19:20], off offset:-16
	global_load_dword v76, v[19:20], off
	s_clause 0x2
	global_load_dwordx4 v[21:24], v[6:7], off
	global_load_dwordx4 v[25:28], v[6:7], off offset:16
	global_load_dwordx4 v[32:35], v[6:7], off offset:32
	global_load_dword v114, v[19:20], off offset:16
	v_add_co_u32 v19, s0, v19, 64
	v_add_co_ci_u32_e64 v20, null, 0, v20, s0
	s_waitcnt vmcnt(6)
	v_subrev_nc_u32_e32 v29, s2, v29
	s_waitcnt vmcnt(3)
	v_cvt_f64_f32_e32 v[100:101], v22
	v_cvt_f64_f32_e32 v[102:103], v23
	v_lshlrev_b32_e32 v29, 2, v29
	v_cvt_f64_f32_e32 v[104:105], v24
	s_waitcnt vmcnt(1)
	v_cvt_f64_f32_e32 v[116:117], v33
	v_cvt_f64_f32_e32 v[106:107], v25
	;; [unrolled: 1-line block ×3, first 2 shown]
	v_ashrrev_i32_e32 v30, 31, v29
	v_cvt_f64_f32_e32 v[110:111], v27
	v_cvt_f64_f32_e32 v[112:113], v28
	;; [unrolled: 1-line block ×4, first 2 shown]
	v_lshlrev_b64 v[29:30], 3, v[29:30]
	v_add_co_u32 v29, vcc_lo, s6, v29
	v_add_co_ci_u32_e64 v30, null, s7, v30, vcc_lo
	global_load_dwordx4 v[36:39], v[29:30], off
	global_load_dwordx4 v[40:43], v[6:7], off offset:48
	global_load_dwordx4 v[44:47], v[29:30], off offset:16
	;; [unrolled: 1-line block ×3, first 2 shown]
	v_subrev_nc_u32_e32 v29, s2, v52
	v_lshlrev_b32_e32 v29, 2, v29
	v_ashrrev_i32_e32 v30, 31, v29
	v_lshlrev_b64 v[29:30], 3, v[29:30]
	v_add_co_u32 v29, vcc_lo, s6, v29
	v_add_co_ci_u32_e64 v30, null, s7, v30, vcc_lo
	global_load_dwordx4 v[52:55], v[6:7], off offset:272
	global_load_dwordx4 v[56:59], v[29:30], off
	s_clause 0x1
	global_load_dwordx4 v[60:63], v[6:7], off offset:288
	global_load_dwordx4 v[64:67], v[6:7], off offset:304
	;; [unrolled: 1-line block ×4, first 2 shown]
	v_subrev_nc_u32_e32 v29, s2, v76
	v_lshlrev_b32_e32 v29, 2, v29
	v_ashrrev_i32_e32 v30, 31, v29
	v_lshlrev_b64 v[29:30], 3, v[29:30]
	v_add_co_u32 v29, vcc_lo, s6, v29
	v_add_co_ci_u32_e64 v30, null, s7, v30, vcc_lo
	global_load_dwordx4 v[76:79], v[6:7], off offset:528
	global_load_dwordx4 v[80:83], v[29:30], off
	s_clause 0x1
	global_load_dwordx4 v[84:87], v[6:7], off offset:544
	global_load_dwordx4 v[88:91], v[6:7], off offset:560
	;; [unrolled: 1-line block ×4, first 2 shown]
	v_cvt_f64_f32_e32 v[29:30], v21
	s_waitcnt vmcnt(16)
	v_subrev_nc_u32_e32 v21, s2, v114
	v_cvt_f64_f32_e32 v[114:115], v32
	global_load_dwordx4 v[25:28], v[6:7], off offset:800
	v_lshlrev_b32_e32 v21, 2, v21
	v_ashrrev_i32_e32 v22, 31, v21
	v_lshlrev_b64 v[21:22], 3, v[21:22]
	v_add_co_u32 v122, vcc_lo, s6, v21
	v_add_co_ci_u32_e64 v123, null, s7, v22, vcc_lo
	global_load_dwordx4 v[21:24], v[6:7], off offset:784
	v_add_co_u32 v0, vcc_lo, v0, 16
	v_add_co_ci_u32_e64 v1, null, 0, v1, vcc_lo
	s_waitcnt vmcnt(17)
	v_fma_f64 v[17:18], v[29:30], v[36:37], v[17:18]
	v_fma_f64 v[29:30], v[100:101], v[36:37], v[15:16]
	;; [unrolled: 1-line block ×3, first 2 shown]
	global_load_dwordx4 v[13:16], v[122:123], off
	v_fma_f64 v[11:12], v[104:105], v[36:37], v[11:12]
	s_waitcnt vmcnt(17)
	v_cvt_f64_f32_e32 v[102:103], v40
	v_cvt_f64_f32_e32 v[40:41], v41
	;; [unrolled: 1-line block ×4, first 2 shown]
	v_fma_f64 v[17:18], v[106:107], v[38:39], v[17:18]
	v_fma_f64 v[29:30], v[108:109], v[38:39], v[29:30]
	;; [unrolled: 1-line block ×3, first 2 shown]
	global_load_dwordx4 v[32:35], v[6:7], off offset:816
	v_fma_f64 v[11:12], v[112:113], v[38:39], v[11:12]
	global_load_dwordx4 v[36:39], v[122:123], off offset:16
	s_waitcnt vmcnt(17)
	v_cvt_f64_f32_e32 v[106:107], v50
	v_cvt_f64_f32_e32 v[50:51], v51
	v_add_co_u32 v6, vcc_lo, 0x400, v6
	v_add_co_ci_u32_e64 v7, null, 0, v7, vcc_lo
	v_cmp_ge_i64_e32 vcc_lo, v[0:1], v[4:5]
	s_or_b32 s8, vcc_lo, s8
	v_fma_f64 v[17:18], v[114:115], v[44:45], v[17:18]
	v_fma_f64 v[29:30], v[116:117], v[44:45], v[29:30]
	;; [unrolled: 1-line block ×4, first 2 shown]
	v_cvt_f64_f32_e32 v[44:45], v48
	v_cvt_f64_f32_e32 v[48:49], v49
	v_fma_f64 v[17:18], v[102:103], v[46:47], v[17:18]
	v_fma_f64 v[29:30], v[40:41], v[46:47], v[29:30]
	;; [unrolled: 1-line block ×4, first 2 shown]
	s_waitcnt vmcnt(16)
	v_cvt_f64_f32_e32 v[42:43], v52
	v_cvt_f64_f32_e32 v[46:47], v53
	;; [unrolled: 1-line block ×4, first 2 shown]
	s_waitcnt vmcnt(15)
	v_fma_f64 v[17:18], v[44:45], v[56:57], v[17:18]
	v_fma_f64 v[29:30], v[48:49], v[56:57], v[29:30]
	v_fma_f64 v[40:41], v[106:107], v[56:57], v[40:41]
	s_waitcnt vmcnt(14)
	v_cvt_f64_f32_e32 v[44:45], v60
	v_fma_f64 v[11:12], v[50:51], v[56:57], v[11:12]
	v_cvt_f64_f32_e32 v[48:49], v61
	v_cvt_f64_f32_e32 v[50:51], v62
	v_cvt_f64_f32_e32 v[56:57], v63
	v_fma_f64 v[17:18], v[42:43], v[58:59], v[17:18]
	v_fma_f64 v[29:30], v[46:47], v[58:59], v[29:30]
	v_fma_f64 v[40:41], v[52:53], v[58:59], v[40:41]
	s_waitcnt vmcnt(13)
	v_cvt_f64_f32_e32 v[42:43], v64
	v_fma_f64 v[11:12], v[54:55], v[58:59], v[11:12]
	v_cvt_f64_f32_e32 v[46:47], v65
	v_cvt_f64_f32_e32 v[52:53], v66
	v_cvt_f64_f32_e32 v[54:55], v67
	s_waitcnt vmcnt(12)
	v_fma_f64 v[17:18], v[44:45], v[68:69], v[17:18]
	v_fma_f64 v[29:30], v[48:49], v[68:69], v[29:30]
	v_fma_f64 v[40:41], v[50:51], v[68:69], v[40:41]
	s_waitcnt vmcnt(11)
	v_cvt_f64_f32_e32 v[44:45], v72
	v_fma_f64 v[11:12], v[56:57], v[68:69], v[11:12]
	v_cvt_f64_f32_e32 v[48:49], v73
	v_cvt_f64_f32_e32 v[50:51], v74
	v_cvt_f64_f32_e32 v[56:57], v75
	v_fma_f64 v[17:18], v[42:43], v[70:71], v[17:18]
	v_fma_f64 v[29:30], v[46:47], v[70:71], v[29:30]
	v_fma_f64 v[40:41], v[52:53], v[70:71], v[40:41]
	s_waitcnt vmcnt(10)
	v_cvt_f64_f32_e32 v[42:43], v76
	v_fma_f64 v[11:12], v[54:55], v[70:71], v[11:12]
	v_cvt_f64_f32_e32 v[46:47], v77
	v_cvt_f64_f32_e32 v[52:53], v78
	v_cvt_f64_f32_e32 v[54:55], v79
	;; [unrolled: 19-line block ×4, first 2 shown]
	s_waitcnt vmcnt(2)
	v_fma_f64 v[17:18], v[44:45], v[13:14], v[17:18]
	v_fma_f64 v[29:30], v[48:49], v[13:14], v[29:30]
	v_fma_f64 v[40:41], v[50:51], v[13:14], v[40:41]
	v_fma_f64 v[11:12], v[56:57], v[13:14], v[11:12]
	v_cvt_f64_f32_e32 v[13:14], v25
	v_cvt_f64_f32_e32 v[25:26], v26
	;; [unrolled: 1-line block ×4, first 2 shown]
	v_fma_f64 v[17:18], v[42:43], v[15:16], v[17:18]
	v_fma_f64 v[21:22], v[21:22], v[15:16], v[29:30]
	;; [unrolled: 1-line block ×4, first 2 shown]
	s_waitcnt vmcnt(1)
	v_cvt_f64_f32_e32 v[15:16], v32
	v_cvt_f64_f32_e32 v[23:24], v33
	;; [unrolled: 1-line block ×4, first 2 shown]
	s_waitcnt vmcnt(0)
	v_fma_f64 v[13:14], v[13:14], v[36:37], v[17:18]
	v_fma_f64 v[21:22], v[25:26], v[36:37], v[21:22]
	;; [unrolled: 1-line block ×8, first 2 shown]
	s_andn2_b32 exec_lo, exec_lo, s8
	s_cbranch_execnz .LBB155_33
; %bb.34:
	s_or_b32 exec_lo, exec_lo, s8
.LBB155_35:
	s_or_b32 exec_lo, exec_lo, s3
.LBB155_36:
	s_or_b32 exec_lo, exec_lo, s1
.LBB155_37:
	v_mbcnt_lo_u32_b32 v23, -1, 0
	v_xor_b32_e32 v0, 2, v23
	v_cmp_gt_i32_e32 vcc_lo, 32, v0
	v_cndmask_b32_e32 v0, v23, v0, vcc_lo
	v_lshlrev_b32_e32 v6, 2, v0
	ds_bpermute_b32 v0, v6, v17
	ds_bpermute_b32 v1, v6, v18
	;; [unrolled: 1-line block ×8, first 2 shown]
	s_waitcnt lgkmcnt(6)
	v_add_f64 v[17:18], v[17:18], v[0:1]
	s_waitcnt lgkmcnt(4)
	v_add_f64 v[6:7], v[15:16], v[4:5]
	;; [unrolled: 2-line block ×4, first 2 shown]
	v_xor_b32_e32 v11, 1, v23
	v_cmp_gt_i32_e32 vcc_lo, 32, v11
	v_cndmask_b32_e32 v11, v23, v11, vcc_lo
	v_cmp_eq_u32_e32 vcc_lo, 3, v31
	v_lshlrev_b32_e32 v12, 2, v11
	ds_bpermute_b32 v19, v12, v17
	ds_bpermute_b32 v20, v12, v18
	;; [unrolled: 1-line block ×8, first 2 shown]
	s_and_b32 exec_lo, exec_lo, vcc_lo
	s_cbranch_execz .LBB155_10
; %bb.38:
	s_waitcnt lgkmcnt(6)
	v_add_f64 v[17:18], v[17:18], v[19:20]
	s_waitcnt lgkmcnt(4)
	v_add_f64 v[6:7], v[6:7], v[15:16]
	;; [unrolled: 2-line block ×4, first 2 shown]
	s_load_dwordx2 s[0:1], s[4:5], 0x50
	v_lshlrev_b32_e32 v10, 2, v10
	s_mov_b32 s2, exec_lo
	v_mul_f64 v[4:5], v[2:3], v[17:18]
	v_mul_f64 v[6:7], v[2:3], v[6:7]
	;; [unrolled: 1-line block ×4, first 2 shown]
	v_cmpx_eq_f64_e32 0, v[8:9]
	s_xor_b32 s2, exec_lo, s2
	s_cbranch_execz .LBB155_40
; %bb.39:
	v_ashrrev_i32_e32 v11, 31, v10
	v_lshlrev_b64 v[8:9], 3, v[10:11]
                                        ; implicit-def: $vgpr10
	s_waitcnt lgkmcnt(0)
	v_add_co_u32 v8, vcc_lo, s0, v8
	v_add_co_ci_u32_e64 v9, null, s1, v9, vcc_lo
	global_store_dwordx4 v[8:9], v[4:7], off
	global_store_dwordx4 v[8:9], v[0:3], off offset:16
                                        ; implicit-def: $vgpr8_vgpr9
                                        ; implicit-def: $vgpr4_vgpr5
                                        ; implicit-def: $vgpr0_vgpr1
.LBB155_40:
	s_andn2_saveexec_b32 s2, s2
	s_cbranch_execz .LBB155_10
; %bb.41:
	v_ashrrev_i32_e32 v11, 31, v10
	v_lshlrev_b64 v[10:11], 3, v[10:11]
	s_waitcnt lgkmcnt(0)
	v_add_co_u32 v18, vcc_lo, s0, v10
	v_add_co_ci_u32_e64 v19, null, s1, v11, vcc_lo
	s_clause 0x1
	global_load_dwordx4 v[10:13], v[18:19], off
	global_load_dwordx4 v[14:17], v[18:19], off offset:16
	s_waitcnt vmcnt(1)
	v_fma_f64 v[4:5], v[8:9], v[10:11], v[4:5]
	v_fma_f64 v[6:7], v[8:9], v[12:13], v[6:7]
	s_waitcnt vmcnt(0)
	v_fma_f64 v[0:1], v[8:9], v[14:15], v[0:1]
	v_fma_f64 v[2:3], v[8:9], v[16:17], v[2:3]
	global_store_dwordx4 v[18:19], v[4:7], off
	global_store_dwordx4 v[18:19], v[0:3], off offset:16
	s_endpgm
	.section	.rodata,"a",@progbits
	.p2align	6, 0x0
	.amdhsa_kernel _ZN9rocsparseL18bsrxmvn_4x4_kernelILj128ELj4EdlifddEEvT3_20rocsparse_direction_NS_24const_host_device_scalarIT1_EES1_PKS1_PKT2_SA_S7_PKT4_PKT5_S5_PT6_21rocsparse_index_base_b
		.amdhsa_group_segment_fixed_size 0
		.amdhsa_private_segment_fixed_size 0
		.amdhsa_kernarg_size 96
		.amdhsa_user_sgpr_count 6
		.amdhsa_user_sgpr_private_segment_buffer 1
		.amdhsa_user_sgpr_dispatch_ptr 0
		.amdhsa_user_sgpr_queue_ptr 0
		.amdhsa_user_sgpr_kernarg_segment_ptr 1
		.amdhsa_user_sgpr_dispatch_id 0
		.amdhsa_user_sgpr_flat_scratch_init 0
		.amdhsa_user_sgpr_private_segment_size 0
		.amdhsa_wavefront_size32 1
		.amdhsa_uses_dynamic_stack 0
		.amdhsa_system_sgpr_private_segment_wavefront_offset 0
		.amdhsa_system_sgpr_workgroup_id_x 1
		.amdhsa_system_sgpr_workgroup_id_y 0
		.amdhsa_system_sgpr_workgroup_id_z 0
		.amdhsa_system_sgpr_workgroup_info 0
		.amdhsa_system_vgpr_workitem_id 0
		.amdhsa_next_free_vgpr 132
		.amdhsa_next_free_sgpr 16
		.amdhsa_reserve_vcc 1
		.amdhsa_reserve_flat_scratch 0
		.amdhsa_float_round_mode_32 0
		.amdhsa_float_round_mode_16_64 0
		.amdhsa_float_denorm_mode_32 3
		.amdhsa_float_denorm_mode_16_64 3
		.amdhsa_dx10_clamp 1
		.amdhsa_ieee_mode 1
		.amdhsa_fp16_overflow 0
		.amdhsa_workgroup_processor_mode 1
		.amdhsa_memory_ordered 1
		.amdhsa_forward_progress 1
		.amdhsa_shared_vgpr_count 0
		.amdhsa_exception_fp_ieee_invalid_op 0
		.amdhsa_exception_fp_denorm_src 0
		.amdhsa_exception_fp_ieee_div_zero 0
		.amdhsa_exception_fp_ieee_overflow 0
		.amdhsa_exception_fp_ieee_underflow 0
		.amdhsa_exception_fp_ieee_inexact 0
		.amdhsa_exception_int_div_zero 0
	.end_amdhsa_kernel
	.section	.text._ZN9rocsparseL18bsrxmvn_4x4_kernelILj128ELj4EdlifddEEvT3_20rocsparse_direction_NS_24const_host_device_scalarIT1_EES1_PKS1_PKT2_SA_S7_PKT4_PKT5_S5_PT6_21rocsparse_index_base_b,"axG",@progbits,_ZN9rocsparseL18bsrxmvn_4x4_kernelILj128ELj4EdlifddEEvT3_20rocsparse_direction_NS_24const_host_device_scalarIT1_EES1_PKS1_PKT2_SA_S7_PKT4_PKT5_S5_PT6_21rocsparse_index_base_b,comdat
.Lfunc_end155:
	.size	_ZN9rocsparseL18bsrxmvn_4x4_kernelILj128ELj4EdlifddEEvT3_20rocsparse_direction_NS_24const_host_device_scalarIT1_EES1_PKS1_PKT2_SA_S7_PKT4_PKT5_S5_PT6_21rocsparse_index_base_b, .Lfunc_end155-_ZN9rocsparseL18bsrxmvn_4x4_kernelILj128ELj4EdlifddEEvT3_20rocsparse_direction_NS_24const_host_device_scalarIT1_EES1_PKS1_PKT2_SA_S7_PKT4_PKT5_S5_PT6_21rocsparse_index_base_b
                                        ; -- End function
	.set _ZN9rocsparseL18bsrxmvn_4x4_kernelILj128ELj4EdlifddEEvT3_20rocsparse_direction_NS_24const_host_device_scalarIT1_EES1_PKS1_PKT2_SA_S7_PKT4_PKT5_S5_PT6_21rocsparse_index_base_b.num_vgpr, 132
	.set _ZN9rocsparseL18bsrxmvn_4x4_kernelILj128ELj4EdlifddEEvT3_20rocsparse_direction_NS_24const_host_device_scalarIT1_EES1_PKS1_PKT2_SA_S7_PKT4_PKT5_S5_PT6_21rocsparse_index_base_b.num_agpr, 0
	.set _ZN9rocsparseL18bsrxmvn_4x4_kernelILj128ELj4EdlifddEEvT3_20rocsparse_direction_NS_24const_host_device_scalarIT1_EES1_PKS1_PKT2_SA_S7_PKT4_PKT5_S5_PT6_21rocsparse_index_base_b.numbered_sgpr, 16
	.set _ZN9rocsparseL18bsrxmvn_4x4_kernelILj128ELj4EdlifddEEvT3_20rocsparse_direction_NS_24const_host_device_scalarIT1_EES1_PKS1_PKT2_SA_S7_PKT4_PKT5_S5_PT6_21rocsparse_index_base_b.num_named_barrier, 0
	.set _ZN9rocsparseL18bsrxmvn_4x4_kernelILj128ELj4EdlifddEEvT3_20rocsparse_direction_NS_24const_host_device_scalarIT1_EES1_PKS1_PKT2_SA_S7_PKT4_PKT5_S5_PT6_21rocsparse_index_base_b.private_seg_size, 0
	.set _ZN9rocsparseL18bsrxmvn_4x4_kernelILj128ELj4EdlifddEEvT3_20rocsparse_direction_NS_24const_host_device_scalarIT1_EES1_PKS1_PKT2_SA_S7_PKT4_PKT5_S5_PT6_21rocsparse_index_base_b.uses_vcc, 1
	.set _ZN9rocsparseL18bsrxmvn_4x4_kernelILj128ELj4EdlifddEEvT3_20rocsparse_direction_NS_24const_host_device_scalarIT1_EES1_PKS1_PKT2_SA_S7_PKT4_PKT5_S5_PT6_21rocsparse_index_base_b.uses_flat_scratch, 0
	.set _ZN9rocsparseL18bsrxmvn_4x4_kernelILj128ELj4EdlifddEEvT3_20rocsparse_direction_NS_24const_host_device_scalarIT1_EES1_PKS1_PKT2_SA_S7_PKT4_PKT5_S5_PT6_21rocsparse_index_base_b.has_dyn_sized_stack, 0
	.set _ZN9rocsparseL18bsrxmvn_4x4_kernelILj128ELj4EdlifddEEvT3_20rocsparse_direction_NS_24const_host_device_scalarIT1_EES1_PKS1_PKT2_SA_S7_PKT4_PKT5_S5_PT6_21rocsparse_index_base_b.has_recursion, 0
	.set _ZN9rocsparseL18bsrxmvn_4x4_kernelILj128ELj4EdlifddEEvT3_20rocsparse_direction_NS_24const_host_device_scalarIT1_EES1_PKS1_PKT2_SA_S7_PKT4_PKT5_S5_PT6_21rocsparse_index_base_b.has_indirect_call, 0
	.section	.AMDGPU.csdata,"",@progbits
; Kernel info:
; codeLenInByte = 5244
; TotalNumSgprs: 18
; NumVgprs: 132
; ScratchSize: 0
; MemoryBound: 0
; FloatMode: 240
; IeeeMode: 1
; LDSByteSize: 0 bytes/workgroup (compile time only)
; SGPRBlocks: 0
; VGPRBlocks: 16
; NumSGPRsForWavesPerEU: 18
; NumVGPRsForWavesPerEU: 132
; Occupancy: 7
; WaveLimiterHint : 1
; COMPUTE_PGM_RSRC2:SCRATCH_EN: 0
; COMPUTE_PGM_RSRC2:USER_SGPR: 6
; COMPUTE_PGM_RSRC2:TRAP_HANDLER: 0
; COMPUTE_PGM_RSRC2:TGID_X_EN: 1
; COMPUTE_PGM_RSRC2:TGID_Y_EN: 0
; COMPUTE_PGM_RSRC2:TGID_Z_EN: 0
; COMPUTE_PGM_RSRC2:TIDIG_COMP_CNT: 0
	.section	.text._ZN9rocsparseL18bsrxmvn_4x4_kernelILj128ELj8EdlifddEEvT3_20rocsparse_direction_NS_24const_host_device_scalarIT1_EES1_PKS1_PKT2_SA_S7_PKT4_PKT5_S5_PT6_21rocsparse_index_base_b,"axG",@progbits,_ZN9rocsparseL18bsrxmvn_4x4_kernelILj128ELj8EdlifddEEvT3_20rocsparse_direction_NS_24const_host_device_scalarIT1_EES1_PKS1_PKT2_SA_S7_PKT4_PKT5_S5_PT6_21rocsparse_index_base_b,comdat
	.globl	_ZN9rocsparseL18bsrxmvn_4x4_kernelILj128ELj8EdlifddEEvT3_20rocsparse_direction_NS_24const_host_device_scalarIT1_EES1_PKS1_PKT2_SA_S7_PKT4_PKT5_S5_PT6_21rocsparse_index_base_b ; -- Begin function _ZN9rocsparseL18bsrxmvn_4x4_kernelILj128ELj8EdlifddEEvT3_20rocsparse_direction_NS_24const_host_device_scalarIT1_EES1_PKS1_PKT2_SA_S7_PKT4_PKT5_S5_PT6_21rocsparse_index_base_b
	.p2align	8
	.type	_ZN9rocsparseL18bsrxmvn_4x4_kernelILj128ELj8EdlifddEEvT3_20rocsparse_direction_NS_24const_host_device_scalarIT1_EES1_PKS1_PKT2_SA_S7_PKT4_PKT5_S5_PT6_21rocsparse_index_base_b,@function
_ZN9rocsparseL18bsrxmvn_4x4_kernelILj128ELj8EdlifddEEvT3_20rocsparse_direction_NS_24const_host_device_scalarIT1_EES1_PKS1_PKT2_SA_S7_PKT4_PKT5_S5_PT6_21rocsparse_index_base_b: ; @_ZN9rocsparseL18bsrxmvn_4x4_kernelILj128ELj8EdlifddEEvT3_20rocsparse_direction_NS_24const_host_device_scalarIT1_EES1_PKS1_PKT2_SA_S7_PKT4_PKT5_S5_PT6_21rocsparse_index_base_b
; %bb.0:
	s_clause 0x2
	s_load_dwordx2 s[2:3], s[4:5], 0x58
	s_load_dwordx2 s[8:9], s[4:5], 0x8
	;; [unrolled: 1-line block ×3, first 2 shown]
	s_waitcnt lgkmcnt(0)
	s_bitcmp1_b32 s3, 0
	v_mov_b32_e32 v2, s8
	v_mov_b32_e32 v3, s9
	s_cselect_b32 s3, -1, 0
	s_and_b32 vcc_lo, exec_lo, s3
	s_xor_b32 s3, s3, -1
	s_cbranch_vccnz .LBB156_2
; %bb.1:
	v_mov_b32_e32 v1, s8
	v_mov_b32_e32 v2, s9
	flat_load_dwordx2 v[2:3], v[1:2]
.LBB156_2:
	v_mov_b32_e32 v9, s1
	v_mov_b32_e32 v8, s0
	s_andn2_b32 vcc_lo, exec_lo, s3
	s_cbranch_vccnz .LBB156_4
; %bb.3:
	v_mov_b32_e32 v5, s1
	v_mov_b32_e32 v4, s0
	flat_load_dwordx2 v[8:9], v[4:5]
.LBB156_4:
	s_waitcnt vmcnt(0) lgkmcnt(0)
	v_cmp_neq_f64_e32 vcc_lo, 0, v[2:3]
	v_cmp_neq_f64_e64 s0, 1.0, v[8:9]
	s_or_b32 s0, vcc_lo, s0
	s_and_saveexec_b32 s1, s0
	s_cbranch_execz .LBB156_10
; %bb.5:
	s_clause 0x1
	s_load_dwordx2 s[8:9], s[4:5], 0x18
	s_load_dwordx2 s[0:1], s[4:5], 0x0
	v_lshrrev_b32_e32 v1, 3, v0
	v_lshl_or_b32 v10, s6, 4, v1
	s_waitcnt lgkmcnt(0)
	s_cmp_lg_u64 s[8:9], 0
	s_cbranch_scc0 .LBB156_11
; %bb.6:
	s_load_dword s3, s[4:5], 0x10
	s_mov_b32 s6, 0
                                        ; implicit-def: $vgpr1
	s_waitcnt lgkmcnt(0)
	v_cmp_gt_i32_e32 vcc_lo, s3, v10
	s_mov_b32 s3, 0
	s_and_saveexec_b32 s7, vcc_lo
	s_xor_b32 s7, exec_lo, s7
	s_cbranch_execz .LBB156_8
; %bb.7:
	v_ashrrev_i32_e32 v11, 31, v10
	s_mov_b32 s3, exec_lo
	v_lshlrev_b64 v[4:5], 2, v[10:11]
	v_add_co_u32 v4, vcc_lo, s8, v4
	v_add_co_ci_u32_e64 v5, null, s9, v5, vcc_lo
	global_load_dword v1, v[4:5], off
	s_waitcnt vmcnt(0)
	v_subrev_nc_u32_e32 v1, s2, v1
.LBB156_8:
	s_or_b32 exec_lo, exec_lo, s7
	s_and_b32 vcc_lo, exec_lo, s6
	s_cbranch_vccz .LBB156_12
.LBB156_9:
	v_cmp_gt_i32_e32 vcc_lo, s0, v10
	s_andn2_b32 s0, s3, exec_lo
	s_and_b32 s3, vcc_lo, exec_lo
	s_or_b32 s3, s0, s3
	s_and_b32 exec_lo, exec_lo, s3
	s_cbranch_execnz .LBB156_13
.LBB156_10:
	s_endpgm
.LBB156_11:
	s_mov_b32 s3, 0
                                        ; implicit-def: $vgpr1
	s_cbranch_execnz .LBB156_9
.LBB156_12:
	v_mov_b32_e32 v10, v1
	s_and_b32 exec_lo, exec_lo, s3
	s_cbranch_execz .LBB156_10
.LBB156_13:
	s_load_dwordx8 s[8:15], s[4:5], 0x20
	v_ashrrev_i32_e32 v11, 31, v10
	v_and_b32_e32 v31, 7, v0
	s_load_dwordx2 s[6:7], s[4:5], 0x40
	v_lshlrev_b64 v[4:5], 3, v[10:11]
	s_waitcnt lgkmcnt(0)
	v_add_co_u32 v6, vcc_lo, s8, v4
	v_add_co_ci_u32_e64 v7, null, s9, v5, vcc_lo
	v_add_co_u32 v1, vcc_lo, s10, v4
	v_add_co_ci_u32_e64 v4, null, s11, v5, vcc_lo
	v_add_co_u32 v11, vcc_lo, v6, 8
	global_load_dwordx2 v[19:20], v[6:7], off
	v_add_co_ci_u32_e64 v5, null, 0, v7, vcc_lo
	s_cmp_eq_u64 s[10:11], 0
	s_cselect_b32 vcc_lo, -1, 0
	s_cmp_eq_u32 s1, 1
	v_cndmask_b32_e32 v5, v4, v5, vcc_lo
	v_cndmask_b32_e32 v4, v1, v11, vcc_lo
	global_load_dwordx2 v[4:5], v[4:5], off
	s_waitcnt vmcnt(1)
	v_sub_co_u32 v0, vcc_lo, v19, s2
	v_subrev_co_ci_u32_e64 v1, null, 0, v20, vcc_lo
	v_add_co_u32 v0, vcc_lo, v0, v31
	v_add_co_ci_u32_e64 v1, null, 0, v1, vcc_lo
	v_lshlrev_b64 v[6:7], 6, v[0:1]
	s_waitcnt vmcnt(0)
	v_sub_co_u32 v4, vcc_lo, v4, s2
	v_subrev_co_ci_u32_e64 v5, null, 0, v5, vcc_lo
	v_add_co_u32 v6, vcc_lo, s14, v6
	v_cmp_lt_i64_e64 s0, v[0:1], v[4:5]
	v_add_co_ci_u32_e64 v7, null, s15, v7, vcc_lo
	s_cbranch_scc1 .LBB156_25
; %bb.14:
	v_mov_b32_e32 v11, 0
	v_mov_b32_e32 v13, 0
	;; [unrolled: 1-line block ×8, first 2 shown]
	s_and_saveexec_b32 s3, s0
	s_cbranch_execz .LBB156_24
; %bb.15:
	v_or_b32_e32 v11, 8, v31
	v_not_b32_e32 v14, v19
	v_not_b32_e32 v13, v20
	v_mov_b32_e32 v22, 0
	v_mov_b32_e32 v17, 0
	v_sub_co_u32 v11, s1, v11, s2
	v_sub_co_ci_u32_e64 v12, null, 0, 0, s1
	v_sub_co_u32 v15, s1, s2, v31
	v_add_co_u32 v11, vcc_lo, v11, v19
	v_add_co_ci_u32_e64 v12, null, v12, v20, vcc_lo
	v_sub_co_ci_u32_e64 v16, null, 0, 0, s1
	v_mov_b32_e32 v24, v1
	v_cmp_gt_i64_e32 vcc_lo, v[11:12], v[4:5]
	v_mov_b32_e32 v18, 0
	v_mov_b32_e32 v23, v0
	v_cndmask_b32_e32 v12, v5, v12, vcc_lo
	v_cndmask_b32_e32 v11, v4, v11, vcc_lo
	v_add_co_u32 v14, vcc_lo, v15, v14
	v_add_co_ci_u32_e64 v13, null, v16, v13, vcc_lo
	v_mov_b32_e32 v15, 0
	v_add_co_u32 v25, vcc_lo, v14, v11
	v_add_co_ci_u32_e64 v26, null, v13, v12, vcc_lo
	v_mov_b32_e32 v13, 0
	v_and_b32_e32 v21, 24, v25
	v_mov_b32_e32 v11, 0
	v_mov_b32_e32 v16, 0
	;; [unrolled: 1-line block ×4, first 2 shown]
	v_cmp_ne_u64_e32 vcc_lo, 24, v[21:22]
	v_mov_b32_e32 v22, v7
	v_mov_b32_e32 v21, v6
	s_and_saveexec_b32 s8, vcc_lo
	s_cbranch_execz .LBB156_19
; %bb.16:
	v_lshrrev_b32_e32 v11, 3, v25
	v_lshlrev_b64 v[17:18], 2, v[0:1]
	v_mov_b32_e32 v22, v7
	v_mov_b32_e32 v13, 0
	;; [unrolled: 1-line block ×3, first 2 shown]
	v_add_nc_u32_e32 v23, 1, v11
	v_mov_b32_e32 v11, 0
	v_add_co_u32 v27, vcc_lo, s12, v17
	v_add_co_ci_u32_e64 v28, null, s13, v18, vcc_lo
	v_and_b32_e32 v23, 3, v23
	v_mov_b32_e32 v17, 0
	v_mov_b32_e32 v12, 0
	;; [unrolled: 1-line block ×4, first 2 shown]
	v_sub_co_u32 v29, s1, 0, v23
	v_mov_b32_e32 v24, v1
	v_mov_b32_e32 v16, 0
	v_sub_co_ci_u32_e64 v30, null, 0, 0, s1
	v_mov_b32_e32 v18, 0
	v_mov_b32_e32 v23, v0
	s_mov_b32 s9, 0
.LBB156_17:                             ; =>This Inner Loop Header: Depth=1
	global_load_dword v48, v[27:28], off
	s_clause 0x3
	global_load_dwordx4 v[32:35], v[21:22], off offset:48
	global_load_dwordx4 v[36:39], v[21:22], off offset:32
	global_load_dwordx4 v[40:43], v[21:22], off offset:16
	global_load_dwordx4 v[44:47], v[21:22], off
	v_add_co_u32 v27, s1, v27, 32
	v_add_co_ci_u32_e64 v28, null, 0, v28, s1
	s_waitcnt vmcnt(4)
	v_subrev_nc_u32_e32 v48, s2, v48
	s_waitcnt vmcnt(3)
	v_cvt_f64_f32_e32 v[62:63], v32
	s_waitcnt vmcnt(2)
	v_cvt_f64_f32_e32 v[60:61], v36
	;; [unrolled: 2-line block ×4, first 2 shown]
	v_lshlrev_b32_e32 v48, 2, v48
	v_cvt_f64_f32_e32 v[44:45], v45
	v_cvt_f64_f32_e32 v[40:41], v41
	v_cvt_f64_f32_e32 v[36:37], v37
	v_cvt_f64_f32_e32 v[32:33], v33
	v_ashrrev_i32_e32 v49, 31, v48
	v_lshlrev_b64 v[48:49], 3, v[48:49]
	v_add_co_u32 v52, vcc_lo, s6, v48
	v_add_co_ci_u32_e64 v53, null, s7, v49, vcc_lo
	v_add_co_u32 v21, vcc_lo, 0x200, v21
	v_add_co_ci_u32_e64 v22, null, 0, v22, vcc_lo
	s_clause 0x1
	global_load_dwordx4 v[48:51], v[52:53], off
	global_load_dwordx4 v[52:55], v[52:53], off offset:16
	v_add_co_u32 v29, vcc_lo, v29, 1
	v_add_co_ci_u32_e64 v30, null, 0, v30, vcc_lo
	v_add_co_u32 v23, vcc_lo, v23, 8
	v_add_co_ci_u32_e64 v24, null, 0, v24, vcc_lo
	v_cmp_eq_u64_e32 vcc_lo, 0, v[29:30]
	s_or_b32 s9, vcc_lo, s9
	s_waitcnt vmcnt(1)
	v_fma_f64 v[17:18], v[56:57], v[48:49], v[17:18]
	v_fma_f64 v[15:16], v[58:59], v[48:49], v[15:16]
	;; [unrolled: 1-line block ×4, first 2 shown]
	v_cvt_f64_f32_e32 v[48:49], v46
	v_cvt_f64_f32_e32 v[56:57], v42
	v_cvt_f64_f32_e32 v[58:59], v38
	v_cvt_f64_f32_e32 v[60:61], v34
	v_cvt_f64_f32_e32 v[38:39], v39
	v_cvt_f64_f32_e32 v[34:35], v35
	v_fma_f64 v[17:18], v[44:45], v[50:51], v[17:18]
	v_fma_f64 v[15:16], v[40:41], v[50:51], v[15:16]
	;; [unrolled: 1-line block ×4, first 2 shown]
	v_cvt_f64_f32_e32 v[32:33], v47
	v_cvt_f64_f32_e32 v[36:37], v43
	s_waitcnt vmcnt(0)
	v_fma_f64 v[17:18], v[48:49], v[52:53], v[17:18]
	v_fma_f64 v[15:16], v[56:57], v[52:53], v[15:16]
	;; [unrolled: 1-line block ×8, first 2 shown]
	s_andn2_b32 exec_lo, exec_lo, s9
	s_cbranch_execnz .LBB156_17
; %bb.18:
	s_or_b32 exec_lo, exec_lo, s9
.LBB156_19:
	s_or_b32 exec_lo, exec_lo, s8
	s_mov_b32 s8, exec_lo
	v_cmpx_lt_u64_e32 23, v[25:26]
	s_cbranch_execz .LBB156_23
; %bb.20:
	v_lshlrev_b64 v[25:26], 2, v[23:24]
	s_mov_b32 s9, 0
	v_add_co_u32 v25, vcc_lo, s12, v25
	v_add_co_ci_u32_e64 v26, null, s13, v26, vcc_lo
	v_add_co_u32 v25, vcc_lo, v25, 64
	v_add_co_ci_u32_e64 v26, null, 0, v26, vcc_lo
.LBB156_21:                             ; =>This Inner Loop Header: Depth=1
	s_clause 0x3
	global_load_dword v44, v[25:26], off offset:-64
	global_load_dword v68, v[25:26], off offset:-32
	global_load_dword v92, v[25:26], off
	global_load_dword v116, v[25:26], off offset:32
	s_clause 0x3
	global_load_dwordx4 v[27:30], v[21:22], off
	global_load_dwordx4 v[32:35], v[21:22], off offset:16
	global_load_dwordx4 v[36:39], v[21:22], off offset:32
	;; [unrolled: 1-line block ×3, first 2 shown]
	v_add_co_u32 v25, s1, 0x80, v25
	v_add_co_ci_u32_e64 v26, null, 0, v26, s1
	s_waitcnt vmcnt(7)
	v_subrev_nc_u32_e32 v44, s2, v44
	s_waitcnt vmcnt(6)
	v_subrev_nc_u32_e32 v68, s2, v68
	;; [unrolled: 2-line block ×4, first 2 shown]
	s_waitcnt vmcnt(3)
	v_cvt_f64_f32_e32 v[124:125], v27
	v_lshlrev_b32_e32 v44, 2, v44
	v_lshlrev_b32_e32 v68, 2, v68
	;; [unrolled: 1-line block ×4, first 2 shown]
	s_waitcnt vmcnt(2)
	v_cvt_f64_f32_e32 v[126:127], v32
	v_ashrrev_i32_e32 v45, 31, v44
	v_ashrrev_i32_e32 v69, 31, v68
	;; [unrolled: 1-line block ×4, first 2 shown]
	s_waitcnt vmcnt(1)
	v_cvt_f64_f32_e32 v[128:129], v36
	v_lshlrev_b64 v[44:45], 3, v[44:45]
	v_lshlrev_b64 v[68:69], 3, v[68:69]
	;; [unrolled: 1-line block ×4, first 2 shown]
	s_waitcnt vmcnt(0)
	v_cvt_f64_f32_e32 v[130:131], v40
	v_cvt_f64_f32_e32 v[27:28], v28
	v_add_co_u32 v48, vcc_lo, s6, v44
	v_add_co_ci_u32_e64 v49, null, s7, v45, vcc_lo
	v_add_co_u32 v72, vcc_lo, s6, v68
	v_add_co_ci_u32_e64 v73, null, s7, v69, vcc_lo
	s_clause 0x1
	global_load_dwordx4 v[44:47], v[48:49], off
	global_load_dwordx4 v[48:51], v[48:49], off offset:16
	s_clause 0x3
	global_load_dwordx4 v[52:55], v[21:22], off offset:560
	global_load_dwordx4 v[56:59], v[21:22], off offset:544
	;; [unrolled: 1-line block ×4, first 2 shown]
	s_clause 0x1
	global_load_dwordx4 v[68:71], v[72:73], off
	global_load_dwordx4 v[72:75], v[72:73], off offset:16
	s_clause 0x3
	global_load_dwordx4 v[76:79], v[21:22], off offset:1072
	global_load_dwordx4 v[80:83], v[21:22], off offset:1056
	;; [unrolled: 1-line block ×4, first 2 shown]
	v_add_co_u32 v96, vcc_lo, s6, v92
	v_add_co_ci_u32_e64 v97, null, s7, v93, vcc_lo
	s_clause 0x1
	global_load_dwordx4 v[92:95], v[96:97], off
	global_load_dwordx4 v[96:99], v[96:97], off offset:16
	s_clause 0x3
	global_load_dwordx4 v[100:103], v[21:22], off offset:1552
	global_load_dwordx4 v[104:107], v[21:22], off offset:1536
	;; [unrolled: 1-line block ×4, first 2 shown]
	v_add_co_u32 v120, vcc_lo, s6, v116
	v_add_co_ci_u32_e64 v121, null, s7, v117, vcc_lo
	v_cvt_f64_f32_e32 v[32:33], v33
	v_cvt_f64_f32_e32 v[36:37], v37
	;; [unrolled: 1-line block ×3, first 2 shown]
	s_clause 0x1
	global_load_dwordx4 v[116:119], v[120:121], off
	global_load_dwordx4 v[120:123], v[120:121], off offset:16
	v_add_co_u32 v23, vcc_lo, v23, 32
	v_add_co_ci_u32_e64 v24, null, 0, v24, vcc_lo
	v_add_co_u32 v21, vcc_lo, 0x800, v21
	v_add_co_ci_u32_e64 v22, null, 0, v22, vcc_lo
	v_cmp_ge_i64_e32 vcc_lo, v[23:24], v[4:5]
	s_or_b32 s9, vcc_lo, s9
	s_waitcnt vmcnt(19)
	v_fma_f64 v[17:18], v[124:125], v[44:45], v[17:18]
	v_fma_f64 v[15:16], v[126:127], v[44:45], v[15:16]
	;; [unrolled: 1-line block ×4, first 2 shown]
	v_cvt_f64_f32_e32 v[44:45], v29
	v_cvt_f64_f32_e32 v[124:125], v34
	;; [unrolled: 1-line block ×4, first 2 shown]
	v_fma_f64 v[17:18], v[27:28], v[46:47], v[17:18]
	v_cvt_f64_f32_e32 v[27:28], v38
	v_fma_f64 v[15:16], v[32:33], v[46:47], v[15:16]
	v_cvt_f64_f32_e32 v[32:33], v42
	v_fma_f64 v[13:14], v[36:37], v[46:47], v[13:14]
	v_fma_f64 v[11:12], v[40:41], v[46:47], v[11:12]
	v_cvt_f64_f32_e32 v[36:37], v39
	v_cvt_f64_f32_e32 v[38:39], v43
	s_waitcnt vmcnt(16)
	v_cvt_f64_f32_e32 v[40:41], v56
	v_cvt_f64_f32_e32 v[42:43], v52
	v_fma_f64 v[17:18], v[44:45], v[48:49], v[17:18]
	v_fma_f64 v[15:16], v[124:125], v[48:49], v[15:16]
	;; [unrolled: 1-line block ×4, first 2 shown]
	s_waitcnt vmcnt(14)
	v_cvt_f64_f32_e32 v[27:28], v64
	v_cvt_f64_f32_e32 v[32:33], v60
	v_fma_f64 v[17:18], v[29:30], v[50:51], v[17:18]
	v_cvt_f64_f32_e32 v[29:30], v65
	v_fma_f64 v[15:16], v[34:35], v[50:51], v[15:16]
	;; [unrolled: 2-line block ×3, first 2 shown]
	v_fma_f64 v[11:12], v[38:39], v[50:51], v[11:12]
	v_cvt_f64_f32_e32 v[36:37], v57
	v_cvt_f64_f32_e32 v[38:39], v53
	s_waitcnt vmcnt(13)
	v_fma_f64 v[17:18], v[27:28], v[68:69], v[17:18]
	v_cvt_f64_f32_e32 v[27:28], v66
	v_fma_f64 v[15:16], v[32:33], v[68:69], v[15:16]
	v_cvt_f64_f32_e32 v[32:33], v62
	v_fma_f64 v[13:14], v[40:41], v[68:69], v[13:14]
	v_fma_f64 v[11:12], v[42:43], v[68:69], v[11:12]
	v_cvt_f64_f32_e32 v[40:41], v58
	v_cvt_f64_f32_e32 v[42:43], v54
	v_fma_f64 v[17:18], v[29:30], v[70:71], v[17:18]
	v_cvt_f64_f32_e32 v[29:30], v67
	v_fma_f64 v[15:16], v[34:35], v[70:71], v[15:16]
	;; [unrolled: 2-line block ×3, first 2 shown]
	v_fma_f64 v[11:12], v[38:39], v[70:71], v[11:12]
	v_cvt_f64_f32_e32 v[36:37], v59
	v_cvt_f64_f32_e32 v[38:39], v55
	s_waitcnt vmcnt(12)
	v_fma_f64 v[17:18], v[27:28], v[72:73], v[17:18]
	s_waitcnt vmcnt(8)
	v_cvt_f64_f32_e32 v[27:28], v88
	v_fma_f64 v[15:16], v[32:33], v[72:73], v[15:16]
	v_cvt_f64_f32_e32 v[32:33], v84
	v_fma_f64 v[13:14], v[40:41], v[72:73], v[13:14]
	v_fma_f64 v[11:12], v[42:43], v[72:73], v[11:12]
	v_cvt_f64_f32_e32 v[40:41], v80
	v_cvt_f64_f32_e32 v[42:43], v76
	v_fma_f64 v[17:18], v[29:30], v[74:75], v[17:18]
	v_cvt_f64_f32_e32 v[29:30], v89
	v_fma_f64 v[15:16], v[34:35], v[74:75], v[15:16]
	;; [unrolled: 2-line block ×3, first 2 shown]
	v_fma_f64 v[11:12], v[38:39], v[74:75], v[11:12]
	v_cvt_f64_f32_e32 v[36:37], v81
	v_cvt_f64_f32_e32 v[38:39], v77
	s_waitcnt vmcnt(7)
	v_fma_f64 v[17:18], v[27:28], v[92:93], v[17:18]
	v_cvt_f64_f32_e32 v[27:28], v90
	v_fma_f64 v[15:16], v[32:33], v[92:93], v[15:16]
	v_cvt_f64_f32_e32 v[32:33], v86
	v_fma_f64 v[13:14], v[40:41], v[92:93], v[13:14]
	v_fma_f64 v[11:12], v[42:43], v[92:93], v[11:12]
	v_cvt_f64_f32_e32 v[40:41], v82
	v_cvt_f64_f32_e32 v[42:43], v78
	v_fma_f64 v[17:18], v[29:30], v[94:95], v[17:18]
	v_cvt_f64_f32_e32 v[29:30], v91
	v_fma_f64 v[15:16], v[34:35], v[94:95], v[15:16]
	;; [unrolled: 2-line block ×3, first 2 shown]
	v_fma_f64 v[11:12], v[38:39], v[94:95], v[11:12]
	v_cvt_f64_f32_e32 v[36:37], v83
	v_cvt_f64_f32_e32 v[38:39], v79
	s_waitcnt vmcnt(6)
	v_fma_f64 v[17:18], v[27:28], v[96:97], v[17:18]
	s_waitcnt vmcnt(4)
	v_cvt_f64_f32_e32 v[27:28], v104
	v_fma_f64 v[15:16], v[32:33], v[96:97], v[15:16]
	v_cvt_f64_f32_e32 v[32:33], v100
	v_fma_f64 v[13:14], v[40:41], v[96:97], v[13:14]
	v_fma_f64 v[11:12], v[42:43], v[96:97], v[11:12]
	s_waitcnt vmcnt(3)
	v_cvt_f64_f32_e32 v[40:41], v108
	s_waitcnt vmcnt(2)
	v_cvt_f64_f32_e32 v[42:43], v112
	v_fma_f64 v[17:18], v[29:30], v[98:99], v[17:18]
	v_cvt_f64_f32_e32 v[29:30], v105
	v_fma_f64 v[15:16], v[34:35], v[98:99], v[15:16]
	;; [unrolled: 2-line block ×3, first 2 shown]
	v_fma_f64 v[11:12], v[38:39], v[98:99], v[11:12]
	v_cvt_f64_f32_e32 v[36:37], v109
	v_cvt_f64_f32_e32 v[38:39], v113
	s_waitcnt vmcnt(1)
	v_fma_f64 v[17:18], v[27:28], v[116:117], v[17:18]
	v_cvt_f64_f32_e32 v[27:28], v106
	v_fma_f64 v[15:16], v[32:33], v[116:117], v[15:16]
	v_cvt_f64_f32_e32 v[32:33], v102
	v_fma_f64 v[13:14], v[40:41], v[116:117], v[13:14]
	v_fma_f64 v[11:12], v[42:43], v[116:117], v[11:12]
	v_cvt_f64_f32_e32 v[40:41], v110
	v_cvt_f64_f32_e32 v[42:43], v114
	v_fma_f64 v[17:18], v[29:30], v[118:119], v[17:18]
	v_cvt_f64_f32_e32 v[29:30], v107
	v_fma_f64 v[15:16], v[34:35], v[118:119], v[15:16]
	;; [unrolled: 2-line block ×3, first 2 shown]
	v_fma_f64 v[11:12], v[38:39], v[118:119], v[11:12]
	v_cvt_f64_f32_e32 v[36:37], v111
	v_cvt_f64_f32_e32 v[38:39], v115
	s_waitcnt vmcnt(0)
	v_fma_f64 v[17:18], v[27:28], v[120:121], v[17:18]
	v_fma_f64 v[15:16], v[32:33], v[120:121], v[15:16]
	;; [unrolled: 1-line block ×8, first 2 shown]
	s_andn2_b32 exec_lo, exec_lo, s9
	s_cbranch_execnz .LBB156_21
; %bb.22:
	s_or_b32 exec_lo, exec_lo, s9
.LBB156_23:
	s_or_b32 exec_lo, exec_lo, s8
.LBB156_24:
	s_or_b32 exec_lo, exec_lo, s3
	s_cbranch_execz .LBB156_26
	s_branch .LBB156_37
.LBB156_25:
                                        ; implicit-def: $vgpr11_vgpr12
                                        ; implicit-def: $vgpr13_vgpr14
                                        ; implicit-def: $vgpr15_vgpr16
                                        ; implicit-def: $vgpr17_vgpr18
.LBB156_26:
	v_mov_b32_e32 v11, 0
	v_mov_b32_e32 v13, 0
	;; [unrolled: 1-line block ×8, first 2 shown]
	s_and_saveexec_b32 s1, s0
	s_cbranch_execz .LBB156_36
; %bb.27:
	v_or_b32_e32 v11, 8, v31
	v_not_b32_e32 v14, v19
	v_not_b32_e32 v13, v20
	v_sub_co_u32 v11, s0, v11, s2
	v_sub_co_ci_u32_e64 v12, null, 0, 0, s0
	v_sub_co_u32 v15, s0, s2, v31
	v_add_co_u32 v11, vcc_lo, v11, v19
	v_add_co_ci_u32_e64 v12, null, v12, v20, vcc_lo
	v_sub_co_ci_u32_e64 v16, null, 0, 0, s0
	v_cmp_gt_i64_e32 vcc_lo, v[11:12], v[4:5]
	v_cndmask_b32_e32 v17, v5, v12, vcc_lo
	v_cndmask_b32_e32 v11, v4, v11, vcc_lo
	v_add_co_u32 v12, vcc_lo, v15, v14
	v_add_co_ci_u32_e64 v13, null, v16, v13, vcc_lo
	v_mov_b32_e32 v15, 0
	v_add_co_u32 v19, vcc_lo, v12, v11
	v_mov_b32_e32 v12, 0
	v_add_co_ci_u32_e64 v20, null, v13, v17, vcc_lo
	v_and_b32_e32 v11, 24, v19
	v_mov_b32_e32 v17, 0
	v_mov_b32_e32 v13, 0
	;; [unrolled: 1-line block ×4, first 2 shown]
	v_cmp_ne_u64_e32 vcc_lo, 24, v[11:12]
	v_mov_b32_e32 v11, 0
	v_mov_b32_e32 v14, 0
	;; [unrolled: 1-line block ×3, first 2 shown]
	s_and_saveexec_b32 s3, vcc_lo
	s_cbranch_execz .LBB156_31
; %bb.28:
	v_lshrrev_b32_e32 v11, 3, v19
	v_lshlrev_b64 v[21:22], 2, v[0:1]
	v_mov_b32_e32 v13, 0
	v_mov_b32_e32 v15, 0
	;; [unrolled: 1-line block ×3, first 2 shown]
	v_add_nc_u32_e32 v23, 1, v11
	v_mov_b32_e32 v11, 0
	v_add_co_u32 v21, vcc_lo, s12, v21
	v_mov_b32_e32 v12, 0
	v_and_b32_e32 v23, 3, v23
	v_mov_b32_e32 v14, 0
	v_mov_b32_e32 v16, 0
	;; [unrolled: 1-line block ×3, first 2 shown]
	v_add_co_ci_u32_e64 v22, null, s13, v22, vcc_lo
	v_sub_co_u32 v23, s0, 0, v23
	v_sub_co_ci_u32_e64 v24, null, 0, 0, s0
	s_mov_b32 s8, 0
.LBB156_29:                             ; =>This Inner Loop Header: Depth=1
	global_load_dword v29, v[21:22], off
	s_clause 0x1
	global_load_dwordx4 v[25:28], v[6:7], off offset:16
	global_load_dwordx4 v[32:35], v[6:7], off
	v_add_co_u32 v21, s0, v21, 32
	v_add_co_ci_u32_e64 v22, null, 0, v22, s0
	s_waitcnt vmcnt(2)
	v_subrev_nc_u32_e32 v29, s2, v29
	s_waitcnt vmcnt(1)
	v_cvt_f64_f32_e32 v[54:55], v25
	s_waitcnt vmcnt(0)
	v_cvt_f64_f32_e32 v[52:53], v34
	v_cvt_f64_f32_e32 v[34:35], v35
	v_cvt_f64_f32_e32 v[25:26], v26
	v_lshlrev_b32_e32 v29, 2, v29
	v_cvt_f64_f32_e32 v[56:57], v27
	v_cvt_f64_f32_e32 v[27:28], v28
	v_ashrrev_i32_e32 v30, 31, v29
	v_lshlrev_b64 v[29:30], 3, v[29:30]
	v_add_co_u32 v29, vcc_lo, s6, v29
	v_add_co_ci_u32_e64 v30, null, s7, v30, vcc_lo
	s_clause 0x1
	global_load_dwordx4 v[36:39], v[29:30], off
	global_load_dwordx4 v[40:43], v[29:30], off offset:16
	s_clause 0x1
	global_load_dwordx4 v[44:47], v[6:7], off offset:32
	global_load_dwordx4 v[48:51], v[6:7], off offset:48
	v_cvt_f64_f32_e32 v[29:30], v32
	v_cvt_f64_f32_e32 v[32:33], v33
	v_add_co_u32 v6, vcc_lo, 0x200, v6
	v_add_co_ci_u32_e64 v7, null, 0, v7, vcc_lo
	v_add_co_u32 v23, vcc_lo, v23, 1
	v_add_co_ci_u32_e64 v24, null, 0, v24, vcc_lo
	;; [unrolled: 2-line block ×3, first 2 shown]
	v_cmp_eq_u64_e32 vcc_lo, 0, v[23:24]
	s_or_b32 s8, vcc_lo, s8
	s_waitcnt vmcnt(3)
	v_fma_f64 v[17:18], v[29:30], v[36:37], v[17:18]
	v_fma_f64 v[15:16], v[32:33], v[36:37], v[15:16]
	;; [unrolled: 1-line block ×4, first 2 shown]
	s_waitcnt vmcnt(1)
	v_cvt_f64_f32_e32 v[29:30], v44
	v_cvt_f64_f32_e32 v[32:33], v45
	;; [unrolled: 1-line block ×4, first 2 shown]
	s_waitcnt vmcnt(0)
	v_cvt_f64_f32_e32 v[44:45], v51
	v_fma_f64 v[17:18], v[54:55], v[38:39], v[17:18]
	v_fma_f64 v[15:16], v[25:26], v[38:39], v[15:16]
	;; [unrolled: 1-line block ×4, first 2 shown]
	v_cvt_f64_f32_e32 v[25:26], v48
	v_cvt_f64_f32_e32 v[27:28], v49
	;; [unrolled: 1-line block ×3, first 2 shown]
	v_fma_f64 v[17:18], v[29:30], v[40:41], v[17:18]
	v_fma_f64 v[15:16], v[32:33], v[40:41], v[15:16]
	;; [unrolled: 1-line block ×8, first 2 shown]
	s_andn2_b32 exec_lo, exec_lo, s8
	s_cbranch_execnz .LBB156_29
; %bb.30:
	s_or_b32 exec_lo, exec_lo, s8
.LBB156_31:
	s_or_b32 exec_lo, exec_lo, s3
	s_mov_b32 s3, exec_lo
	v_cmpx_lt_u64_e32 23, v[19:20]
	s_cbranch_execz .LBB156_35
; %bb.32:
	v_lshlrev_b64 v[19:20], 2, v[0:1]
	s_mov_b32 s8, 0
	v_add_co_u32 v19, vcc_lo, s12, v19
	v_add_co_ci_u32_e64 v20, null, s13, v20, vcc_lo
	v_add_co_u32 v19, vcc_lo, v19, 64
	v_add_co_ci_u32_e64 v20, null, 0, v20, vcc_lo
.LBB156_33:                             ; =>This Inner Loop Header: Depth=1
	s_clause 0x2
	global_load_dword v29, v[19:20], off offset:-64
	global_load_dword v52, v[19:20], off offset:-32
	global_load_dword v76, v[19:20], off
	s_clause 0x2
	global_load_dwordx4 v[21:24], v[6:7], off
	global_load_dwordx4 v[25:28], v[6:7], off offset:16
	global_load_dwordx4 v[32:35], v[6:7], off offset:32
	global_load_dword v114, v[19:20], off offset:32
	v_add_co_u32 v19, s0, 0x80, v19
	v_add_co_ci_u32_e64 v20, null, 0, v20, s0
	s_waitcnt vmcnt(6)
	v_subrev_nc_u32_e32 v29, s2, v29
	s_waitcnt vmcnt(3)
	v_cvt_f64_f32_e32 v[100:101], v22
	v_cvt_f64_f32_e32 v[102:103], v23
	v_lshlrev_b32_e32 v29, 2, v29
	v_cvt_f64_f32_e32 v[104:105], v24
	s_waitcnt vmcnt(1)
	v_cvt_f64_f32_e32 v[116:117], v33
	v_cvt_f64_f32_e32 v[106:107], v25
	;; [unrolled: 1-line block ×3, first 2 shown]
	v_ashrrev_i32_e32 v30, 31, v29
	v_cvt_f64_f32_e32 v[110:111], v27
	v_cvt_f64_f32_e32 v[112:113], v28
	;; [unrolled: 1-line block ×4, first 2 shown]
	v_lshlrev_b64 v[29:30], 3, v[29:30]
	v_add_co_u32 v29, vcc_lo, s6, v29
	v_add_co_ci_u32_e64 v30, null, s7, v30, vcc_lo
	global_load_dwordx4 v[36:39], v[29:30], off
	global_load_dwordx4 v[40:43], v[6:7], off offset:48
	global_load_dwordx4 v[44:47], v[29:30], off offset:16
	;; [unrolled: 1-line block ×3, first 2 shown]
	v_subrev_nc_u32_e32 v29, s2, v52
	v_lshlrev_b32_e32 v29, 2, v29
	v_ashrrev_i32_e32 v30, 31, v29
	v_lshlrev_b64 v[29:30], 3, v[29:30]
	v_add_co_u32 v29, vcc_lo, s6, v29
	v_add_co_ci_u32_e64 v30, null, s7, v30, vcc_lo
	global_load_dwordx4 v[52:55], v[6:7], off offset:528
	global_load_dwordx4 v[56:59], v[29:30], off
	s_clause 0x1
	global_load_dwordx4 v[60:63], v[6:7], off offset:544
	global_load_dwordx4 v[64:67], v[6:7], off offset:560
	global_load_dwordx4 v[68:71], v[29:30], off offset:16
	global_load_dwordx4 v[72:75], v[6:7], off offset:1024
	v_subrev_nc_u32_e32 v29, s2, v76
	v_lshlrev_b32_e32 v29, 2, v29
	v_ashrrev_i32_e32 v30, 31, v29
	v_lshlrev_b64 v[29:30], 3, v[29:30]
	v_add_co_u32 v29, vcc_lo, s6, v29
	v_add_co_ci_u32_e64 v30, null, s7, v30, vcc_lo
	global_load_dwordx4 v[76:79], v[6:7], off offset:1040
	global_load_dwordx4 v[80:83], v[29:30], off
	s_clause 0x1
	global_load_dwordx4 v[84:87], v[6:7], off offset:1056
	global_load_dwordx4 v[88:91], v[6:7], off offset:1072
	;; [unrolled: 1-line block ×4, first 2 shown]
	v_cvt_f64_f32_e32 v[29:30], v21
	s_waitcnt vmcnt(16)
	v_subrev_nc_u32_e32 v21, s2, v114
	v_cvt_f64_f32_e32 v[114:115], v32
	global_load_dwordx4 v[25:28], v[6:7], off offset:1568
	v_lshlrev_b32_e32 v21, 2, v21
	v_ashrrev_i32_e32 v22, 31, v21
	v_lshlrev_b64 v[21:22], 3, v[21:22]
	v_add_co_u32 v122, vcc_lo, s6, v21
	v_add_co_ci_u32_e64 v123, null, s7, v22, vcc_lo
	global_load_dwordx4 v[21:24], v[6:7], off offset:1552
	v_add_co_u32 v0, vcc_lo, v0, 32
	v_add_co_ci_u32_e64 v1, null, 0, v1, vcc_lo
	s_waitcnt vmcnt(17)
	v_fma_f64 v[17:18], v[29:30], v[36:37], v[17:18]
	v_fma_f64 v[29:30], v[100:101], v[36:37], v[15:16]
	v_fma_f64 v[32:33], v[102:103], v[36:37], v[13:14]
	global_load_dwordx4 v[13:16], v[122:123], off
	v_fma_f64 v[11:12], v[104:105], v[36:37], v[11:12]
	s_waitcnt vmcnt(17)
	v_cvt_f64_f32_e32 v[102:103], v40
	v_cvt_f64_f32_e32 v[40:41], v41
	;; [unrolled: 1-line block ×4, first 2 shown]
	v_fma_f64 v[17:18], v[106:107], v[38:39], v[17:18]
	v_fma_f64 v[29:30], v[108:109], v[38:39], v[29:30]
	;; [unrolled: 1-line block ×3, first 2 shown]
	global_load_dwordx4 v[32:35], v[6:7], off offset:1584
	v_fma_f64 v[11:12], v[112:113], v[38:39], v[11:12]
	global_load_dwordx4 v[36:39], v[122:123], off offset:16
	s_waitcnt vmcnt(17)
	v_cvt_f64_f32_e32 v[106:107], v50
	v_cvt_f64_f32_e32 v[50:51], v51
	v_add_co_u32 v6, vcc_lo, 0x800, v6
	v_add_co_ci_u32_e64 v7, null, 0, v7, vcc_lo
	v_cmp_ge_i64_e32 vcc_lo, v[0:1], v[4:5]
	s_or_b32 s8, vcc_lo, s8
	v_fma_f64 v[17:18], v[114:115], v[44:45], v[17:18]
	v_fma_f64 v[29:30], v[116:117], v[44:45], v[29:30]
	;; [unrolled: 1-line block ×4, first 2 shown]
	v_cvt_f64_f32_e32 v[44:45], v48
	v_cvt_f64_f32_e32 v[48:49], v49
	v_fma_f64 v[17:18], v[102:103], v[46:47], v[17:18]
	v_fma_f64 v[29:30], v[40:41], v[46:47], v[29:30]
	;; [unrolled: 1-line block ×4, first 2 shown]
	s_waitcnt vmcnt(16)
	v_cvt_f64_f32_e32 v[42:43], v52
	v_cvt_f64_f32_e32 v[46:47], v53
	;; [unrolled: 1-line block ×4, first 2 shown]
	s_waitcnt vmcnt(15)
	v_fma_f64 v[17:18], v[44:45], v[56:57], v[17:18]
	v_fma_f64 v[29:30], v[48:49], v[56:57], v[29:30]
	v_fma_f64 v[40:41], v[106:107], v[56:57], v[40:41]
	s_waitcnt vmcnt(14)
	v_cvt_f64_f32_e32 v[44:45], v60
	v_fma_f64 v[11:12], v[50:51], v[56:57], v[11:12]
	v_cvt_f64_f32_e32 v[48:49], v61
	v_cvt_f64_f32_e32 v[50:51], v62
	v_cvt_f64_f32_e32 v[56:57], v63
	v_fma_f64 v[17:18], v[42:43], v[58:59], v[17:18]
	v_fma_f64 v[29:30], v[46:47], v[58:59], v[29:30]
	v_fma_f64 v[40:41], v[52:53], v[58:59], v[40:41]
	s_waitcnt vmcnt(13)
	v_cvt_f64_f32_e32 v[42:43], v64
	v_fma_f64 v[11:12], v[54:55], v[58:59], v[11:12]
	v_cvt_f64_f32_e32 v[46:47], v65
	v_cvt_f64_f32_e32 v[52:53], v66
	v_cvt_f64_f32_e32 v[54:55], v67
	s_waitcnt vmcnt(12)
	v_fma_f64 v[17:18], v[44:45], v[68:69], v[17:18]
	v_fma_f64 v[29:30], v[48:49], v[68:69], v[29:30]
	v_fma_f64 v[40:41], v[50:51], v[68:69], v[40:41]
	s_waitcnt vmcnt(11)
	v_cvt_f64_f32_e32 v[44:45], v72
	v_fma_f64 v[11:12], v[56:57], v[68:69], v[11:12]
	v_cvt_f64_f32_e32 v[48:49], v73
	v_cvt_f64_f32_e32 v[50:51], v74
	v_cvt_f64_f32_e32 v[56:57], v75
	v_fma_f64 v[17:18], v[42:43], v[70:71], v[17:18]
	v_fma_f64 v[29:30], v[46:47], v[70:71], v[29:30]
	v_fma_f64 v[40:41], v[52:53], v[70:71], v[40:41]
	s_waitcnt vmcnt(10)
	v_cvt_f64_f32_e32 v[42:43], v76
	v_fma_f64 v[11:12], v[54:55], v[70:71], v[11:12]
	v_cvt_f64_f32_e32 v[46:47], v77
	v_cvt_f64_f32_e32 v[52:53], v78
	v_cvt_f64_f32_e32 v[54:55], v79
	;; [unrolled: 19-line block ×4, first 2 shown]
	s_waitcnt vmcnt(2)
	v_fma_f64 v[17:18], v[44:45], v[13:14], v[17:18]
	v_fma_f64 v[29:30], v[48:49], v[13:14], v[29:30]
	;; [unrolled: 1-line block ×4, first 2 shown]
	v_cvt_f64_f32_e32 v[13:14], v25
	v_cvt_f64_f32_e32 v[25:26], v26
	;; [unrolled: 1-line block ×4, first 2 shown]
	v_fma_f64 v[17:18], v[42:43], v[15:16], v[17:18]
	v_fma_f64 v[21:22], v[21:22], v[15:16], v[29:30]
	;; [unrolled: 1-line block ×4, first 2 shown]
	s_waitcnt vmcnt(1)
	v_cvt_f64_f32_e32 v[15:16], v32
	v_cvt_f64_f32_e32 v[23:24], v33
	;; [unrolled: 1-line block ×4, first 2 shown]
	s_waitcnt vmcnt(0)
	v_fma_f64 v[13:14], v[13:14], v[36:37], v[17:18]
	v_fma_f64 v[21:22], v[25:26], v[36:37], v[21:22]
	v_fma_f64 v[25:26], v[44:45], v[36:37], v[29:30]
	v_fma_f64 v[11:12], v[27:28], v[36:37], v[11:12]
	v_fma_f64 v[17:18], v[15:16], v[38:39], v[13:14]
	v_fma_f64 v[15:16], v[23:24], v[38:39], v[21:22]
	v_fma_f64 v[13:14], v[32:33], v[38:39], v[25:26]
	v_fma_f64 v[11:12], v[34:35], v[38:39], v[11:12]
	s_andn2_b32 exec_lo, exec_lo, s8
	s_cbranch_execnz .LBB156_33
; %bb.34:
	s_or_b32 exec_lo, exec_lo, s8
.LBB156_35:
	s_or_b32 exec_lo, exec_lo, s3
.LBB156_36:
	s_or_b32 exec_lo, exec_lo, s1
.LBB156_37:
	v_mbcnt_lo_u32_b32 v23, -1, 0
	v_xor_b32_e32 v0, 4, v23
	v_cmp_gt_i32_e32 vcc_lo, 32, v0
	v_cndmask_b32_e32 v0, v23, v0, vcc_lo
	v_lshlrev_b32_e32 v20, 2, v0
	ds_bpermute_b32 v0, v20, v17
	ds_bpermute_b32 v1, v20, v18
	;; [unrolled: 1-line block ×8, first 2 shown]
	s_waitcnt lgkmcnt(6)
	v_add_f64 v[0:1], v[17:18], v[0:1]
	s_waitcnt lgkmcnt(4)
	v_add_f64 v[4:5], v[15:16], v[4:5]
	;; [unrolled: 2-line block ×3, first 2 shown]
	v_xor_b32_e32 v6, 2, v23
	s_waitcnt lgkmcnt(0)
	v_add_f64 v[15:16], v[11:12], v[19:20]
	v_cmp_gt_i32_e32 vcc_lo, 32, v6
	v_cndmask_b32_e32 v6, v23, v6, vcc_lo
	v_lshlrev_b32_e32 v11, 2, v6
	ds_bpermute_b32 v6, v11, v0
	ds_bpermute_b32 v7, v11, v1
	;; [unrolled: 1-line block ×8, first 2 shown]
	s_waitcnt lgkmcnt(6)
	v_add_f64 v[11:12], v[0:1], v[6:7]
	s_waitcnt lgkmcnt(4)
	v_add_f64 v[6:7], v[4:5], v[17:18]
	;; [unrolled: 2-line block ×3, first 2 shown]
	v_xor_b32_e32 v13, 1, v23
	s_waitcnt lgkmcnt(0)
	v_add_f64 v[4:5], v[15:16], v[21:22]
	v_cmp_gt_i32_e32 vcc_lo, 32, v13
	v_cndmask_b32_e32 v13, v23, v13, vcc_lo
	v_cmp_eq_u32_e32 vcc_lo, 7, v31
	v_lshlrev_b32_e32 v14, 2, v13
	ds_bpermute_b32 v19, v14, v11
	ds_bpermute_b32 v20, v14, v12
	;; [unrolled: 1-line block ×8, first 2 shown]
	s_and_b32 exec_lo, exec_lo, vcc_lo
	s_cbranch_execz .LBB156_10
; %bb.38:
	s_waitcnt lgkmcnt(6)
	v_add_f64 v[11:12], v[11:12], v[19:20]
	s_waitcnt lgkmcnt(4)
	v_add_f64 v[6:7], v[6:7], v[17:18]
	;; [unrolled: 2-line block ×4, first 2 shown]
	s_load_dwordx2 s[0:1], s[4:5], 0x50
	v_lshlrev_b32_e32 v10, 2, v10
	s_mov_b32 s2, exec_lo
	v_mul_f64 v[4:5], v[2:3], v[11:12]
	v_mul_f64 v[6:7], v[2:3], v[6:7]
	;; [unrolled: 1-line block ×4, first 2 shown]
	v_cmpx_eq_f64_e32 0, v[8:9]
	s_xor_b32 s2, exec_lo, s2
	s_cbranch_execz .LBB156_40
; %bb.39:
	v_ashrrev_i32_e32 v11, 31, v10
	v_lshlrev_b64 v[8:9], 3, v[10:11]
                                        ; implicit-def: $vgpr10
	s_waitcnt lgkmcnt(0)
	v_add_co_u32 v8, vcc_lo, s0, v8
	v_add_co_ci_u32_e64 v9, null, s1, v9, vcc_lo
	global_store_dwordx4 v[8:9], v[4:7], off
	global_store_dwordx4 v[8:9], v[0:3], off offset:16
                                        ; implicit-def: $vgpr8_vgpr9
                                        ; implicit-def: $vgpr4_vgpr5
                                        ; implicit-def: $vgpr0_vgpr1
.LBB156_40:
	s_andn2_saveexec_b32 s2, s2
	s_cbranch_execz .LBB156_10
; %bb.41:
	v_ashrrev_i32_e32 v11, 31, v10
	v_lshlrev_b64 v[10:11], 3, v[10:11]
	s_waitcnt lgkmcnt(0)
	v_add_co_u32 v18, vcc_lo, s0, v10
	v_add_co_ci_u32_e64 v19, null, s1, v11, vcc_lo
	s_clause 0x1
	global_load_dwordx4 v[10:13], v[18:19], off
	global_load_dwordx4 v[14:17], v[18:19], off offset:16
	s_waitcnt vmcnt(1)
	v_fma_f64 v[4:5], v[8:9], v[10:11], v[4:5]
	v_fma_f64 v[6:7], v[8:9], v[12:13], v[6:7]
	s_waitcnt vmcnt(0)
	v_fma_f64 v[0:1], v[8:9], v[14:15], v[0:1]
	v_fma_f64 v[2:3], v[8:9], v[16:17], v[2:3]
	global_store_dwordx4 v[18:19], v[4:7], off
	global_store_dwordx4 v[18:19], v[0:3], off offset:16
	s_endpgm
	.section	.rodata,"a",@progbits
	.p2align	6, 0x0
	.amdhsa_kernel _ZN9rocsparseL18bsrxmvn_4x4_kernelILj128ELj8EdlifddEEvT3_20rocsparse_direction_NS_24const_host_device_scalarIT1_EES1_PKS1_PKT2_SA_S7_PKT4_PKT5_S5_PT6_21rocsparse_index_base_b
		.amdhsa_group_segment_fixed_size 0
		.amdhsa_private_segment_fixed_size 0
		.amdhsa_kernarg_size 96
		.amdhsa_user_sgpr_count 6
		.amdhsa_user_sgpr_private_segment_buffer 1
		.amdhsa_user_sgpr_dispatch_ptr 0
		.amdhsa_user_sgpr_queue_ptr 0
		.amdhsa_user_sgpr_kernarg_segment_ptr 1
		.amdhsa_user_sgpr_dispatch_id 0
		.amdhsa_user_sgpr_flat_scratch_init 0
		.amdhsa_user_sgpr_private_segment_size 0
		.amdhsa_wavefront_size32 1
		.amdhsa_uses_dynamic_stack 0
		.amdhsa_system_sgpr_private_segment_wavefront_offset 0
		.amdhsa_system_sgpr_workgroup_id_x 1
		.amdhsa_system_sgpr_workgroup_id_y 0
		.amdhsa_system_sgpr_workgroup_id_z 0
		.amdhsa_system_sgpr_workgroup_info 0
		.amdhsa_system_vgpr_workitem_id 0
		.amdhsa_next_free_vgpr 132
		.amdhsa_next_free_sgpr 16
		.amdhsa_reserve_vcc 1
		.amdhsa_reserve_flat_scratch 0
		.amdhsa_float_round_mode_32 0
		.amdhsa_float_round_mode_16_64 0
		.amdhsa_float_denorm_mode_32 3
		.amdhsa_float_denorm_mode_16_64 3
		.amdhsa_dx10_clamp 1
		.amdhsa_ieee_mode 1
		.amdhsa_fp16_overflow 0
		.amdhsa_workgroup_processor_mode 1
		.amdhsa_memory_ordered 1
		.amdhsa_forward_progress 1
		.amdhsa_shared_vgpr_count 0
		.amdhsa_exception_fp_ieee_invalid_op 0
		.amdhsa_exception_fp_denorm_src 0
		.amdhsa_exception_fp_ieee_div_zero 0
		.amdhsa_exception_fp_ieee_overflow 0
		.amdhsa_exception_fp_ieee_underflow 0
		.amdhsa_exception_fp_ieee_inexact 0
		.amdhsa_exception_int_div_zero 0
	.end_amdhsa_kernel
	.section	.text._ZN9rocsparseL18bsrxmvn_4x4_kernelILj128ELj8EdlifddEEvT3_20rocsparse_direction_NS_24const_host_device_scalarIT1_EES1_PKS1_PKT2_SA_S7_PKT4_PKT5_S5_PT6_21rocsparse_index_base_b,"axG",@progbits,_ZN9rocsparseL18bsrxmvn_4x4_kernelILj128ELj8EdlifddEEvT3_20rocsparse_direction_NS_24const_host_device_scalarIT1_EES1_PKS1_PKT2_SA_S7_PKT4_PKT5_S5_PT6_21rocsparse_index_base_b,comdat
.Lfunc_end156:
	.size	_ZN9rocsparseL18bsrxmvn_4x4_kernelILj128ELj8EdlifddEEvT3_20rocsparse_direction_NS_24const_host_device_scalarIT1_EES1_PKS1_PKT2_SA_S7_PKT4_PKT5_S5_PT6_21rocsparse_index_base_b, .Lfunc_end156-_ZN9rocsparseL18bsrxmvn_4x4_kernelILj128ELj8EdlifddEEvT3_20rocsparse_direction_NS_24const_host_device_scalarIT1_EES1_PKS1_PKT2_SA_S7_PKT4_PKT5_S5_PT6_21rocsparse_index_base_b
                                        ; -- End function
	.set _ZN9rocsparseL18bsrxmvn_4x4_kernelILj128ELj8EdlifddEEvT3_20rocsparse_direction_NS_24const_host_device_scalarIT1_EES1_PKS1_PKT2_SA_S7_PKT4_PKT5_S5_PT6_21rocsparse_index_base_b.num_vgpr, 132
	.set _ZN9rocsparseL18bsrxmvn_4x4_kernelILj128ELj8EdlifddEEvT3_20rocsparse_direction_NS_24const_host_device_scalarIT1_EES1_PKS1_PKT2_SA_S7_PKT4_PKT5_S5_PT6_21rocsparse_index_base_b.num_agpr, 0
	.set _ZN9rocsparseL18bsrxmvn_4x4_kernelILj128ELj8EdlifddEEvT3_20rocsparse_direction_NS_24const_host_device_scalarIT1_EES1_PKS1_PKT2_SA_S7_PKT4_PKT5_S5_PT6_21rocsparse_index_base_b.numbered_sgpr, 16
	.set _ZN9rocsparseL18bsrxmvn_4x4_kernelILj128ELj8EdlifddEEvT3_20rocsparse_direction_NS_24const_host_device_scalarIT1_EES1_PKS1_PKT2_SA_S7_PKT4_PKT5_S5_PT6_21rocsparse_index_base_b.num_named_barrier, 0
	.set _ZN9rocsparseL18bsrxmvn_4x4_kernelILj128ELj8EdlifddEEvT3_20rocsparse_direction_NS_24const_host_device_scalarIT1_EES1_PKS1_PKT2_SA_S7_PKT4_PKT5_S5_PT6_21rocsparse_index_base_b.private_seg_size, 0
	.set _ZN9rocsparseL18bsrxmvn_4x4_kernelILj128ELj8EdlifddEEvT3_20rocsparse_direction_NS_24const_host_device_scalarIT1_EES1_PKS1_PKT2_SA_S7_PKT4_PKT5_S5_PT6_21rocsparse_index_base_b.uses_vcc, 1
	.set _ZN9rocsparseL18bsrxmvn_4x4_kernelILj128ELj8EdlifddEEvT3_20rocsparse_direction_NS_24const_host_device_scalarIT1_EES1_PKS1_PKT2_SA_S7_PKT4_PKT5_S5_PT6_21rocsparse_index_base_b.uses_flat_scratch, 0
	.set _ZN9rocsparseL18bsrxmvn_4x4_kernelILj128ELj8EdlifddEEvT3_20rocsparse_direction_NS_24const_host_device_scalarIT1_EES1_PKS1_PKT2_SA_S7_PKT4_PKT5_S5_PT6_21rocsparse_index_base_b.has_dyn_sized_stack, 0
	.set _ZN9rocsparseL18bsrxmvn_4x4_kernelILj128ELj8EdlifddEEvT3_20rocsparse_direction_NS_24const_host_device_scalarIT1_EES1_PKS1_PKT2_SA_S7_PKT4_PKT5_S5_PT6_21rocsparse_index_base_b.has_recursion, 0
	.set _ZN9rocsparseL18bsrxmvn_4x4_kernelILj128ELj8EdlifddEEvT3_20rocsparse_direction_NS_24const_host_device_scalarIT1_EES1_PKS1_PKT2_SA_S7_PKT4_PKT5_S5_PT6_21rocsparse_index_base_b.has_indirect_call, 0
	.section	.AMDGPU.csdata,"",@progbits
; Kernel info:
; codeLenInByte = 5380
; TotalNumSgprs: 18
; NumVgprs: 132
; ScratchSize: 0
; MemoryBound: 0
; FloatMode: 240
; IeeeMode: 1
; LDSByteSize: 0 bytes/workgroup (compile time only)
; SGPRBlocks: 0
; VGPRBlocks: 16
; NumSGPRsForWavesPerEU: 18
; NumVGPRsForWavesPerEU: 132
; Occupancy: 7
; WaveLimiterHint : 1
; COMPUTE_PGM_RSRC2:SCRATCH_EN: 0
; COMPUTE_PGM_RSRC2:USER_SGPR: 6
; COMPUTE_PGM_RSRC2:TRAP_HANDLER: 0
; COMPUTE_PGM_RSRC2:TGID_X_EN: 1
; COMPUTE_PGM_RSRC2:TGID_Y_EN: 0
; COMPUTE_PGM_RSRC2:TGID_Z_EN: 0
; COMPUTE_PGM_RSRC2:TIDIG_COMP_CNT: 0
	.section	.text._ZN9rocsparseL18bsrxmvn_4x4_kernelILj128ELj16EdlifddEEvT3_20rocsparse_direction_NS_24const_host_device_scalarIT1_EES1_PKS1_PKT2_SA_S7_PKT4_PKT5_S5_PT6_21rocsparse_index_base_b,"axG",@progbits,_ZN9rocsparseL18bsrxmvn_4x4_kernelILj128ELj16EdlifddEEvT3_20rocsparse_direction_NS_24const_host_device_scalarIT1_EES1_PKS1_PKT2_SA_S7_PKT4_PKT5_S5_PT6_21rocsparse_index_base_b,comdat
	.globl	_ZN9rocsparseL18bsrxmvn_4x4_kernelILj128ELj16EdlifddEEvT3_20rocsparse_direction_NS_24const_host_device_scalarIT1_EES1_PKS1_PKT2_SA_S7_PKT4_PKT5_S5_PT6_21rocsparse_index_base_b ; -- Begin function _ZN9rocsparseL18bsrxmvn_4x4_kernelILj128ELj16EdlifddEEvT3_20rocsparse_direction_NS_24const_host_device_scalarIT1_EES1_PKS1_PKT2_SA_S7_PKT4_PKT5_S5_PT6_21rocsparse_index_base_b
	.p2align	8
	.type	_ZN9rocsparseL18bsrxmvn_4x4_kernelILj128ELj16EdlifddEEvT3_20rocsparse_direction_NS_24const_host_device_scalarIT1_EES1_PKS1_PKT2_SA_S7_PKT4_PKT5_S5_PT6_21rocsparse_index_base_b,@function
_ZN9rocsparseL18bsrxmvn_4x4_kernelILj128ELj16EdlifddEEvT3_20rocsparse_direction_NS_24const_host_device_scalarIT1_EES1_PKS1_PKT2_SA_S7_PKT4_PKT5_S5_PT6_21rocsparse_index_base_b: ; @_ZN9rocsparseL18bsrxmvn_4x4_kernelILj128ELj16EdlifddEEvT3_20rocsparse_direction_NS_24const_host_device_scalarIT1_EES1_PKS1_PKT2_SA_S7_PKT4_PKT5_S5_PT6_21rocsparse_index_base_b
; %bb.0:
	s_clause 0x2
	s_load_dwordx2 s[2:3], s[4:5], 0x58
	s_load_dwordx2 s[8:9], s[4:5], 0x8
	;; [unrolled: 1-line block ×3, first 2 shown]
	s_waitcnt lgkmcnt(0)
	s_bitcmp1_b32 s3, 0
	v_mov_b32_e32 v2, s8
	v_mov_b32_e32 v3, s9
	s_cselect_b32 s3, -1, 0
	s_and_b32 vcc_lo, exec_lo, s3
	s_xor_b32 s3, s3, -1
	s_cbranch_vccnz .LBB157_2
; %bb.1:
	v_mov_b32_e32 v1, s8
	v_mov_b32_e32 v2, s9
	flat_load_dwordx2 v[2:3], v[1:2]
.LBB157_2:
	v_mov_b32_e32 v9, s1
	v_mov_b32_e32 v8, s0
	s_andn2_b32 vcc_lo, exec_lo, s3
	s_cbranch_vccnz .LBB157_4
; %bb.3:
	v_mov_b32_e32 v5, s1
	v_mov_b32_e32 v4, s0
	flat_load_dwordx2 v[8:9], v[4:5]
.LBB157_4:
	s_waitcnt vmcnt(0) lgkmcnt(0)
	v_cmp_neq_f64_e32 vcc_lo, 0, v[2:3]
	v_cmp_neq_f64_e64 s0, 1.0, v[8:9]
	s_or_b32 s0, vcc_lo, s0
	s_and_saveexec_b32 s1, s0
	s_cbranch_execz .LBB157_10
; %bb.5:
	s_clause 0x1
	s_load_dwordx2 s[8:9], s[4:5], 0x18
	s_load_dwordx2 s[0:1], s[4:5], 0x0
	v_lshrrev_b32_e32 v1, 4, v0
	v_lshl_or_b32 v10, s6, 3, v1
	s_waitcnt lgkmcnt(0)
	s_cmp_lg_u64 s[8:9], 0
	s_cbranch_scc0 .LBB157_11
; %bb.6:
	s_load_dword s3, s[4:5], 0x10
	s_mov_b32 s6, 0
                                        ; implicit-def: $vgpr1
	s_waitcnt lgkmcnt(0)
	v_cmp_gt_i32_e32 vcc_lo, s3, v10
	s_mov_b32 s3, 0
	s_and_saveexec_b32 s7, vcc_lo
	s_xor_b32 s7, exec_lo, s7
	s_cbranch_execz .LBB157_8
; %bb.7:
	v_ashrrev_i32_e32 v11, 31, v10
	s_mov_b32 s3, exec_lo
	v_lshlrev_b64 v[4:5], 2, v[10:11]
	v_add_co_u32 v4, vcc_lo, s8, v4
	v_add_co_ci_u32_e64 v5, null, s9, v5, vcc_lo
	global_load_dword v1, v[4:5], off
	s_waitcnt vmcnt(0)
	v_subrev_nc_u32_e32 v1, s2, v1
.LBB157_8:
	s_or_b32 exec_lo, exec_lo, s7
	s_and_b32 vcc_lo, exec_lo, s6
	s_cbranch_vccz .LBB157_12
.LBB157_9:
	v_cmp_gt_i32_e32 vcc_lo, s0, v10
	s_andn2_b32 s0, s3, exec_lo
	s_and_b32 s3, vcc_lo, exec_lo
	s_or_b32 s3, s0, s3
	s_and_b32 exec_lo, exec_lo, s3
	s_cbranch_execnz .LBB157_13
.LBB157_10:
	s_endpgm
.LBB157_11:
	s_mov_b32 s3, 0
                                        ; implicit-def: $vgpr1
	s_cbranch_execnz .LBB157_9
.LBB157_12:
	v_mov_b32_e32 v10, v1
	s_and_b32 exec_lo, exec_lo, s3
	s_cbranch_execz .LBB157_10
.LBB157_13:
	s_load_dwordx8 s[8:15], s[4:5], 0x20
	v_ashrrev_i32_e32 v11, 31, v10
	v_and_b32_e32 v31, 15, v0
	s_load_dwordx2 s[6:7], s[4:5], 0x40
	v_lshlrev_b64 v[4:5], 3, v[10:11]
	s_waitcnt lgkmcnt(0)
	v_add_co_u32 v6, vcc_lo, s8, v4
	v_add_co_ci_u32_e64 v7, null, s9, v5, vcc_lo
	v_add_co_u32 v1, vcc_lo, s10, v4
	v_add_co_ci_u32_e64 v4, null, s11, v5, vcc_lo
	v_add_co_u32 v11, vcc_lo, v6, 8
	global_load_dwordx2 v[19:20], v[6:7], off
	v_add_co_ci_u32_e64 v5, null, 0, v7, vcc_lo
	s_cmp_eq_u64 s[10:11], 0
	s_cselect_b32 vcc_lo, -1, 0
	s_cmp_eq_u32 s1, 1
	v_cndmask_b32_e32 v5, v4, v5, vcc_lo
	v_cndmask_b32_e32 v4, v1, v11, vcc_lo
	global_load_dwordx2 v[4:5], v[4:5], off
	s_waitcnt vmcnt(1)
	v_sub_co_u32 v0, vcc_lo, v19, s2
	v_subrev_co_ci_u32_e64 v1, null, 0, v20, vcc_lo
	v_add_co_u32 v0, vcc_lo, v0, v31
	v_add_co_ci_u32_e64 v1, null, 0, v1, vcc_lo
	v_lshlrev_b64 v[6:7], 6, v[0:1]
	s_waitcnt vmcnt(0)
	v_sub_co_u32 v4, vcc_lo, v4, s2
	v_subrev_co_ci_u32_e64 v5, null, 0, v5, vcc_lo
	v_add_co_u32 v6, vcc_lo, s14, v6
	v_cmp_lt_i64_e64 s0, v[0:1], v[4:5]
	v_add_co_ci_u32_e64 v7, null, s15, v7, vcc_lo
	s_cbranch_scc1 .LBB157_25
; %bb.14:
	v_mov_b32_e32 v11, 0
	v_mov_b32_e32 v13, 0
	;; [unrolled: 1-line block ×8, first 2 shown]
	s_and_saveexec_b32 s3, s0
	s_cbranch_execz .LBB157_24
; %bb.15:
	v_or_b32_e32 v11, 16, v31
	v_not_b32_e32 v14, v19
	v_not_b32_e32 v13, v20
	v_mov_b32_e32 v22, 0
	v_mov_b32_e32 v17, 0
	v_sub_co_u32 v11, s1, v11, s2
	v_sub_co_ci_u32_e64 v12, null, 0, 0, s1
	v_sub_co_u32 v15, s1, s2, v31
	v_add_co_u32 v11, vcc_lo, v11, v19
	v_add_co_ci_u32_e64 v12, null, v12, v20, vcc_lo
	v_sub_co_ci_u32_e64 v16, null, 0, 0, s1
	v_mov_b32_e32 v24, v1
	v_cmp_gt_i64_e32 vcc_lo, v[11:12], v[4:5]
	v_mov_b32_e32 v18, 0
	v_mov_b32_e32 v23, v0
	v_cndmask_b32_e32 v12, v5, v12, vcc_lo
	v_cndmask_b32_e32 v11, v4, v11, vcc_lo
	v_add_co_u32 v14, vcc_lo, v15, v14
	v_add_co_ci_u32_e64 v13, null, v16, v13, vcc_lo
	v_mov_b32_e32 v15, 0
	v_add_co_u32 v25, vcc_lo, v14, v11
	v_add_co_ci_u32_e64 v26, null, v13, v12, vcc_lo
	v_mov_b32_e32 v13, 0
	v_and_b32_e32 v21, 48, v25
	v_mov_b32_e32 v11, 0
	v_mov_b32_e32 v16, 0
	;; [unrolled: 1-line block ×4, first 2 shown]
	v_cmp_ne_u64_e32 vcc_lo, 48, v[21:22]
	v_mov_b32_e32 v22, v7
	v_mov_b32_e32 v21, v6
	s_and_saveexec_b32 s8, vcc_lo
	s_cbranch_execz .LBB157_19
; %bb.16:
	v_lshrrev_b32_e32 v11, 4, v25
	v_lshlrev_b64 v[17:18], 2, v[0:1]
	v_mov_b32_e32 v22, v7
	v_mov_b32_e32 v13, 0
	;; [unrolled: 1-line block ×3, first 2 shown]
	v_add_nc_u32_e32 v23, 1, v11
	v_mov_b32_e32 v11, 0
	v_add_co_u32 v27, vcc_lo, s12, v17
	v_add_co_ci_u32_e64 v28, null, s13, v18, vcc_lo
	v_and_b32_e32 v23, 3, v23
	v_mov_b32_e32 v17, 0
	v_mov_b32_e32 v12, 0
	;; [unrolled: 1-line block ×4, first 2 shown]
	v_sub_co_u32 v29, s1, 0, v23
	v_mov_b32_e32 v24, v1
	v_mov_b32_e32 v16, 0
	v_sub_co_ci_u32_e64 v30, null, 0, 0, s1
	v_mov_b32_e32 v18, 0
	v_mov_b32_e32 v23, v0
	s_mov_b32 s9, 0
.LBB157_17:                             ; =>This Inner Loop Header: Depth=1
	global_load_dword v48, v[27:28], off
	s_clause 0x3
	global_load_dwordx4 v[32:35], v[21:22], off offset:48
	global_load_dwordx4 v[36:39], v[21:22], off offset:32
	;; [unrolled: 1-line block ×3, first 2 shown]
	global_load_dwordx4 v[44:47], v[21:22], off
	v_add_co_u32 v27, s1, v27, 64
	v_add_co_ci_u32_e64 v28, null, 0, v28, s1
	s_waitcnt vmcnt(4)
	v_subrev_nc_u32_e32 v48, s2, v48
	s_waitcnt vmcnt(3)
	v_cvt_f64_f32_e32 v[62:63], v32
	s_waitcnt vmcnt(2)
	v_cvt_f64_f32_e32 v[60:61], v36
	;; [unrolled: 2-line block ×4, first 2 shown]
	v_lshlrev_b32_e32 v48, 2, v48
	v_cvt_f64_f32_e32 v[44:45], v45
	v_cvt_f64_f32_e32 v[40:41], v41
	;; [unrolled: 1-line block ×4, first 2 shown]
	v_ashrrev_i32_e32 v49, 31, v48
	v_lshlrev_b64 v[48:49], 3, v[48:49]
	v_add_co_u32 v52, vcc_lo, s6, v48
	v_add_co_ci_u32_e64 v53, null, s7, v49, vcc_lo
	v_add_co_u32 v21, vcc_lo, 0x400, v21
	v_add_co_ci_u32_e64 v22, null, 0, v22, vcc_lo
	s_clause 0x1
	global_load_dwordx4 v[48:51], v[52:53], off
	global_load_dwordx4 v[52:55], v[52:53], off offset:16
	v_add_co_u32 v29, vcc_lo, v29, 1
	v_add_co_ci_u32_e64 v30, null, 0, v30, vcc_lo
	v_add_co_u32 v23, vcc_lo, v23, 16
	v_add_co_ci_u32_e64 v24, null, 0, v24, vcc_lo
	v_cmp_eq_u64_e32 vcc_lo, 0, v[29:30]
	s_or_b32 s9, vcc_lo, s9
	s_waitcnt vmcnt(1)
	v_fma_f64 v[17:18], v[56:57], v[48:49], v[17:18]
	v_fma_f64 v[15:16], v[58:59], v[48:49], v[15:16]
	;; [unrolled: 1-line block ×4, first 2 shown]
	v_cvt_f64_f32_e32 v[48:49], v46
	v_cvt_f64_f32_e32 v[56:57], v42
	;; [unrolled: 1-line block ×6, first 2 shown]
	v_fma_f64 v[17:18], v[44:45], v[50:51], v[17:18]
	v_fma_f64 v[15:16], v[40:41], v[50:51], v[15:16]
	v_fma_f64 v[13:14], v[36:37], v[50:51], v[13:14]
	v_fma_f64 v[11:12], v[32:33], v[50:51], v[11:12]
	v_cvt_f64_f32_e32 v[32:33], v47
	v_cvt_f64_f32_e32 v[36:37], v43
	s_waitcnt vmcnt(0)
	v_fma_f64 v[17:18], v[48:49], v[52:53], v[17:18]
	v_fma_f64 v[15:16], v[56:57], v[52:53], v[15:16]
	;; [unrolled: 1-line block ×8, first 2 shown]
	s_andn2_b32 exec_lo, exec_lo, s9
	s_cbranch_execnz .LBB157_17
; %bb.18:
	s_or_b32 exec_lo, exec_lo, s9
.LBB157_19:
	s_or_b32 exec_lo, exec_lo, s8
	s_mov_b32 s8, exec_lo
	v_cmpx_lt_u64_e32 47, v[25:26]
	s_cbranch_execz .LBB157_23
; %bb.20:
	v_lshlrev_b64 v[25:26], 2, v[23:24]
	s_mov_b32 s9, 0
	v_add_co_u32 v25, vcc_lo, s12, v25
	v_add_co_ci_u32_e64 v26, null, s13, v26, vcc_lo
	v_add_co_u32 v25, vcc_lo, 0x80, v25
	v_add_co_ci_u32_e64 v26, null, 0, v26, vcc_lo
.LBB157_21:                             ; =>This Inner Loop Header: Depth=1
	s_clause 0x3
	global_load_dword v44, v[25:26], off offset:-128
	global_load_dword v68, v[25:26], off offset:-64
	global_load_dword v92, v[25:26], off
	global_load_dword v116, v[25:26], off offset:64
	s_clause 0x3
	global_load_dwordx4 v[27:30], v[21:22], off
	global_load_dwordx4 v[32:35], v[21:22], off offset:16
	global_load_dwordx4 v[36:39], v[21:22], off offset:48
	;; [unrolled: 1-line block ×3, first 2 shown]
	s_waitcnt vmcnt(7)
	v_subrev_nc_u32_e32 v44, s2, v44
	s_waitcnt vmcnt(6)
	v_subrev_nc_u32_e32 v68, s2, v68
	;; [unrolled: 2-line block ×4, first 2 shown]
	s_waitcnt vmcnt(3)
	v_cvt_f64_f32_e32 v[124:125], v27
	v_lshlrev_b32_e32 v44, 2, v44
	v_lshlrev_b32_e32 v68, 2, v68
	;; [unrolled: 1-line block ×4, first 2 shown]
	s_waitcnt vmcnt(2)
	v_cvt_f64_f32_e32 v[126:127], v32
	v_ashrrev_i32_e32 v45, 31, v44
	v_ashrrev_i32_e32 v69, 31, v68
	;; [unrolled: 1-line block ×4, first 2 shown]
	s_waitcnt vmcnt(0)
	v_cvt_f64_f32_e32 v[128:129], v40
	v_lshlrev_b64 v[44:45], 3, v[44:45]
	v_lshlrev_b64 v[68:69], 3, v[68:69]
	;; [unrolled: 1-line block ×4, first 2 shown]
	v_cvt_f64_f32_e32 v[130:131], v36
	v_cvt_f64_f32_e32 v[27:28], v28
	v_add_co_u32 v48, vcc_lo, s6, v44
	v_add_co_ci_u32_e64 v49, null, s7, v45, vcc_lo
	v_add_co_u32 v72, vcc_lo, s6, v68
	v_add_co_ci_u32_e64 v73, null, s7, v69, vcc_lo
	s_clause 0x1
	global_load_dwordx4 v[44:47], v[48:49], off
	global_load_dwordx4 v[48:51], v[48:49], off offset:16
	s_clause 0x3
	global_load_dwordx4 v[52:55], v[21:22], off offset:1072
	global_load_dwordx4 v[56:59], v[21:22], off offset:1056
	;; [unrolled: 1-line block ×4, first 2 shown]
	s_clause 0x1
	global_load_dwordx4 v[68:71], v[72:73], off
	global_load_dwordx4 v[72:75], v[72:73], off offset:16
	v_add_co_u32 v112, vcc_lo, 0x800, v21
	v_add_co_ci_u32_e64 v113, null, 0, v22, vcc_lo
	s_clause 0x3
	global_load_dwordx4 v[76:79], v[112:113], off offset:48
	global_load_dwordx4 v[80:83], v[112:113], off offset:32
	global_load_dwordx4 v[84:87], v[112:113], off
	global_load_dwordx4 v[88:91], v[112:113], off offset:16
	v_add_co_u32 v96, vcc_lo, s6, v92
	v_add_co_ci_u32_e64 v97, null, s7, v93, vcc_lo
	s_clause 0x1
	global_load_dwordx4 v[92:95], v[96:97], off
	global_load_dwordx4 v[96:99], v[96:97], off offset:16
	s_clause 0x3
	global_load_dwordx4 v[100:103], v[112:113], off offset:1040
	global_load_dwordx4 v[104:107], v[112:113], off offset:1024
	;; [unrolled: 1-line block ×4, first 2 shown]
	v_add_co_u32 v120, vcc_lo, s6, v116
	v_add_co_ci_u32_e64 v121, null, s7, v117, vcc_lo
	v_cvt_f64_f32_e32 v[32:33], v33
	v_cvt_f64_f32_e32 v[40:41], v41
	v_cvt_f64_f32_e32 v[36:37], v37
	s_clause 0x1
	global_load_dwordx4 v[116:119], v[120:121], off
	global_load_dwordx4 v[120:123], v[120:121], off offset:16
	v_add_co_u32 v23, vcc_lo, v23, 64
	v_add_co_ci_u32_e64 v24, null, 0, v24, vcc_lo
	v_add_co_u32 v25, vcc_lo, 0x100, v25
	v_add_co_ci_u32_e64 v26, null, 0, v26, vcc_lo
	v_cmp_ge_i64_e32 vcc_lo, v[23:24], v[4:5]
	v_add_co_u32 v21, s1, 0x1000, v21
	v_add_co_ci_u32_e64 v22, null, 0, v22, s1
	s_or_b32 s9, vcc_lo, s9
	s_waitcnt vmcnt(19)
	v_fma_f64 v[17:18], v[124:125], v[44:45], v[17:18]
	v_fma_f64 v[15:16], v[126:127], v[44:45], v[15:16]
	;; [unrolled: 1-line block ×4, first 2 shown]
	v_cvt_f64_f32_e32 v[44:45], v29
	v_cvt_f64_f32_e32 v[124:125], v34
	;; [unrolled: 1-line block ×4, first 2 shown]
	v_fma_f64 v[17:18], v[27:28], v[46:47], v[17:18]
	v_cvt_f64_f32_e32 v[27:28], v42
	v_fma_f64 v[15:16], v[32:33], v[46:47], v[15:16]
	v_cvt_f64_f32_e32 v[32:33], v38
	v_fma_f64 v[13:14], v[40:41], v[46:47], v[13:14]
	v_fma_f64 v[11:12], v[36:37], v[46:47], v[11:12]
	v_cvt_f64_f32_e32 v[36:37], v43
	v_cvt_f64_f32_e32 v[38:39], v39
	s_waitcnt vmcnt(16)
	v_cvt_f64_f32_e32 v[40:41], v56
	v_cvt_f64_f32_e32 v[42:43], v52
	v_fma_f64 v[17:18], v[44:45], v[48:49], v[17:18]
	v_fma_f64 v[15:16], v[124:125], v[48:49], v[15:16]
	;; [unrolled: 1-line block ×4, first 2 shown]
	s_waitcnt vmcnt(14)
	v_cvt_f64_f32_e32 v[27:28], v64
	v_cvt_f64_f32_e32 v[32:33], v60
	v_fma_f64 v[17:18], v[29:30], v[50:51], v[17:18]
	v_cvt_f64_f32_e32 v[29:30], v65
	v_fma_f64 v[15:16], v[34:35], v[50:51], v[15:16]
	;; [unrolled: 2-line block ×3, first 2 shown]
	v_fma_f64 v[11:12], v[38:39], v[50:51], v[11:12]
	v_cvt_f64_f32_e32 v[36:37], v57
	v_cvt_f64_f32_e32 v[38:39], v53
	s_waitcnt vmcnt(13)
	v_fma_f64 v[17:18], v[27:28], v[68:69], v[17:18]
	v_cvt_f64_f32_e32 v[27:28], v66
	v_fma_f64 v[15:16], v[32:33], v[68:69], v[15:16]
	v_cvt_f64_f32_e32 v[32:33], v62
	v_fma_f64 v[13:14], v[40:41], v[68:69], v[13:14]
	v_fma_f64 v[11:12], v[42:43], v[68:69], v[11:12]
	v_cvt_f64_f32_e32 v[40:41], v58
	v_cvt_f64_f32_e32 v[42:43], v54
	v_fma_f64 v[17:18], v[29:30], v[70:71], v[17:18]
	v_cvt_f64_f32_e32 v[29:30], v67
	v_fma_f64 v[15:16], v[34:35], v[70:71], v[15:16]
	;; [unrolled: 2-line block ×3, first 2 shown]
	v_fma_f64 v[11:12], v[38:39], v[70:71], v[11:12]
	v_cvt_f64_f32_e32 v[36:37], v59
	v_cvt_f64_f32_e32 v[38:39], v55
	s_waitcnt vmcnt(12)
	v_fma_f64 v[17:18], v[27:28], v[72:73], v[17:18]
	s_waitcnt vmcnt(9)
	v_cvt_f64_f32_e32 v[27:28], v84
	v_fma_f64 v[15:16], v[32:33], v[72:73], v[15:16]
	s_waitcnt vmcnt(8)
	v_cvt_f64_f32_e32 v[32:33], v88
	v_fma_f64 v[13:14], v[40:41], v[72:73], v[13:14]
	v_fma_f64 v[11:12], v[42:43], v[72:73], v[11:12]
	v_cvt_f64_f32_e32 v[40:41], v80
	v_cvt_f64_f32_e32 v[42:43], v76
	v_fma_f64 v[17:18], v[29:30], v[74:75], v[17:18]
	v_cvt_f64_f32_e32 v[29:30], v85
	v_fma_f64 v[15:16], v[34:35], v[74:75], v[15:16]
	;; [unrolled: 2-line block ×3, first 2 shown]
	v_fma_f64 v[11:12], v[38:39], v[74:75], v[11:12]
	v_cvt_f64_f32_e32 v[36:37], v81
	v_cvt_f64_f32_e32 v[38:39], v77
	s_waitcnt vmcnt(7)
	v_fma_f64 v[17:18], v[27:28], v[92:93], v[17:18]
	v_cvt_f64_f32_e32 v[27:28], v86
	v_fma_f64 v[15:16], v[32:33], v[92:93], v[15:16]
	v_cvt_f64_f32_e32 v[32:33], v90
	v_fma_f64 v[13:14], v[40:41], v[92:93], v[13:14]
	v_fma_f64 v[11:12], v[42:43], v[92:93], v[11:12]
	v_cvt_f64_f32_e32 v[40:41], v82
	v_cvt_f64_f32_e32 v[42:43], v78
	v_fma_f64 v[17:18], v[29:30], v[94:95], v[17:18]
	v_cvt_f64_f32_e32 v[29:30], v87
	v_fma_f64 v[15:16], v[34:35], v[94:95], v[15:16]
	;; [unrolled: 2-line block ×3, first 2 shown]
	v_fma_f64 v[11:12], v[38:39], v[94:95], v[11:12]
	v_cvt_f64_f32_e32 v[36:37], v83
	v_cvt_f64_f32_e32 v[38:39], v79
	s_waitcnt vmcnt(6)
	v_fma_f64 v[17:18], v[27:28], v[96:97], v[17:18]
	s_waitcnt vmcnt(4)
	v_cvt_f64_f32_e32 v[27:28], v104
	v_fma_f64 v[15:16], v[32:33], v[96:97], v[15:16]
	v_cvt_f64_f32_e32 v[32:33], v100
	v_fma_f64 v[13:14], v[40:41], v[96:97], v[13:14]
	v_fma_f64 v[11:12], v[42:43], v[96:97], v[11:12]
	s_waitcnt vmcnt(3)
	v_cvt_f64_f32_e32 v[40:41], v108
	s_waitcnt vmcnt(2)
	v_cvt_f64_f32_e32 v[42:43], v112
	v_fma_f64 v[17:18], v[29:30], v[98:99], v[17:18]
	v_cvt_f64_f32_e32 v[29:30], v105
	v_fma_f64 v[15:16], v[34:35], v[98:99], v[15:16]
	;; [unrolled: 2-line block ×3, first 2 shown]
	v_fma_f64 v[11:12], v[38:39], v[98:99], v[11:12]
	v_cvt_f64_f32_e32 v[36:37], v109
	v_cvt_f64_f32_e32 v[38:39], v113
	s_waitcnt vmcnt(1)
	v_fma_f64 v[17:18], v[27:28], v[116:117], v[17:18]
	v_cvt_f64_f32_e32 v[27:28], v106
	v_fma_f64 v[15:16], v[32:33], v[116:117], v[15:16]
	v_cvt_f64_f32_e32 v[32:33], v102
	v_fma_f64 v[13:14], v[40:41], v[116:117], v[13:14]
	v_fma_f64 v[11:12], v[42:43], v[116:117], v[11:12]
	v_cvt_f64_f32_e32 v[40:41], v110
	v_cvt_f64_f32_e32 v[42:43], v114
	v_fma_f64 v[17:18], v[29:30], v[118:119], v[17:18]
	v_cvt_f64_f32_e32 v[29:30], v107
	v_fma_f64 v[15:16], v[34:35], v[118:119], v[15:16]
	;; [unrolled: 2-line block ×3, first 2 shown]
	v_fma_f64 v[11:12], v[38:39], v[118:119], v[11:12]
	v_cvt_f64_f32_e32 v[36:37], v111
	v_cvt_f64_f32_e32 v[38:39], v115
	s_waitcnt vmcnt(0)
	v_fma_f64 v[17:18], v[27:28], v[120:121], v[17:18]
	v_fma_f64 v[15:16], v[32:33], v[120:121], v[15:16]
	;; [unrolled: 1-line block ×8, first 2 shown]
	s_andn2_b32 exec_lo, exec_lo, s9
	s_cbranch_execnz .LBB157_21
; %bb.22:
	s_or_b32 exec_lo, exec_lo, s9
.LBB157_23:
	s_or_b32 exec_lo, exec_lo, s8
.LBB157_24:
	s_or_b32 exec_lo, exec_lo, s3
	s_cbranch_execz .LBB157_26
	s_branch .LBB157_37
.LBB157_25:
                                        ; implicit-def: $vgpr11_vgpr12
                                        ; implicit-def: $vgpr13_vgpr14
                                        ; implicit-def: $vgpr15_vgpr16
                                        ; implicit-def: $vgpr17_vgpr18
.LBB157_26:
	v_mov_b32_e32 v11, 0
	v_mov_b32_e32 v13, 0
	;; [unrolled: 1-line block ×8, first 2 shown]
	s_and_saveexec_b32 s1, s0
	s_cbranch_execz .LBB157_36
; %bb.27:
	v_or_b32_e32 v11, 16, v31
	v_not_b32_e32 v14, v19
	v_not_b32_e32 v13, v20
	v_sub_co_u32 v11, s0, v11, s2
	v_sub_co_ci_u32_e64 v12, null, 0, 0, s0
	v_sub_co_u32 v15, s0, s2, v31
	v_add_co_u32 v11, vcc_lo, v11, v19
	v_add_co_ci_u32_e64 v12, null, v12, v20, vcc_lo
	v_sub_co_ci_u32_e64 v16, null, 0, 0, s0
	v_cmp_gt_i64_e32 vcc_lo, v[11:12], v[4:5]
	v_cndmask_b32_e32 v17, v5, v12, vcc_lo
	v_cndmask_b32_e32 v11, v4, v11, vcc_lo
	v_add_co_u32 v12, vcc_lo, v15, v14
	v_add_co_ci_u32_e64 v13, null, v16, v13, vcc_lo
	v_mov_b32_e32 v15, 0
	v_add_co_u32 v19, vcc_lo, v12, v11
	v_mov_b32_e32 v12, 0
	v_add_co_ci_u32_e64 v20, null, v13, v17, vcc_lo
	v_and_b32_e32 v11, 48, v19
	v_mov_b32_e32 v17, 0
	v_mov_b32_e32 v13, 0
	;; [unrolled: 1-line block ×4, first 2 shown]
	v_cmp_ne_u64_e32 vcc_lo, 48, v[11:12]
	v_mov_b32_e32 v11, 0
	v_mov_b32_e32 v14, 0
	;; [unrolled: 1-line block ×3, first 2 shown]
	s_and_saveexec_b32 s3, vcc_lo
	s_cbranch_execz .LBB157_31
; %bb.28:
	v_lshrrev_b32_e32 v11, 4, v19
	v_lshlrev_b64 v[21:22], 2, v[0:1]
	v_mov_b32_e32 v13, 0
	v_mov_b32_e32 v15, 0
	;; [unrolled: 1-line block ×3, first 2 shown]
	v_add_nc_u32_e32 v23, 1, v11
	v_mov_b32_e32 v11, 0
	v_add_co_u32 v21, vcc_lo, s12, v21
	v_mov_b32_e32 v12, 0
	v_and_b32_e32 v23, 3, v23
	v_mov_b32_e32 v14, 0
	v_mov_b32_e32 v16, 0
	;; [unrolled: 1-line block ×3, first 2 shown]
	v_add_co_ci_u32_e64 v22, null, s13, v22, vcc_lo
	v_sub_co_u32 v23, s0, 0, v23
	v_sub_co_ci_u32_e64 v24, null, 0, 0, s0
	s_mov_b32 s8, 0
.LBB157_29:                             ; =>This Inner Loop Header: Depth=1
	global_load_dword v29, v[21:22], off
	s_clause 0x1
	global_load_dwordx4 v[25:28], v[6:7], off offset:16
	global_load_dwordx4 v[32:35], v[6:7], off
	v_add_co_u32 v21, s0, v21, 64
	v_add_co_ci_u32_e64 v22, null, 0, v22, s0
	s_waitcnt vmcnt(2)
	v_subrev_nc_u32_e32 v29, s2, v29
	s_waitcnt vmcnt(1)
	v_cvt_f64_f32_e32 v[54:55], v25
	s_waitcnt vmcnt(0)
	v_cvt_f64_f32_e32 v[52:53], v34
	v_cvt_f64_f32_e32 v[34:35], v35
	;; [unrolled: 1-line block ×3, first 2 shown]
	v_lshlrev_b32_e32 v29, 2, v29
	v_cvt_f64_f32_e32 v[56:57], v27
	v_cvt_f64_f32_e32 v[27:28], v28
	v_ashrrev_i32_e32 v30, 31, v29
	v_lshlrev_b64 v[29:30], 3, v[29:30]
	v_add_co_u32 v29, vcc_lo, s6, v29
	v_add_co_ci_u32_e64 v30, null, s7, v30, vcc_lo
	s_clause 0x1
	global_load_dwordx4 v[36:39], v[29:30], off
	global_load_dwordx4 v[40:43], v[29:30], off offset:16
	s_clause 0x1
	global_load_dwordx4 v[44:47], v[6:7], off offset:32
	global_load_dwordx4 v[48:51], v[6:7], off offset:48
	v_cvt_f64_f32_e32 v[29:30], v32
	v_cvt_f64_f32_e32 v[32:33], v33
	v_add_co_u32 v6, vcc_lo, 0x400, v6
	v_add_co_ci_u32_e64 v7, null, 0, v7, vcc_lo
	v_add_co_u32 v23, vcc_lo, v23, 1
	v_add_co_ci_u32_e64 v24, null, 0, v24, vcc_lo
	;; [unrolled: 2-line block ×3, first 2 shown]
	v_cmp_eq_u64_e32 vcc_lo, 0, v[23:24]
	s_or_b32 s8, vcc_lo, s8
	s_waitcnt vmcnt(3)
	v_fma_f64 v[17:18], v[29:30], v[36:37], v[17:18]
	v_fma_f64 v[15:16], v[32:33], v[36:37], v[15:16]
	;; [unrolled: 1-line block ×4, first 2 shown]
	s_waitcnt vmcnt(1)
	v_cvt_f64_f32_e32 v[29:30], v44
	v_cvt_f64_f32_e32 v[32:33], v45
	;; [unrolled: 1-line block ×4, first 2 shown]
	s_waitcnt vmcnt(0)
	v_cvt_f64_f32_e32 v[44:45], v51
	v_fma_f64 v[17:18], v[54:55], v[38:39], v[17:18]
	v_fma_f64 v[15:16], v[25:26], v[38:39], v[15:16]
	v_fma_f64 v[13:14], v[56:57], v[38:39], v[13:14]
	v_fma_f64 v[11:12], v[27:28], v[38:39], v[11:12]
	v_cvt_f64_f32_e32 v[25:26], v48
	v_cvt_f64_f32_e32 v[27:28], v49
	;; [unrolled: 1-line block ×3, first 2 shown]
	v_fma_f64 v[17:18], v[29:30], v[40:41], v[17:18]
	v_fma_f64 v[15:16], v[32:33], v[40:41], v[15:16]
	;; [unrolled: 1-line block ×8, first 2 shown]
	s_andn2_b32 exec_lo, exec_lo, s8
	s_cbranch_execnz .LBB157_29
; %bb.30:
	s_or_b32 exec_lo, exec_lo, s8
.LBB157_31:
	s_or_b32 exec_lo, exec_lo, s3
	s_mov_b32 s3, exec_lo
	v_cmpx_lt_u64_e32 47, v[19:20]
	s_cbranch_execz .LBB157_35
; %bb.32:
	v_lshlrev_b64 v[19:20], 2, v[0:1]
	s_mov_b32 s8, 0
	v_add_co_u32 v19, vcc_lo, s12, v19
	v_add_co_ci_u32_e64 v20, null, s13, v20, vcc_lo
	v_add_co_u32 v19, vcc_lo, 0x80, v19
	v_add_co_ci_u32_e64 v20, null, 0, v20, vcc_lo
.LBB157_33:                             ; =>This Inner Loop Header: Depth=1
	s_clause 0x2
	global_load_dword v29, v[19:20], off offset:-128
	global_load_dword v52, v[19:20], off offset:-64
	global_load_dword v76, v[19:20], off
	s_clause 0x1
	global_load_dwordx4 v[21:24], v[6:7], off
	global_load_dwordx4 v[25:28], v[6:7], off offset:16
	global_load_dword v110, v[19:20], off offset:64
	global_load_dwordx4 v[32:35], v[6:7], off offset:32
	s_waitcnt vmcnt(6)
	v_subrev_nc_u32_e32 v29, s2, v29
	s_waitcnt vmcnt(4)
	v_subrev_nc_u32_e32 v76, s2, v76
	s_waitcnt vmcnt(3)
	v_cvt_f64_f32_e32 v[94:95], v21
	v_cvt_f64_f32_e32 v[96:97], v22
	v_lshlrev_b32_e32 v29, 2, v29
	s_waitcnt vmcnt(1)
	v_subrev_nc_u32_e32 v21, s2, v110
	v_lshlrev_b32_e32 v76, 2, v76
	v_cvt_f64_f32_e32 v[98:99], v23
	v_cvt_f64_f32_e32 v[100:101], v24
	v_ashrrev_i32_e32 v30, 31, v29
	v_cvt_f64_f32_e32 v[102:103], v25
	v_ashrrev_i32_e32 v77, 31, v76
	v_lshlrev_b32_e32 v25, 2, v21
	v_cvt_f64_f32_e32 v[104:105], v26
	v_lshlrev_b64 v[29:30], 3, v[29:30]
	v_cvt_f64_f32_e32 v[106:107], v27
	v_lshlrev_b64 v[76:77], 3, v[76:77]
	v_ashrrev_i32_e32 v26, 31, v25
	v_cvt_f64_f32_e32 v[108:109], v28
	s_waitcnt vmcnt(0)
	v_cvt_f64_f32_e32 v[110:111], v32
	v_add_co_u32 v29, vcc_lo, s6, v29
	v_add_co_ci_u32_e64 v30, null, s7, v30, vcc_lo
	v_lshlrev_b64 v[25:26], 3, v[25:26]
	v_cvt_f64_f32_e32 v[112:113], v33
	v_cvt_f64_f32_e32 v[114:115], v34
	global_load_dwordx4 v[36:39], v[29:30], off
	global_load_dwordx4 v[40:43], v[6:7], off offset:48
	global_load_dwordx4 v[44:47], v[29:30], off offset:16
	;; [unrolled: 1-line block ×3, first 2 shown]
	v_subrev_nc_u32_e32 v29, s2, v52
	v_cvt_f64_f32_e32 v[116:117], v35
	v_lshlrev_b32_e32 v29, 2, v29
	v_ashrrev_i32_e32 v30, 31, v29
	v_lshlrev_b64 v[29:30], 3, v[29:30]
	v_add_co_u32 v29, vcc_lo, s6, v29
	v_add_co_ci_u32_e64 v30, null, s7, v30, vcc_lo
	global_load_dwordx4 v[52:55], v[6:7], off offset:1040
	global_load_dwordx4 v[56:59], v[29:30], off
	s_clause 0x1
	global_load_dwordx4 v[60:63], v[6:7], off offset:1056
	global_load_dwordx4 v[64:67], v[6:7], off offset:1072
	;; [unrolled: 1-line block ×3, first 2 shown]
	v_add_co_u32 v29, vcc_lo, 0x800, v6
	v_add_co_ci_u32_e64 v30, null, 0, v7, vcc_lo
	v_add_co_u32 v92, vcc_lo, s6, v76
	v_add_co_ci_u32_e64 v93, null, s7, v77, vcc_lo
	s_clause 0x1
	global_load_dwordx4 v[72:75], v[29:30], off
	global_load_dwordx4 v[76:79], v[29:30], off offset:16
	global_load_dwordx4 v[80:83], v[92:93], off
	s_clause 0x1
	global_load_dwordx4 v[84:87], v[29:30], off offset:32
	global_load_dwordx4 v[88:91], v[29:30], off offset:48
	;; [unrolled: 1-line block ×3, first 2 shown]
	v_add_co_u32 v118, vcc_lo, s6, v25
	v_add_co_ci_u32_e64 v119, null, s7, v26, vcc_lo
	global_load_dwordx4 v[25:28], v[29:30], off offset:1024
	v_add_co_u32 v0, vcc_lo, v0, 64
	v_add_co_ci_u32_e64 v1, null, 0, v1, vcc_lo
	v_add_co_u32 v19, vcc_lo, 0x100, v19
	v_add_co_ci_u32_e64 v20, null, 0, v20, vcc_lo
	v_cmp_ge_i64_e32 vcc_lo, v[0:1], v[4:5]
	v_add_co_u32 v6, s0, 0x1000, v6
	v_add_co_ci_u32_e64 v7, null, 0, v7, s0
	s_or_b32 s8, vcc_lo, s8
	s_waitcnt vmcnt(15)
	v_fma_f64 v[32:33], v[94:95], v[36:37], v[17:18]
	v_fma_f64 v[34:35], v[96:97], v[36:37], v[15:16]
	global_load_dwordx4 v[15:18], v[29:30], off offset:1040
	v_fma_f64 v[92:93], v[98:99], v[36:37], v[13:14]
	v_fma_f64 v[36:37], v[100:101], v[36:37], v[11:12]
	global_load_dwordx4 v[11:14], v[118:119], off
	v_fma_f64 v[96:97], v[102:103], v[38:39], v[32:33]
	v_fma_f64 v[98:99], v[104:105], v[38:39], v[34:35]
	global_load_dwordx4 v[32:35], v[29:30], off offset:1056
	v_fma_f64 v[100:101], v[106:107], v[38:39], v[92:93]
	global_load_dwordx4 v[92:95], v[29:30], off offset:1072
	;; [unrolled: 2-line block ×3, first 2 shown]
	s_waitcnt vmcnt(19)
	v_cvt_f64_f32_e32 v[102:103], v40
	v_cvt_f64_f32_e32 v[40:41], v41
	;; [unrolled: 1-line block ×4, first 2 shown]
	s_waitcnt vmcnt(17)
	v_cvt_f64_f32_e32 v[106:107], v50
	v_cvt_f64_f32_e32 v[50:51], v51
	v_fma_f64 v[96:97], v[110:111], v[44:45], v[96:97]
	v_fma_f64 v[98:99], v[112:113], v[44:45], v[98:99]
	;; [unrolled: 1-line block ×4, first 2 shown]
	v_cvt_f64_f32_e32 v[44:45], v48
	v_cvt_f64_f32_e32 v[48:49], v49
	v_fma_f64 v[96:97], v[102:103], v[46:47], v[96:97]
	v_fma_f64 v[40:41], v[40:41], v[46:47], v[98:99]
	;; [unrolled: 1-line block ×4, first 2 shown]
	s_waitcnt vmcnt(16)
	v_cvt_f64_f32_e32 v[42:43], v52
	v_cvt_f64_f32_e32 v[46:47], v53
	;; [unrolled: 1-line block ×4, first 2 shown]
	s_waitcnt vmcnt(15)
	v_fma_f64 v[44:45], v[44:45], v[56:57], v[96:97]
	v_fma_f64 v[40:41], v[48:49], v[56:57], v[40:41]
	;; [unrolled: 1-line block ×4, first 2 shown]
	s_waitcnt vmcnt(14)
	v_cvt_f64_f32_e32 v[50:51], v60
	v_cvt_f64_f32_e32 v[56:57], v61
	;; [unrolled: 1-line block ×4, first 2 shown]
	v_fma_f64 v[42:43], v[42:43], v[58:59], v[44:45]
	v_fma_f64 v[40:41], v[46:47], v[58:59], v[40:41]
	s_waitcnt vmcnt(13)
	v_cvt_f64_f32_e32 v[46:47], v64
	v_fma_f64 v[44:45], v[52:53], v[58:59], v[48:49]
	v_cvt_f64_f32_e32 v[48:49], v65
	v_fma_f64 v[29:30], v[54:55], v[58:59], v[29:30]
	v_cvt_f64_f32_e32 v[52:53], v66
	v_cvt_f64_f32_e32 v[54:55], v67
	s_waitcnt vmcnt(11)
	v_cvt_f64_f32_e32 v[58:59], v74
	v_fma_f64 v[42:43], v[50:51], v[68:69], v[42:43]
	v_fma_f64 v[40:41], v[56:57], v[68:69], v[40:41]
	v_cvt_f64_f32_e32 v[50:51], v72
	v_fma_f64 v[44:45], v[60:61], v[68:69], v[44:45]
	v_cvt_f64_f32_e32 v[56:57], v73
	v_fma_f64 v[29:30], v[62:63], v[68:69], v[29:30]
	v_cvt_f64_f32_e32 v[60:61], v75
	v_fma_f64 v[42:43], v[46:47], v[70:71], v[42:43]
	v_fma_f64 v[40:41], v[48:49], v[70:71], v[40:41]
	s_waitcnt vmcnt(10)
	v_cvt_f64_f32_e32 v[46:47], v76
	v_fma_f64 v[44:45], v[52:53], v[70:71], v[44:45]
	v_cvt_f64_f32_e32 v[48:49], v77
	v_fma_f64 v[29:30], v[54:55], v[70:71], v[29:30]
	v_cvt_f64_f32_e32 v[52:53], v78
	v_cvt_f64_f32_e32 v[54:55], v79
	s_waitcnt vmcnt(9)
	v_fma_f64 v[42:43], v[50:51], v[80:81], v[42:43]
	v_fma_f64 v[40:41], v[56:57], v[80:81], v[40:41]
	s_waitcnt vmcnt(8)
	v_cvt_f64_f32_e32 v[50:51], v84
	v_fma_f64 v[44:45], v[58:59], v[80:81], v[44:45]
	v_cvt_f64_f32_e32 v[56:57], v85
	v_fma_f64 v[29:30], v[60:61], v[80:81], v[29:30]
	v_cvt_f64_f32_e32 v[58:59], v86
	v_cvt_f64_f32_e32 v[60:61], v87
	v_fma_f64 v[42:43], v[46:47], v[82:83], v[42:43]
	v_fma_f64 v[40:41], v[48:49], v[82:83], v[40:41]
	s_waitcnt vmcnt(7)
	v_cvt_f64_f32_e32 v[46:47], v88
	v_fma_f64 v[44:45], v[52:53], v[82:83], v[44:45]
	v_cvt_f64_f32_e32 v[48:49], v89
	v_fma_f64 v[29:30], v[54:55], v[82:83], v[29:30]
	v_cvt_f64_f32_e32 v[52:53], v90
	v_cvt_f64_f32_e32 v[54:55], v91
	s_waitcnt vmcnt(6)
	v_fma_f64 v[42:43], v[50:51], v[21:22], v[42:43]
	v_fma_f64 v[40:41], v[56:57], v[21:22], v[40:41]
	s_waitcnt vmcnt(5)
	v_cvt_f64_f32_e32 v[50:51], v27
	v_fma_f64 v[44:45], v[58:59], v[21:22], v[44:45]
	v_cvt_f64_f32_e32 v[27:28], v28
	v_fma_f64 v[21:22], v[60:61], v[21:22], v[29:30]
	v_cvt_f64_f32_e32 v[29:30], v25
	v_cvt_f64_f32_e32 v[25:26], v26
	v_fma_f64 v[42:43], v[46:47], v[23:24], v[42:43]
	v_fma_f64 v[40:41], v[48:49], v[23:24], v[40:41]
	;; [unrolled: 1-line block ×4, first 2 shown]
	s_waitcnt vmcnt(4)
	v_cvt_f64_f32_e32 v[23:24], v15
	v_cvt_f64_f32_e32 v[15:16], v16
	;; [unrolled: 1-line block ×4, first 2 shown]
	s_waitcnt vmcnt(3)
	v_fma_f64 v[29:30], v[29:30], v[11:12], v[42:43]
	v_fma_f64 v[25:26], v[25:26], v[11:12], v[40:41]
	;; [unrolled: 1-line block ×4, first 2 shown]
	s_waitcnt vmcnt(2)
	v_cvt_f64_f32_e32 v[21:22], v32
	v_cvt_f64_f32_e32 v[27:28], v33
	;; [unrolled: 1-line block ×4, first 2 shown]
	v_fma_f64 v[23:24], v[23:24], v[13:14], v[29:30]
	v_fma_f64 v[15:16], v[15:16], v[13:14], v[25:26]
	;; [unrolled: 1-line block ×4, first 2 shown]
	s_waitcnt vmcnt(1)
	v_cvt_f64_f32_e32 v[13:14], v92
	v_cvt_f64_f32_e32 v[29:30], v93
	;; [unrolled: 1-line block ×4, first 2 shown]
	s_waitcnt vmcnt(0)
	v_fma_f64 v[17:18], v[21:22], v[36:37], v[23:24]
	v_fma_f64 v[15:16], v[27:28], v[36:37], v[15:16]
	;; [unrolled: 1-line block ×8, first 2 shown]
	s_andn2_b32 exec_lo, exec_lo, s8
	s_cbranch_execnz .LBB157_33
; %bb.34:
	s_or_b32 exec_lo, exec_lo, s8
.LBB157_35:
	s_or_b32 exec_lo, exec_lo, s3
.LBB157_36:
	s_or_b32 exec_lo, exec_lo, s1
.LBB157_37:
	v_mbcnt_lo_u32_b32 v23, -1, 0
	v_xor_b32_e32 v0, 8, v23
	v_cmp_gt_i32_e32 vcc_lo, 32, v0
	v_cndmask_b32_e32 v0, v23, v0, vcc_lo
	v_lshlrev_b32_e32 v20, 2, v0
	ds_bpermute_b32 v0, v20, v17
	ds_bpermute_b32 v1, v20, v18
	ds_bpermute_b32 v4, v20, v15
	ds_bpermute_b32 v5, v20, v16
	ds_bpermute_b32 v6, v20, v13
	ds_bpermute_b32 v7, v20, v14
	ds_bpermute_b32 v19, v20, v11
	ds_bpermute_b32 v20, v20, v12
	s_waitcnt lgkmcnt(6)
	v_add_f64 v[0:1], v[17:18], v[0:1]
	s_waitcnt lgkmcnt(4)
	v_add_f64 v[4:5], v[15:16], v[4:5]
	s_waitcnt lgkmcnt(2)
	v_add_f64 v[6:7], v[13:14], v[6:7]
	v_xor_b32_e32 v13, 4, v23
	s_waitcnt lgkmcnt(0)
	v_add_f64 v[11:12], v[11:12], v[19:20]
	v_cmp_gt_i32_e32 vcc_lo, 32, v13
	v_cndmask_b32_e32 v13, v23, v13, vcc_lo
	v_lshlrev_b32_e32 v20, 2, v13
	ds_bpermute_b32 v13, v20, v0
	ds_bpermute_b32 v14, v20, v1
	ds_bpermute_b32 v15, v20, v4
	ds_bpermute_b32 v16, v20, v5
	ds_bpermute_b32 v17, v20, v6
	ds_bpermute_b32 v18, v20, v7
	ds_bpermute_b32 v19, v20, v11
	ds_bpermute_b32 v20, v20, v12
	s_waitcnt lgkmcnt(6)
	v_add_f64 v[0:1], v[0:1], v[13:14]
	s_waitcnt lgkmcnt(4)
	v_add_f64 v[4:5], v[4:5], v[15:16]
	s_waitcnt lgkmcnt(2)
	v_add_f64 v[13:14], v[6:7], v[17:18]
	v_xor_b32_e32 v6, 2, v23
	s_waitcnt lgkmcnt(0)
	v_add_f64 v[15:16], v[11:12], v[19:20]
	v_cmp_gt_i32_e32 vcc_lo, 32, v6
	v_cndmask_b32_e32 v6, v23, v6, vcc_lo
	v_lshlrev_b32_e32 v11, 2, v6
	ds_bpermute_b32 v6, v11, v0
	ds_bpermute_b32 v7, v11, v1
	ds_bpermute_b32 v17, v11, v4
	ds_bpermute_b32 v18, v11, v5
	ds_bpermute_b32 v19, v11, v13
	ds_bpermute_b32 v20, v11, v14
	ds_bpermute_b32 v21, v11, v15
	ds_bpermute_b32 v22, v11, v16
	s_waitcnt lgkmcnt(6)
	v_add_f64 v[11:12], v[0:1], v[6:7]
	s_waitcnt lgkmcnt(4)
	v_add_f64 v[6:7], v[4:5], v[17:18]
	s_waitcnt lgkmcnt(2)
	v_add_f64 v[0:1], v[13:14], v[19:20]
	v_xor_b32_e32 v13, 1, v23
	s_waitcnt lgkmcnt(0)
	v_add_f64 v[4:5], v[15:16], v[21:22]
	v_cmp_gt_i32_e32 vcc_lo, 32, v13
	v_cndmask_b32_e32 v13, v23, v13, vcc_lo
	v_cmp_eq_u32_e32 vcc_lo, 15, v31
	v_lshlrev_b32_e32 v14, 2, v13
	ds_bpermute_b32 v19, v14, v11
	ds_bpermute_b32 v20, v14, v12
	ds_bpermute_b32 v17, v14, v6
	ds_bpermute_b32 v18, v14, v7
	ds_bpermute_b32 v15, v14, v0
	ds_bpermute_b32 v16, v14, v1
	ds_bpermute_b32 v13, v14, v4
	ds_bpermute_b32 v14, v14, v5
	s_and_b32 exec_lo, exec_lo, vcc_lo
	s_cbranch_execz .LBB157_10
; %bb.38:
	s_waitcnt lgkmcnt(6)
	v_add_f64 v[11:12], v[11:12], v[19:20]
	s_waitcnt lgkmcnt(4)
	v_add_f64 v[6:7], v[6:7], v[17:18]
	;; [unrolled: 2-line block ×4, first 2 shown]
	s_load_dwordx2 s[0:1], s[4:5], 0x50
	v_lshlrev_b32_e32 v10, 2, v10
	s_mov_b32 s2, exec_lo
	v_mul_f64 v[4:5], v[2:3], v[11:12]
	v_mul_f64 v[6:7], v[2:3], v[6:7]
	;; [unrolled: 1-line block ×4, first 2 shown]
	v_cmpx_eq_f64_e32 0, v[8:9]
	s_xor_b32 s2, exec_lo, s2
	s_cbranch_execz .LBB157_40
; %bb.39:
	v_ashrrev_i32_e32 v11, 31, v10
	v_lshlrev_b64 v[8:9], 3, v[10:11]
                                        ; implicit-def: $vgpr10
	s_waitcnt lgkmcnt(0)
	v_add_co_u32 v8, vcc_lo, s0, v8
	v_add_co_ci_u32_e64 v9, null, s1, v9, vcc_lo
	global_store_dwordx4 v[8:9], v[4:7], off
	global_store_dwordx4 v[8:9], v[0:3], off offset:16
                                        ; implicit-def: $vgpr8_vgpr9
                                        ; implicit-def: $vgpr4_vgpr5
                                        ; implicit-def: $vgpr0_vgpr1
.LBB157_40:
	s_andn2_saveexec_b32 s2, s2
	s_cbranch_execz .LBB157_10
; %bb.41:
	v_ashrrev_i32_e32 v11, 31, v10
	v_lshlrev_b64 v[10:11], 3, v[10:11]
	s_waitcnt lgkmcnt(0)
	v_add_co_u32 v18, vcc_lo, s0, v10
	v_add_co_ci_u32_e64 v19, null, s1, v11, vcc_lo
	s_clause 0x1
	global_load_dwordx4 v[10:13], v[18:19], off
	global_load_dwordx4 v[14:17], v[18:19], off offset:16
	s_waitcnt vmcnt(1)
	v_fma_f64 v[4:5], v[8:9], v[10:11], v[4:5]
	v_fma_f64 v[6:7], v[8:9], v[12:13], v[6:7]
	s_waitcnt vmcnt(0)
	v_fma_f64 v[0:1], v[8:9], v[14:15], v[0:1]
	v_fma_f64 v[2:3], v[8:9], v[16:17], v[2:3]
	global_store_dwordx4 v[18:19], v[4:7], off
	global_store_dwordx4 v[18:19], v[0:3], off offset:16
	s_endpgm
	.section	.rodata,"a",@progbits
	.p2align	6, 0x0
	.amdhsa_kernel _ZN9rocsparseL18bsrxmvn_4x4_kernelILj128ELj16EdlifddEEvT3_20rocsparse_direction_NS_24const_host_device_scalarIT1_EES1_PKS1_PKT2_SA_S7_PKT4_PKT5_S5_PT6_21rocsparse_index_base_b
		.amdhsa_group_segment_fixed_size 0
		.amdhsa_private_segment_fixed_size 0
		.amdhsa_kernarg_size 96
		.amdhsa_user_sgpr_count 6
		.amdhsa_user_sgpr_private_segment_buffer 1
		.amdhsa_user_sgpr_dispatch_ptr 0
		.amdhsa_user_sgpr_queue_ptr 0
		.amdhsa_user_sgpr_kernarg_segment_ptr 1
		.amdhsa_user_sgpr_dispatch_id 0
		.amdhsa_user_sgpr_flat_scratch_init 0
		.amdhsa_user_sgpr_private_segment_size 0
		.amdhsa_wavefront_size32 1
		.amdhsa_uses_dynamic_stack 0
		.amdhsa_system_sgpr_private_segment_wavefront_offset 0
		.amdhsa_system_sgpr_workgroup_id_x 1
		.amdhsa_system_sgpr_workgroup_id_y 0
		.amdhsa_system_sgpr_workgroup_id_z 0
		.amdhsa_system_sgpr_workgroup_info 0
		.amdhsa_system_vgpr_workitem_id 0
		.amdhsa_next_free_vgpr 132
		.amdhsa_next_free_sgpr 16
		.amdhsa_reserve_vcc 1
		.amdhsa_reserve_flat_scratch 0
		.amdhsa_float_round_mode_32 0
		.amdhsa_float_round_mode_16_64 0
		.amdhsa_float_denorm_mode_32 3
		.amdhsa_float_denorm_mode_16_64 3
		.amdhsa_dx10_clamp 1
		.amdhsa_ieee_mode 1
		.amdhsa_fp16_overflow 0
		.amdhsa_workgroup_processor_mode 1
		.amdhsa_memory_ordered 1
		.amdhsa_forward_progress 1
		.amdhsa_shared_vgpr_count 0
		.amdhsa_exception_fp_ieee_invalid_op 0
		.amdhsa_exception_fp_denorm_src 0
		.amdhsa_exception_fp_ieee_div_zero 0
		.amdhsa_exception_fp_ieee_overflow 0
		.amdhsa_exception_fp_ieee_underflow 0
		.amdhsa_exception_fp_ieee_inexact 0
		.amdhsa_exception_int_div_zero 0
	.end_amdhsa_kernel
	.section	.text._ZN9rocsparseL18bsrxmvn_4x4_kernelILj128ELj16EdlifddEEvT3_20rocsparse_direction_NS_24const_host_device_scalarIT1_EES1_PKS1_PKT2_SA_S7_PKT4_PKT5_S5_PT6_21rocsparse_index_base_b,"axG",@progbits,_ZN9rocsparseL18bsrxmvn_4x4_kernelILj128ELj16EdlifddEEvT3_20rocsparse_direction_NS_24const_host_device_scalarIT1_EES1_PKS1_PKT2_SA_S7_PKT4_PKT5_S5_PT6_21rocsparse_index_base_b,comdat
.Lfunc_end157:
	.size	_ZN9rocsparseL18bsrxmvn_4x4_kernelILj128ELj16EdlifddEEvT3_20rocsparse_direction_NS_24const_host_device_scalarIT1_EES1_PKS1_PKT2_SA_S7_PKT4_PKT5_S5_PT6_21rocsparse_index_base_b, .Lfunc_end157-_ZN9rocsparseL18bsrxmvn_4x4_kernelILj128ELj16EdlifddEEvT3_20rocsparse_direction_NS_24const_host_device_scalarIT1_EES1_PKS1_PKT2_SA_S7_PKT4_PKT5_S5_PT6_21rocsparse_index_base_b
                                        ; -- End function
	.set _ZN9rocsparseL18bsrxmvn_4x4_kernelILj128ELj16EdlifddEEvT3_20rocsparse_direction_NS_24const_host_device_scalarIT1_EES1_PKS1_PKT2_SA_S7_PKT4_PKT5_S5_PT6_21rocsparse_index_base_b.num_vgpr, 132
	.set _ZN9rocsparseL18bsrxmvn_4x4_kernelILj128ELj16EdlifddEEvT3_20rocsparse_direction_NS_24const_host_device_scalarIT1_EES1_PKS1_PKT2_SA_S7_PKT4_PKT5_S5_PT6_21rocsparse_index_base_b.num_agpr, 0
	.set _ZN9rocsparseL18bsrxmvn_4x4_kernelILj128ELj16EdlifddEEvT3_20rocsparse_direction_NS_24const_host_device_scalarIT1_EES1_PKS1_PKT2_SA_S7_PKT4_PKT5_S5_PT6_21rocsparse_index_base_b.numbered_sgpr, 16
	.set _ZN9rocsparseL18bsrxmvn_4x4_kernelILj128ELj16EdlifddEEvT3_20rocsparse_direction_NS_24const_host_device_scalarIT1_EES1_PKS1_PKT2_SA_S7_PKT4_PKT5_S5_PT6_21rocsparse_index_base_b.num_named_barrier, 0
	.set _ZN9rocsparseL18bsrxmvn_4x4_kernelILj128ELj16EdlifddEEvT3_20rocsparse_direction_NS_24const_host_device_scalarIT1_EES1_PKS1_PKT2_SA_S7_PKT4_PKT5_S5_PT6_21rocsparse_index_base_b.private_seg_size, 0
	.set _ZN9rocsparseL18bsrxmvn_4x4_kernelILj128ELj16EdlifddEEvT3_20rocsparse_direction_NS_24const_host_device_scalarIT1_EES1_PKS1_PKT2_SA_S7_PKT4_PKT5_S5_PT6_21rocsparse_index_base_b.uses_vcc, 1
	.set _ZN9rocsparseL18bsrxmvn_4x4_kernelILj128ELj16EdlifddEEvT3_20rocsparse_direction_NS_24const_host_device_scalarIT1_EES1_PKS1_PKT2_SA_S7_PKT4_PKT5_S5_PT6_21rocsparse_index_base_b.uses_flat_scratch, 0
	.set _ZN9rocsparseL18bsrxmvn_4x4_kernelILj128ELj16EdlifddEEvT3_20rocsparse_direction_NS_24const_host_device_scalarIT1_EES1_PKS1_PKT2_SA_S7_PKT4_PKT5_S5_PT6_21rocsparse_index_base_b.has_dyn_sized_stack, 0
	.set _ZN9rocsparseL18bsrxmvn_4x4_kernelILj128ELj16EdlifddEEvT3_20rocsparse_direction_NS_24const_host_device_scalarIT1_EES1_PKS1_PKT2_SA_S7_PKT4_PKT5_S5_PT6_21rocsparse_index_base_b.has_recursion, 0
	.set _ZN9rocsparseL18bsrxmvn_4x4_kernelILj128ELj16EdlifddEEvT3_20rocsparse_direction_NS_24const_host_device_scalarIT1_EES1_PKS1_PKT2_SA_S7_PKT4_PKT5_S5_PT6_21rocsparse_index_base_b.has_indirect_call, 0
	.section	.AMDGPU.csdata,"",@progbits
; Kernel info:
; codeLenInByte = 5564
; TotalNumSgprs: 18
; NumVgprs: 132
; ScratchSize: 0
; MemoryBound: 0
; FloatMode: 240
; IeeeMode: 1
; LDSByteSize: 0 bytes/workgroup (compile time only)
; SGPRBlocks: 0
; VGPRBlocks: 16
; NumSGPRsForWavesPerEU: 18
; NumVGPRsForWavesPerEU: 132
; Occupancy: 7
; WaveLimiterHint : 1
; COMPUTE_PGM_RSRC2:SCRATCH_EN: 0
; COMPUTE_PGM_RSRC2:USER_SGPR: 6
; COMPUTE_PGM_RSRC2:TRAP_HANDLER: 0
; COMPUTE_PGM_RSRC2:TGID_X_EN: 1
; COMPUTE_PGM_RSRC2:TGID_Y_EN: 0
; COMPUTE_PGM_RSRC2:TGID_Z_EN: 0
; COMPUTE_PGM_RSRC2:TIDIG_COMP_CNT: 0
	.section	.text._ZN9rocsparseL18bsrxmvn_4x4_kernelILj128ELj32EdlifddEEvT3_20rocsparse_direction_NS_24const_host_device_scalarIT1_EES1_PKS1_PKT2_SA_S7_PKT4_PKT5_S5_PT6_21rocsparse_index_base_b,"axG",@progbits,_ZN9rocsparseL18bsrxmvn_4x4_kernelILj128ELj32EdlifddEEvT3_20rocsparse_direction_NS_24const_host_device_scalarIT1_EES1_PKS1_PKT2_SA_S7_PKT4_PKT5_S5_PT6_21rocsparse_index_base_b,comdat
	.globl	_ZN9rocsparseL18bsrxmvn_4x4_kernelILj128ELj32EdlifddEEvT3_20rocsparse_direction_NS_24const_host_device_scalarIT1_EES1_PKS1_PKT2_SA_S7_PKT4_PKT5_S5_PT6_21rocsparse_index_base_b ; -- Begin function _ZN9rocsparseL18bsrxmvn_4x4_kernelILj128ELj32EdlifddEEvT3_20rocsparse_direction_NS_24const_host_device_scalarIT1_EES1_PKS1_PKT2_SA_S7_PKT4_PKT5_S5_PT6_21rocsparse_index_base_b
	.p2align	8
	.type	_ZN9rocsparseL18bsrxmvn_4x4_kernelILj128ELj32EdlifddEEvT3_20rocsparse_direction_NS_24const_host_device_scalarIT1_EES1_PKS1_PKT2_SA_S7_PKT4_PKT5_S5_PT6_21rocsparse_index_base_b,@function
_ZN9rocsparseL18bsrxmvn_4x4_kernelILj128ELj32EdlifddEEvT3_20rocsparse_direction_NS_24const_host_device_scalarIT1_EES1_PKS1_PKT2_SA_S7_PKT4_PKT5_S5_PT6_21rocsparse_index_base_b: ; @_ZN9rocsparseL18bsrxmvn_4x4_kernelILj128ELj32EdlifddEEvT3_20rocsparse_direction_NS_24const_host_device_scalarIT1_EES1_PKS1_PKT2_SA_S7_PKT4_PKT5_S5_PT6_21rocsparse_index_base_b
; %bb.0:
	s_clause 0x2
	s_load_dwordx2 s[2:3], s[4:5], 0x58
	s_load_dwordx2 s[8:9], s[4:5], 0x8
	;; [unrolled: 1-line block ×3, first 2 shown]
	s_waitcnt lgkmcnt(0)
	s_bitcmp1_b32 s3, 0
	v_mov_b32_e32 v2, s8
	v_mov_b32_e32 v3, s9
	s_cselect_b32 s3, -1, 0
	s_and_b32 vcc_lo, exec_lo, s3
	s_xor_b32 s3, s3, -1
	s_cbranch_vccnz .LBB158_2
; %bb.1:
	v_mov_b32_e32 v1, s8
	v_mov_b32_e32 v2, s9
	flat_load_dwordx2 v[2:3], v[1:2]
.LBB158_2:
	v_mov_b32_e32 v9, s1
	v_mov_b32_e32 v8, s0
	s_andn2_b32 vcc_lo, exec_lo, s3
	s_cbranch_vccnz .LBB158_4
; %bb.3:
	v_mov_b32_e32 v5, s1
	v_mov_b32_e32 v4, s0
	flat_load_dwordx2 v[8:9], v[4:5]
.LBB158_4:
	s_waitcnt vmcnt(0) lgkmcnt(0)
	v_cmp_neq_f64_e32 vcc_lo, 0, v[2:3]
	v_cmp_neq_f64_e64 s0, 1.0, v[8:9]
	s_or_b32 s0, vcc_lo, s0
	s_and_saveexec_b32 s1, s0
	s_cbranch_execz .LBB158_10
; %bb.5:
	s_clause 0x1
	s_load_dwordx2 s[8:9], s[4:5], 0x18
	s_load_dwordx2 s[0:1], s[4:5], 0x0
	v_lshrrev_b32_e32 v1, 5, v0
	v_lshl_or_b32 v10, s6, 2, v1
	s_waitcnt lgkmcnt(0)
	s_cmp_lg_u64 s[8:9], 0
	s_cbranch_scc0 .LBB158_11
; %bb.6:
	s_load_dword s3, s[4:5], 0x10
	s_mov_b32 s6, 0
                                        ; implicit-def: $vgpr1
	s_waitcnt lgkmcnt(0)
	v_cmp_gt_i32_e32 vcc_lo, s3, v10
	s_mov_b32 s3, 0
	s_and_saveexec_b32 s7, vcc_lo
	s_xor_b32 s7, exec_lo, s7
	s_cbranch_execz .LBB158_8
; %bb.7:
	v_ashrrev_i32_e32 v11, 31, v10
	s_mov_b32 s3, exec_lo
	v_lshlrev_b64 v[4:5], 2, v[10:11]
	v_add_co_u32 v4, vcc_lo, s8, v4
	v_add_co_ci_u32_e64 v5, null, s9, v5, vcc_lo
	global_load_dword v1, v[4:5], off
	s_waitcnt vmcnt(0)
	v_subrev_nc_u32_e32 v1, s2, v1
.LBB158_8:
	s_or_b32 exec_lo, exec_lo, s7
	s_and_b32 vcc_lo, exec_lo, s6
	s_cbranch_vccz .LBB158_12
.LBB158_9:
	v_cmp_gt_i32_e32 vcc_lo, s0, v10
	s_andn2_b32 s0, s3, exec_lo
	s_and_b32 s3, vcc_lo, exec_lo
	s_or_b32 s3, s0, s3
	s_and_b32 exec_lo, exec_lo, s3
	s_cbranch_execnz .LBB158_13
.LBB158_10:
	s_endpgm
.LBB158_11:
	s_mov_b32 s3, 0
                                        ; implicit-def: $vgpr1
	s_cbranch_execnz .LBB158_9
.LBB158_12:
	v_mov_b32_e32 v10, v1
	s_and_b32 exec_lo, exec_lo, s3
	s_cbranch_execz .LBB158_10
.LBB158_13:
	s_load_dwordx8 s[8:15], s[4:5], 0x20
	v_ashrrev_i32_e32 v11, 31, v10
	v_and_b32_e32 v31, 31, v0
	s_load_dwordx2 s[6:7], s[4:5], 0x40
	v_lshlrev_b64 v[4:5], 3, v[10:11]
	s_waitcnt lgkmcnt(0)
	v_add_co_u32 v6, vcc_lo, s8, v4
	v_add_co_ci_u32_e64 v7, null, s9, v5, vcc_lo
	v_add_co_u32 v1, vcc_lo, s10, v4
	v_add_co_ci_u32_e64 v4, null, s11, v5, vcc_lo
	v_add_co_u32 v11, vcc_lo, v6, 8
	global_load_dwordx2 v[19:20], v[6:7], off
	v_add_co_ci_u32_e64 v5, null, 0, v7, vcc_lo
	s_cmp_eq_u64 s[10:11], 0
	s_cselect_b32 vcc_lo, -1, 0
	s_cmp_eq_u32 s1, 1
	v_cndmask_b32_e32 v5, v4, v5, vcc_lo
	v_cndmask_b32_e32 v4, v1, v11, vcc_lo
	global_load_dwordx2 v[4:5], v[4:5], off
	s_waitcnt vmcnt(1)
	v_sub_co_u32 v0, vcc_lo, v19, s2
	v_subrev_co_ci_u32_e64 v1, null, 0, v20, vcc_lo
	v_add_co_u32 v0, vcc_lo, v0, v31
	v_add_co_ci_u32_e64 v1, null, 0, v1, vcc_lo
	v_lshlrev_b64 v[6:7], 6, v[0:1]
	s_waitcnt vmcnt(0)
	v_sub_co_u32 v4, vcc_lo, v4, s2
	v_subrev_co_ci_u32_e64 v5, null, 0, v5, vcc_lo
	v_add_co_u32 v6, vcc_lo, s14, v6
	v_cmp_lt_i64_e64 s0, v[0:1], v[4:5]
	v_add_co_ci_u32_e64 v7, null, s15, v7, vcc_lo
	s_cbranch_scc1 .LBB158_25
; %bb.14:
	v_mov_b32_e32 v11, 0
	v_mov_b32_e32 v13, 0
	;; [unrolled: 1-line block ×8, first 2 shown]
	s_and_saveexec_b32 s3, s0
	s_cbranch_execz .LBB158_24
; %bb.15:
	v_or_b32_e32 v11, 32, v31
	v_not_b32_e32 v14, v19
	v_not_b32_e32 v13, v20
	v_mov_b32_e32 v22, 0
	v_mov_b32_e32 v17, 0
	v_sub_co_u32 v11, s1, v11, s2
	v_sub_co_ci_u32_e64 v12, null, 0, 0, s1
	v_sub_co_u32 v15, s1, s2, v31
	v_add_co_u32 v11, vcc_lo, v11, v19
	v_add_co_ci_u32_e64 v12, null, v12, v20, vcc_lo
	v_sub_co_ci_u32_e64 v16, null, 0, 0, s1
	v_mov_b32_e32 v24, v1
	v_cmp_gt_i64_e32 vcc_lo, v[11:12], v[4:5]
	v_mov_b32_e32 v18, 0
	v_mov_b32_e32 v23, v0
	v_cndmask_b32_e32 v12, v5, v12, vcc_lo
	v_cndmask_b32_e32 v11, v4, v11, vcc_lo
	v_add_co_u32 v14, vcc_lo, v15, v14
	v_add_co_ci_u32_e64 v13, null, v16, v13, vcc_lo
	v_mov_b32_e32 v15, 0
	v_add_co_u32 v25, vcc_lo, v14, v11
	v_add_co_ci_u32_e64 v26, null, v13, v12, vcc_lo
	v_mov_b32_e32 v13, 0
	v_and_b32_e32 v21, 0x60, v25
	v_mov_b32_e32 v11, 0
	v_mov_b32_e32 v16, 0
	;; [unrolled: 1-line block ×4, first 2 shown]
	v_cmp_ne_u64_e32 vcc_lo, 0x60, v[21:22]
	v_mov_b32_e32 v22, v7
	v_mov_b32_e32 v21, v6
	s_and_saveexec_b32 s8, vcc_lo
	s_cbranch_execz .LBB158_19
; %bb.16:
	v_lshrrev_b32_e32 v11, 5, v25
	v_lshlrev_b64 v[17:18], 2, v[0:1]
	v_mov_b32_e32 v22, v7
	v_mov_b32_e32 v13, 0
	;; [unrolled: 1-line block ×3, first 2 shown]
	v_add_nc_u32_e32 v23, 1, v11
	v_mov_b32_e32 v11, 0
	v_add_co_u32 v27, vcc_lo, s12, v17
	v_add_co_ci_u32_e64 v28, null, s13, v18, vcc_lo
	v_and_b32_e32 v23, 3, v23
	v_mov_b32_e32 v17, 0
	v_mov_b32_e32 v12, 0
	;; [unrolled: 1-line block ×4, first 2 shown]
	v_sub_co_u32 v29, s1, 0, v23
	v_mov_b32_e32 v24, v1
	v_mov_b32_e32 v16, 0
	v_sub_co_ci_u32_e64 v30, null, 0, 0, s1
	v_mov_b32_e32 v18, 0
	v_mov_b32_e32 v23, v0
	s_mov_b32 s9, 0
.LBB158_17:                             ; =>This Inner Loop Header: Depth=1
	global_load_dword v48, v[27:28], off
	s_clause 0x3
	global_load_dwordx4 v[32:35], v[21:22], off offset:48
	global_load_dwordx4 v[36:39], v[21:22], off offset:32
	;; [unrolled: 1-line block ×3, first 2 shown]
	global_load_dwordx4 v[44:47], v[21:22], off
	v_add_co_u32 v27, s1, 0x80, v27
	v_add_co_ci_u32_e64 v28, null, 0, v28, s1
	s_waitcnt vmcnt(4)
	v_subrev_nc_u32_e32 v48, s2, v48
	s_waitcnt vmcnt(3)
	v_cvt_f64_f32_e32 v[62:63], v32
	s_waitcnt vmcnt(2)
	v_cvt_f64_f32_e32 v[60:61], v36
	;; [unrolled: 2-line block ×4, first 2 shown]
	v_lshlrev_b32_e32 v48, 2, v48
	v_cvt_f64_f32_e32 v[44:45], v45
	v_cvt_f64_f32_e32 v[40:41], v41
	;; [unrolled: 1-line block ×4, first 2 shown]
	v_ashrrev_i32_e32 v49, 31, v48
	v_lshlrev_b64 v[48:49], 3, v[48:49]
	v_add_co_u32 v52, vcc_lo, s6, v48
	v_add_co_ci_u32_e64 v53, null, s7, v49, vcc_lo
	v_add_co_u32 v21, vcc_lo, 0x800, v21
	v_add_co_ci_u32_e64 v22, null, 0, v22, vcc_lo
	s_clause 0x1
	global_load_dwordx4 v[48:51], v[52:53], off
	global_load_dwordx4 v[52:55], v[52:53], off offset:16
	v_add_co_u32 v29, vcc_lo, v29, 1
	v_add_co_ci_u32_e64 v30, null, 0, v30, vcc_lo
	v_add_co_u32 v23, vcc_lo, v23, 32
	v_add_co_ci_u32_e64 v24, null, 0, v24, vcc_lo
	v_cmp_eq_u64_e32 vcc_lo, 0, v[29:30]
	s_or_b32 s9, vcc_lo, s9
	s_waitcnt vmcnt(1)
	v_fma_f64 v[17:18], v[56:57], v[48:49], v[17:18]
	v_fma_f64 v[15:16], v[58:59], v[48:49], v[15:16]
	;; [unrolled: 1-line block ×4, first 2 shown]
	v_cvt_f64_f32_e32 v[48:49], v46
	v_cvt_f64_f32_e32 v[56:57], v42
	;; [unrolled: 1-line block ×6, first 2 shown]
	v_fma_f64 v[17:18], v[44:45], v[50:51], v[17:18]
	v_fma_f64 v[15:16], v[40:41], v[50:51], v[15:16]
	;; [unrolled: 1-line block ×4, first 2 shown]
	v_cvt_f64_f32_e32 v[32:33], v47
	v_cvt_f64_f32_e32 v[36:37], v43
	s_waitcnt vmcnt(0)
	v_fma_f64 v[17:18], v[48:49], v[52:53], v[17:18]
	v_fma_f64 v[15:16], v[56:57], v[52:53], v[15:16]
	;; [unrolled: 1-line block ×8, first 2 shown]
	s_andn2_b32 exec_lo, exec_lo, s9
	s_cbranch_execnz .LBB158_17
; %bb.18:
	s_or_b32 exec_lo, exec_lo, s9
.LBB158_19:
	s_or_b32 exec_lo, exec_lo, s8
	s_mov_b32 s8, exec_lo
	v_cmpx_lt_u64_e32 0x5f, v[25:26]
	s_cbranch_execz .LBB158_23
; %bb.20:
	v_lshlrev_b64 v[25:26], 2, v[23:24]
	s_mov_b32 s9, 0
	v_add_co_u32 v25, vcc_lo, s12, v25
	v_add_co_ci_u32_e64 v26, null, s13, v26, vcc_lo
	v_add_co_u32 v25, vcc_lo, 0x100, v25
	v_add_co_ci_u32_e64 v26, null, 0, v26, vcc_lo
.LBB158_21:                             ; =>This Inner Loop Header: Depth=1
	s_clause 0x3
	global_load_dword v44, v[25:26], off offset:-256
	global_load_dword v68, v[25:26], off offset:-128
	global_load_dword v92, v[25:26], off
	global_load_dword v116, v[25:26], off offset:128
	s_clause 0x3
	global_load_dwordx4 v[27:30], v[21:22], off
	global_load_dwordx4 v[32:35], v[21:22], off offset:16
	global_load_dwordx4 v[36:39], v[21:22], off offset:48
	;; [unrolled: 1-line block ×3, first 2 shown]
	s_waitcnt vmcnt(7)
	v_subrev_nc_u32_e32 v44, s2, v44
	s_waitcnt vmcnt(6)
	v_subrev_nc_u32_e32 v68, s2, v68
	s_waitcnt vmcnt(5)
	v_subrev_nc_u32_e32 v92, s2, v92
	s_waitcnt vmcnt(4)
	v_subrev_nc_u32_e32 v116, s2, v116
	s_waitcnt vmcnt(3)
	v_cvt_f64_f32_e32 v[124:125], v27
	v_lshlrev_b32_e32 v44, 2, v44
	v_lshlrev_b32_e32 v68, 2, v68
	;; [unrolled: 1-line block ×4, first 2 shown]
	s_waitcnt vmcnt(2)
	v_cvt_f64_f32_e32 v[126:127], v32
	v_ashrrev_i32_e32 v45, 31, v44
	v_ashrrev_i32_e32 v69, 31, v68
	v_ashrrev_i32_e32 v93, 31, v92
	v_ashrrev_i32_e32 v117, 31, v116
	s_waitcnt vmcnt(0)
	v_cvt_f64_f32_e32 v[128:129], v40
	v_lshlrev_b64 v[44:45], 3, v[44:45]
	v_lshlrev_b64 v[68:69], 3, v[68:69]
	;; [unrolled: 1-line block ×4, first 2 shown]
	v_cvt_f64_f32_e32 v[130:131], v36
	v_cvt_f64_f32_e32 v[27:28], v28
	v_add_co_u32 v48, vcc_lo, s6, v44
	v_add_co_ci_u32_e64 v49, null, s7, v45, vcc_lo
	v_add_co_u32 v76, vcc_lo, v21, 0x1000
	v_add_co_ci_u32_e64 v77, null, 0, v22, vcc_lo
	s_clause 0x1
	global_load_dwordx4 v[44:47], v[48:49], off
	global_load_dwordx4 v[48:51], v[48:49], off offset:16
	v_add_co_u32 v64, vcc_lo, 0x800, v21
	v_add_co_ci_u32_e64 v65, null, 0, v22, vcc_lo
	s_clause 0x3
	global_load_dwordx4 v[52:55], v[76:77], off offset:-2048
	global_load_dwordx4 v[56:59], v[64:65], off offset:48
	global_load_dwordx4 v[60:63], v[64:65], off offset:32
	;; [unrolled: 1-line block ×3, first 2 shown]
	v_add_co_u32 v72, vcc_lo, s6, v68
	v_add_co_ci_u32_e64 v73, null, s7, v69, vcc_lo
	s_clause 0x1
	global_load_dwordx4 v[68:71], v[72:73], off
	global_load_dwordx4 v[72:75], v[72:73], off offset:16
	v_add_co_u32 v88, vcc_lo, 0x1000, v21
	v_add_co_ci_u32_e64 v89, null, 0, v22, vcc_lo
	s_clause 0x3
	global_load_dwordx4 v[76:79], v[76:77], off
	global_load_dwordx4 v[80:83], v[88:89], off offset:48
	global_load_dwordx4 v[84:87], v[88:89], off offset:32
	;; [unrolled: 1-line block ×3, first 2 shown]
	v_add_co_u32 v96, vcc_lo, s6, v92
	v_add_co_ci_u32_e64 v97, null, s7, v93, vcc_lo
	s_clause 0x1
	global_load_dwordx4 v[92:95], v[96:97], off
	global_load_dwordx4 v[96:99], v[96:97], off offset:16
	v_add_co_u32 v112, vcc_lo, 0x1800, v21
	v_add_co_ci_u32_e64 v113, null, 0, v22, vcc_lo
	s_clause 0x3
	global_load_dwordx4 v[100:103], v[112:113], off
	global_load_dwordx4 v[104:107], v[112:113], off offset:16
	global_load_dwordx4 v[108:111], v[112:113], off offset:32
	global_load_dwordx4 v[112:115], v[112:113], off offset:48
	v_add_co_u32 v120, vcc_lo, s6, v116
	v_add_co_ci_u32_e64 v121, null, s7, v117, vcc_lo
	v_cvt_f64_f32_e32 v[32:33], v33
	v_cvt_f64_f32_e32 v[40:41], v41
	;; [unrolled: 1-line block ×3, first 2 shown]
	s_clause 0x1
	global_load_dwordx4 v[116:119], v[120:121], off
	global_load_dwordx4 v[120:123], v[120:121], off offset:16
	v_add_co_u32 v23, vcc_lo, 0x80, v23
	v_add_co_ci_u32_e64 v24, null, 0, v24, vcc_lo
	v_add_co_u32 v25, vcc_lo, 0x200, v25
	v_add_co_ci_u32_e64 v26, null, 0, v26, vcc_lo
	v_cmp_ge_i64_e32 vcc_lo, v[23:24], v[4:5]
	v_add_co_u32 v21, s1, 0x2000, v21
	v_add_co_ci_u32_e64 v22, null, 0, v22, s1
	s_or_b32 s9, vcc_lo, s9
	s_waitcnt vmcnt(19)
	v_fma_f64 v[17:18], v[124:125], v[44:45], v[17:18]
	v_fma_f64 v[15:16], v[126:127], v[44:45], v[15:16]
	;; [unrolled: 1-line block ×4, first 2 shown]
	v_cvt_f64_f32_e32 v[44:45], v29
	v_cvt_f64_f32_e32 v[124:125], v34
	;; [unrolled: 1-line block ×4, first 2 shown]
	v_fma_f64 v[17:18], v[27:28], v[46:47], v[17:18]
	v_cvt_f64_f32_e32 v[27:28], v42
	v_fma_f64 v[15:16], v[32:33], v[46:47], v[15:16]
	v_cvt_f64_f32_e32 v[32:33], v38
	v_fma_f64 v[13:14], v[40:41], v[46:47], v[13:14]
	v_fma_f64 v[11:12], v[36:37], v[46:47], v[11:12]
	v_cvt_f64_f32_e32 v[36:37], v43
	v_cvt_f64_f32_e32 v[38:39], v39
	s_waitcnt vmcnt(15)
	v_cvt_f64_f32_e32 v[40:41], v60
	v_cvt_f64_f32_e32 v[42:43], v56
	v_fma_f64 v[17:18], v[44:45], v[48:49], v[17:18]
	v_fma_f64 v[15:16], v[124:125], v[48:49], v[15:16]
	;; [unrolled: 1-line block ×4, first 2 shown]
	v_cvt_f64_f32_e32 v[27:28], v52
	s_waitcnt vmcnt(14)
	v_cvt_f64_f32_e32 v[32:33], v64
	v_fma_f64 v[17:18], v[29:30], v[50:51], v[17:18]
	v_cvt_f64_f32_e32 v[29:30], v53
	v_fma_f64 v[15:16], v[34:35], v[50:51], v[15:16]
	;; [unrolled: 2-line block ×3, first 2 shown]
	v_fma_f64 v[11:12], v[38:39], v[50:51], v[11:12]
	v_cvt_f64_f32_e32 v[36:37], v61
	v_cvt_f64_f32_e32 v[38:39], v57
	s_waitcnt vmcnt(13)
	v_fma_f64 v[17:18], v[27:28], v[68:69], v[17:18]
	v_cvt_f64_f32_e32 v[27:28], v54
	v_fma_f64 v[15:16], v[32:33], v[68:69], v[15:16]
	v_cvt_f64_f32_e32 v[32:33], v66
	v_fma_f64 v[13:14], v[40:41], v[68:69], v[13:14]
	v_fma_f64 v[11:12], v[42:43], v[68:69], v[11:12]
	v_cvt_f64_f32_e32 v[40:41], v62
	v_cvt_f64_f32_e32 v[42:43], v58
	v_fma_f64 v[17:18], v[29:30], v[70:71], v[17:18]
	v_cvt_f64_f32_e32 v[29:30], v55
	v_fma_f64 v[15:16], v[34:35], v[70:71], v[15:16]
	v_cvt_f64_f32_e32 v[34:35], v67
	v_fma_f64 v[13:14], v[36:37], v[70:71], v[13:14]
	v_fma_f64 v[11:12], v[38:39], v[70:71], v[11:12]
	v_cvt_f64_f32_e32 v[36:37], v63
	v_cvt_f64_f32_e32 v[38:39], v59
	s_waitcnt vmcnt(12)
	v_fma_f64 v[17:18], v[27:28], v[72:73], v[17:18]
	s_waitcnt vmcnt(11)
	v_cvt_f64_f32_e32 v[27:28], v76
	v_fma_f64 v[15:16], v[32:33], v[72:73], v[15:16]
	s_waitcnt vmcnt(8)
	v_cvt_f64_f32_e32 v[32:33], v88
	v_fma_f64 v[13:14], v[40:41], v[72:73], v[13:14]
	v_fma_f64 v[11:12], v[42:43], v[72:73], v[11:12]
	v_cvt_f64_f32_e32 v[40:41], v84
	v_cvt_f64_f32_e32 v[42:43], v80
	v_fma_f64 v[17:18], v[29:30], v[74:75], v[17:18]
	v_cvt_f64_f32_e32 v[29:30], v77
	v_fma_f64 v[15:16], v[34:35], v[74:75], v[15:16]
	;; [unrolled: 2-line block ×3, first 2 shown]
	v_fma_f64 v[11:12], v[38:39], v[74:75], v[11:12]
	v_cvt_f64_f32_e32 v[36:37], v85
	v_cvt_f64_f32_e32 v[38:39], v81
	s_waitcnt vmcnt(7)
	v_fma_f64 v[17:18], v[27:28], v[92:93], v[17:18]
	v_cvt_f64_f32_e32 v[27:28], v78
	v_fma_f64 v[15:16], v[32:33], v[92:93], v[15:16]
	v_cvt_f64_f32_e32 v[32:33], v90
	v_fma_f64 v[13:14], v[40:41], v[92:93], v[13:14]
	v_fma_f64 v[11:12], v[42:43], v[92:93], v[11:12]
	v_cvt_f64_f32_e32 v[40:41], v86
	v_cvt_f64_f32_e32 v[42:43], v82
	v_fma_f64 v[17:18], v[29:30], v[94:95], v[17:18]
	v_cvt_f64_f32_e32 v[29:30], v79
	v_fma_f64 v[15:16], v[34:35], v[94:95], v[15:16]
	;; [unrolled: 2-line block ×3, first 2 shown]
	v_fma_f64 v[11:12], v[38:39], v[94:95], v[11:12]
	v_cvt_f64_f32_e32 v[36:37], v87
	v_cvt_f64_f32_e32 v[38:39], v83
	s_waitcnt vmcnt(6)
	v_fma_f64 v[17:18], v[27:28], v[96:97], v[17:18]
	s_waitcnt vmcnt(5)
	v_cvt_f64_f32_e32 v[27:28], v100
	v_fma_f64 v[15:16], v[32:33], v[96:97], v[15:16]
	s_waitcnt vmcnt(4)
	v_cvt_f64_f32_e32 v[32:33], v104
	v_fma_f64 v[13:14], v[40:41], v[96:97], v[13:14]
	v_fma_f64 v[11:12], v[42:43], v[96:97], v[11:12]
	s_waitcnt vmcnt(3)
	v_cvt_f64_f32_e32 v[40:41], v108
	s_waitcnt vmcnt(2)
	v_cvt_f64_f32_e32 v[42:43], v112
	v_fma_f64 v[17:18], v[29:30], v[98:99], v[17:18]
	v_cvt_f64_f32_e32 v[29:30], v101
	v_fma_f64 v[15:16], v[34:35], v[98:99], v[15:16]
	;; [unrolled: 2-line block ×3, first 2 shown]
	v_fma_f64 v[11:12], v[38:39], v[98:99], v[11:12]
	v_cvt_f64_f32_e32 v[36:37], v109
	v_cvt_f64_f32_e32 v[38:39], v113
	s_waitcnt vmcnt(1)
	v_fma_f64 v[17:18], v[27:28], v[116:117], v[17:18]
	v_cvt_f64_f32_e32 v[27:28], v102
	v_fma_f64 v[15:16], v[32:33], v[116:117], v[15:16]
	v_cvt_f64_f32_e32 v[32:33], v106
	v_fma_f64 v[13:14], v[40:41], v[116:117], v[13:14]
	v_fma_f64 v[11:12], v[42:43], v[116:117], v[11:12]
	v_cvt_f64_f32_e32 v[40:41], v110
	v_cvt_f64_f32_e32 v[42:43], v114
	v_fma_f64 v[17:18], v[29:30], v[118:119], v[17:18]
	v_cvt_f64_f32_e32 v[29:30], v103
	v_fma_f64 v[15:16], v[34:35], v[118:119], v[15:16]
	;; [unrolled: 2-line block ×3, first 2 shown]
	v_fma_f64 v[11:12], v[38:39], v[118:119], v[11:12]
	v_cvt_f64_f32_e32 v[36:37], v111
	v_cvt_f64_f32_e32 v[38:39], v115
	s_waitcnt vmcnt(0)
	v_fma_f64 v[17:18], v[27:28], v[120:121], v[17:18]
	v_fma_f64 v[15:16], v[32:33], v[120:121], v[15:16]
	;; [unrolled: 1-line block ×8, first 2 shown]
	s_andn2_b32 exec_lo, exec_lo, s9
	s_cbranch_execnz .LBB158_21
; %bb.22:
	s_or_b32 exec_lo, exec_lo, s9
.LBB158_23:
	s_or_b32 exec_lo, exec_lo, s8
.LBB158_24:
	s_or_b32 exec_lo, exec_lo, s3
	s_cbranch_execz .LBB158_26
	s_branch .LBB158_37
.LBB158_25:
                                        ; implicit-def: $vgpr11_vgpr12
                                        ; implicit-def: $vgpr13_vgpr14
                                        ; implicit-def: $vgpr15_vgpr16
                                        ; implicit-def: $vgpr17_vgpr18
.LBB158_26:
	v_mov_b32_e32 v11, 0
	v_mov_b32_e32 v13, 0
	;; [unrolled: 1-line block ×8, first 2 shown]
	s_and_saveexec_b32 s1, s0
	s_cbranch_execz .LBB158_36
; %bb.27:
	v_or_b32_e32 v11, 32, v31
	v_not_b32_e32 v14, v19
	v_not_b32_e32 v13, v20
	v_sub_co_u32 v11, s0, v11, s2
	v_sub_co_ci_u32_e64 v12, null, 0, 0, s0
	v_sub_co_u32 v15, s0, s2, v31
	v_add_co_u32 v11, vcc_lo, v11, v19
	v_add_co_ci_u32_e64 v12, null, v12, v20, vcc_lo
	v_sub_co_ci_u32_e64 v16, null, 0, 0, s0
	v_cmp_gt_i64_e32 vcc_lo, v[11:12], v[4:5]
	v_cndmask_b32_e32 v17, v5, v12, vcc_lo
	v_cndmask_b32_e32 v11, v4, v11, vcc_lo
	v_add_co_u32 v12, vcc_lo, v15, v14
	v_add_co_ci_u32_e64 v13, null, v16, v13, vcc_lo
	v_mov_b32_e32 v15, 0
	v_add_co_u32 v19, vcc_lo, v12, v11
	v_mov_b32_e32 v12, 0
	v_add_co_ci_u32_e64 v20, null, v13, v17, vcc_lo
	v_and_b32_e32 v11, 0x60, v19
	v_mov_b32_e32 v17, 0
	v_mov_b32_e32 v13, 0
	;; [unrolled: 1-line block ×4, first 2 shown]
	v_cmp_ne_u64_e32 vcc_lo, 0x60, v[11:12]
	v_mov_b32_e32 v11, 0
	v_mov_b32_e32 v14, 0
	v_mov_b32_e32 v12, 0
	s_and_saveexec_b32 s3, vcc_lo
	s_cbranch_execz .LBB158_31
; %bb.28:
	v_lshrrev_b32_e32 v11, 5, v19
	v_lshlrev_b64 v[21:22], 2, v[0:1]
	v_mov_b32_e32 v13, 0
	v_mov_b32_e32 v15, 0
	;; [unrolled: 1-line block ×3, first 2 shown]
	v_add_nc_u32_e32 v23, 1, v11
	v_mov_b32_e32 v11, 0
	v_add_co_u32 v21, vcc_lo, s12, v21
	v_mov_b32_e32 v12, 0
	v_and_b32_e32 v23, 3, v23
	v_mov_b32_e32 v14, 0
	v_mov_b32_e32 v16, 0
	;; [unrolled: 1-line block ×3, first 2 shown]
	v_add_co_ci_u32_e64 v22, null, s13, v22, vcc_lo
	v_sub_co_u32 v23, s0, 0, v23
	v_sub_co_ci_u32_e64 v24, null, 0, 0, s0
	s_mov_b32 s8, 0
.LBB158_29:                             ; =>This Inner Loop Header: Depth=1
	global_load_dword v29, v[21:22], off
	s_clause 0x1
	global_load_dwordx4 v[25:28], v[6:7], off offset:16
	global_load_dwordx4 v[32:35], v[6:7], off
	v_add_co_u32 v21, s0, 0x80, v21
	v_add_co_ci_u32_e64 v22, null, 0, v22, s0
	s_waitcnt vmcnt(2)
	v_subrev_nc_u32_e32 v29, s2, v29
	s_waitcnt vmcnt(1)
	v_cvt_f64_f32_e32 v[54:55], v25
	s_waitcnt vmcnt(0)
	v_cvt_f64_f32_e32 v[52:53], v34
	v_cvt_f64_f32_e32 v[34:35], v35
	;; [unrolled: 1-line block ×3, first 2 shown]
	v_lshlrev_b32_e32 v29, 2, v29
	v_cvt_f64_f32_e32 v[56:57], v27
	v_cvt_f64_f32_e32 v[27:28], v28
	v_ashrrev_i32_e32 v30, 31, v29
	v_lshlrev_b64 v[29:30], 3, v[29:30]
	v_add_co_u32 v29, vcc_lo, s6, v29
	v_add_co_ci_u32_e64 v30, null, s7, v30, vcc_lo
	s_clause 0x1
	global_load_dwordx4 v[36:39], v[29:30], off
	global_load_dwordx4 v[40:43], v[29:30], off offset:16
	s_clause 0x1
	global_load_dwordx4 v[44:47], v[6:7], off offset:32
	global_load_dwordx4 v[48:51], v[6:7], off offset:48
	v_cvt_f64_f32_e32 v[29:30], v32
	v_cvt_f64_f32_e32 v[32:33], v33
	v_add_co_u32 v6, vcc_lo, 0x800, v6
	v_add_co_ci_u32_e64 v7, null, 0, v7, vcc_lo
	v_add_co_u32 v23, vcc_lo, v23, 1
	v_add_co_ci_u32_e64 v24, null, 0, v24, vcc_lo
	;; [unrolled: 2-line block ×3, first 2 shown]
	v_cmp_eq_u64_e32 vcc_lo, 0, v[23:24]
	s_or_b32 s8, vcc_lo, s8
	s_waitcnt vmcnt(3)
	v_fma_f64 v[17:18], v[29:30], v[36:37], v[17:18]
	v_fma_f64 v[15:16], v[32:33], v[36:37], v[15:16]
	;; [unrolled: 1-line block ×4, first 2 shown]
	s_waitcnt vmcnt(1)
	v_cvt_f64_f32_e32 v[29:30], v44
	v_cvt_f64_f32_e32 v[32:33], v45
	;; [unrolled: 1-line block ×4, first 2 shown]
	s_waitcnt vmcnt(0)
	v_cvt_f64_f32_e32 v[44:45], v51
	v_fma_f64 v[17:18], v[54:55], v[38:39], v[17:18]
	v_fma_f64 v[15:16], v[25:26], v[38:39], v[15:16]
	;; [unrolled: 1-line block ×4, first 2 shown]
	v_cvt_f64_f32_e32 v[25:26], v48
	v_cvt_f64_f32_e32 v[27:28], v49
	;; [unrolled: 1-line block ×3, first 2 shown]
	v_fma_f64 v[17:18], v[29:30], v[40:41], v[17:18]
	v_fma_f64 v[15:16], v[32:33], v[40:41], v[15:16]
	;; [unrolled: 1-line block ×8, first 2 shown]
	s_andn2_b32 exec_lo, exec_lo, s8
	s_cbranch_execnz .LBB158_29
; %bb.30:
	s_or_b32 exec_lo, exec_lo, s8
.LBB158_31:
	s_or_b32 exec_lo, exec_lo, s3
	s_mov_b32 s3, exec_lo
	v_cmpx_lt_u64_e32 0x5f, v[19:20]
	s_cbranch_execz .LBB158_35
; %bb.32:
	v_lshlrev_b64 v[19:20], 2, v[0:1]
	s_mov_b32 s8, 0
	v_add_co_u32 v19, vcc_lo, s12, v19
	v_add_co_ci_u32_e64 v20, null, s13, v20, vcc_lo
	v_add_co_u32 v19, vcc_lo, 0x100, v19
	v_add_co_ci_u32_e64 v20, null, 0, v20, vcc_lo
.LBB158_33:                             ; =>This Inner Loop Header: Depth=1
	s_clause 0x2
	global_load_dword v29, v[19:20], off offset:-256
	global_load_dword v52, v[19:20], off offset:-128
	global_load_dword v80, v[19:20], off
	s_clause 0x1
	global_load_dwordx4 v[21:24], v[6:7], off
	global_load_dwordx4 v[25:28], v[6:7], off offset:16
	global_load_dword v110, v[19:20], off offset:128
	global_load_dwordx4 v[32:35], v[6:7], off offset:32
	s_waitcnt vmcnt(6)
	v_subrev_nc_u32_e32 v29, s2, v29
	s_waitcnt vmcnt(5)
	v_subrev_nc_u32_e32 v52, s2, v52
	s_waitcnt vmcnt(3)
	v_cvt_f64_f32_e32 v[94:95], v21
	v_cvt_f64_f32_e32 v[96:97], v22
	v_lshlrev_b32_e32 v29, 2, v29
	v_lshlrev_b32_e32 v52, 2, v52
	s_waitcnt vmcnt(1)
	v_subrev_nc_u32_e32 v21, s2, v110
	v_cvt_f64_f32_e32 v[98:99], v23
	v_cvt_f64_f32_e32 v[100:101], v24
	v_ashrrev_i32_e32 v30, 31, v29
	v_ashrrev_i32_e32 v53, 31, v52
	v_cvt_f64_f32_e32 v[102:103], v25
	v_lshlrev_b32_e32 v25, 2, v21
	v_cvt_f64_f32_e32 v[104:105], v26
	v_lshlrev_b64 v[29:30], 3, v[29:30]
	v_lshlrev_b64 v[52:53], 3, v[52:53]
	v_cvt_f64_f32_e32 v[106:107], v27
	v_ashrrev_i32_e32 v26, 31, v25
	v_cvt_f64_f32_e32 v[108:109], v28
	s_waitcnt vmcnt(0)
	v_cvt_f64_f32_e32 v[110:111], v32
	v_add_co_u32 v29, vcc_lo, s6, v29
	v_add_co_ci_u32_e64 v30, null, s7, v30, vcc_lo
	v_lshlrev_b64 v[25:26], 3, v[25:26]
	v_cvt_f64_f32_e32 v[112:113], v33
	v_cvt_f64_f32_e32 v[114:115], v34
	global_load_dwordx4 v[36:39], v[29:30], off
	global_load_dwordx4 v[40:43], v[6:7], off offset:48
	global_load_dwordx4 v[44:47], v[29:30], off offset:16
	v_add_co_u32 v29, vcc_lo, v6, 0x1000
	v_add_co_ci_u32_e64 v30, null, 0, v7, vcc_lo
	v_add_co_u32 v68, vcc_lo, 0x800, v6
	v_add_co_ci_u32_e64 v69, null, 0, v7, vcc_lo
	global_load_dwordx4 v[48:51], v[29:30], off offset:-2048
	v_add_co_u32 v60, vcc_lo, s6, v52
	v_add_co_ci_u32_e64 v61, null, s7, v53, vcc_lo
	global_load_dwordx4 v[52:55], v[68:69], off offset:16
	s_clause 0x1
	global_load_dwordx4 v[56:59], v[60:61], off
	global_load_dwordx4 v[60:63], v[60:61], off offset:16
	s_clause 0x1
	global_load_dwordx4 v[64:67], v[68:69], off offset:32
	global_load_dwordx4 v[68:71], v[68:69], off offset:48
	v_add_co_u32 v88, vcc_lo, 0x1000, v6
	v_add_co_ci_u32_e64 v89, null, 0, v7, vcc_lo
	s_clause 0x1
	global_load_dwordx4 v[72:75], v[29:30], off
	global_load_dwordx4 v[76:79], v[88:89], off offset:16
	v_subrev_nc_u32_e32 v29, s2, v80
	v_cvt_f64_f32_e32 v[116:117], v35
	v_lshlrev_b32_e32 v29, 2, v29
	v_ashrrev_i32_e32 v30, 31, v29
	v_lshlrev_b64 v[29:30], 3, v[29:30]
	v_add_co_u32 v29, vcc_lo, s6, v29
	v_add_co_ci_u32_e64 v30, null, s7, v30, vcc_lo
	global_load_dwordx4 v[80:83], v[88:89], off offset:32
	global_load_dwordx4 v[84:87], v[29:30], off
	global_load_dwordx4 v[88:91], v[88:89], off offset:48
	global_load_dwordx4 v[21:24], v[29:30], off offset:16
	v_add_co_u32 v92, vcc_lo, 0x1800, v6
	v_add_co_ci_u32_e64 v93, null, 0, v7, vcc_lo
	v_add_co_u32 v29, vcc_lo, s6, v25
	v_add_co_ci_u32_e64 v30, null, s7, v26, vcc_lo
	global_load_dwordx4 v[25:28], v[92:93], off
	v_add_co_u32 v0, vcc_lo, 0x80, v0
	v_add_co_ci_u32_e64 v1, null, 0, v1, vcc_lo
	v_add_co_u32 v19, vcc_lo, 0x200, v19
	v_add_co_ci_u32_e64 v20, null, 0, v20, vcc_lo
	v_cmp_ge_i64_e32 vcc_lo, v[0:1], v[4:5]
	v_add_co_u32 v6, s0, 0x2000, v6
	v_add_co_ci_u32_e64 v7, null, 0, v7, s0
	s_or_b32 s8, vcc_lo, s8
	s_waitcnt vmcnt(15)
	v_fma_f64 v[32:33], v[94:95], v[36:37], v[17:18]
	v_fma_f64 v[34:35], v[96:97], v[36:37], v[15:16]
	global_load_dwordx4 v[15:18], v[92:93], off offset:16
	v_fma_f64 v[94:95], v[98:99], v[36:37], v[13:14]
	v_fma_f64 v[36:37], v[100:101], v[36:37], v[11:12]
	global_load_dwordx4 v[11:14], v[29:30], off
	v_fma_f64 v[96:97], v[102:103], v[38:39], v[32:33]
	v_fma_f64 v[98:99], v[104:105], v[38:39], v[34:35]
	global_load_dwordx4 v[32:35], v[92:93], off offset:32
	v_fma_f64 v[100:101], v[106:107], v[38:39], v[94:95]
	global_load_dwordx4 v[92:95], v[92:93], off offset:48
	;; [unrolled: 2-line block ×3, first 2 shown]
	s_waitcnt vmcnt(19)
	v_cvt_f64_f32_e32 v[104:105], v40
	v_cvt_f64_f32_e32 v[40:41], v41
	;; [unrolled: 1-line block ×4, first 2 shown]
	s_waitcnt vmcnt(18)
	v_fma_f64 v[29:30], v[110:111], v[44:45], v[96:97]
	v_fma_f64 v[96:97], v[112:113], v[44:45], v[98:99]
	;; [unrolled: 1-line block ×3, first 2 shown]
	s_waitcnt vmcnt(17)
	v_cvt_f64_f32_e32 v[100:101], v48
	v_fma_f64 v[44:45], v[116:117], v[44:45], v[102:103]
	v_cvt_f64_f32_e32 v[48:49], v49
	v_cvt_f64_f32_e32 v[102:103], v50
	;; [unrolled: 1-line block ×3, first 2 shown]
	v_fma_f64 v[29:30], v[104:105], v[46:47], v[29:30]
	v_fma_f64 v[40:41], v[40:41], v[46:47], v[96:97]
	;; [unrolled: 1-line block ×4, first 2 shown]
	s_waitcnt vmcnt(16)
	v_cvt_f64_f32_e32 v[44:45], v52
	v_cvt_f64_f32_e32 v[46:47], v53
	;; [unrolled: 1-line block ×4, first 2 shown]
	s_waitcnt vmcnt(15)
	v_fma_f64 v[29:30], v[100:101], v[56:57], v[29:30]
	v_fma_f64 v[40:41], v[48:49], v[56:57], v[40:41]
	;; [unrolled: 1-line block ×4, first 2 shown]
	s_waitcnt vmcnt(13)
	v_cvt_f64_f32_e32 v[50:51], v64
	v_cvt_f64_f32_e32 v[56:57], v65
	;; [unrolled: 1-line block ×4, first 2 shown]
	v_fma_f64 v[29:30], v[44:45], v[58:59], v[29:30]
	v_fma_f64 v[40:41], v[46:47], v[58:59], v[40:41]
	s_waitcnt vmcnt(12)
	v_cvt_f64_f32_e32 v[46:47], v68
	v_fma_f64 v[44:45], v[52:53], v[58:59], v[48:49]
	v_cvt_f64_f32_e32 v[48:49], v69
	v_fma_f64 v[42:43], v[54:55], v[58:59], v[42:43]
	v_cvt_f64_f32_e32 v[52:53], v70
	v_cvt_f64_f32_e32 v[54:55], v71
	s_waitcnt vmcnt(11)
	v_cvt_f64_f32_e32 v[58:59], v74
	v_fma_f64 v[29:30], v[50:51], v[60:61], v[29:30]
	v_fma_f64 v[40:41], v[56:57], v[60:61], v[40:41]
	v_cvt_f64_f32_e32 v[50:51], v72
	v_fma_f64 v[44:45], v[64:65], v[60:61], v[44:45]
	v_cvt_f64_f32_e32 v[56:57], v73
	;; [unrolled: 2-line block ×3, first 2 shown]
	v_fma_f64 v[29:30], v[46:47], v[62:63], v[29:30]
	v_fma_f64 v[40:41], v[48:49], v[62:63], v[40:41]
	s_waitcnt vmcnt(10)
	v_cvt_f64_f32_e32 v[46:47], v76
	v_fma_f64 v[44:45], v[52:53], v[62:63], v[44:45]
	v_cvt_f64_f32_e32 v[48:49], v77
	v_fma_f64 v[42:43], v[54:55], v[62:63], v[42:43]
	v_cvt_f64_f32_e32 v[52:53], v78
	v_cvt_f64_f32_e32 v[54:55], v79
	s_waitcnt vmcnt(8)
	v_fma_f64 v[29:30], v[50:51], v[84:85], v[29:30]
	v_fma_f64 v[40:41], v[56:57], v[84:85], v[40:41]
	v_cvt_f64_f32_e32 v[50:51], v80
	v_fma_f64 v[44:45], v[58:59], v[84:85], v[44:45]
	v_cvt_f64_f32_e32 v[56:57], v81
	;; [unrolled: 2-line block ×3, first 2 shown]
	v_cvt_f64_f32_e32 v[60:61], v83
	v_fma_f64 v[29:30], v[46:47], v[86:87], v[29:30]
	v_fma_f64 v[40:41], v[48:49], v[86:87], v[40:41]
	s_waitcnt vmcnt(7)
	v_cvt_f64_f32_e32 v[46:47], v88
	v_fma_f64 v[44:45], v[52:53], v[86:87], v[44:45]
	v_cvt_f64_f32_e32 v[48:49], v89
	v_fma_f64 v[42:43], v[54:55], v[86:87], v[42:43]
	v_cvt_f64_f32_e32 v[52:53], v90
	v_cvt_f64_f32_e32 v[54:55], v91
	s_waitcnt vmcnt(6)
	v_fma_f64 v[29:30], v[50:51], v[21:22], v[29:30]
	v_fma_f64 v[40:41], v[56:57], v[21:22], v[40:41]
	s_waitcnt vmcnt(5)
	v_cvt_f64_f32_e32 v[50:51], v27
	v_fma_f64 v[44:45], v[58:59], v[21:22], v[44:45]
	v_cvt_f64_f32_e32 v[27:28], v28
	v_fma_f64 v[21:22], v[60:61], v[21:22], v[42:43]
	v_cvt_f64_f32_e32 v[42:43], v25
	v_cvt_f64_f32_e32 v[25:26], v26
	v_fma_f64 v[29:30], v[46:47], v[23:24], v[29:30]
	v_fma_f64 v[40:41], v[48:49], v[23:24], v[40:41]
	;; [unrolled: 1-line block ×4, first 2 shown]
	s_waitcnt vmcnt(4)
	v_cvt_f64_f32_e32 v[23:24], v15
	v_cvt_f64_f32_e32 v[15:16], v16
	v_cvt_f64_f32_e32 v[46:47], v17
	v_cvt_f64_f32_e32 v[17:18], v18
	s_waitcnt vmcnt(3)
	v_fma_f64 v[29:30], v[42:43], v[11:12], v[29:30]
	v_fma_f64 v[25:26], v[25:26], v[11:12], v[40:41]
	;; [unrolled: 1-line block ×4, first 2 shown]
	s_waitcnt vmcnt(2)
	v_cvt_f64_f32_e32 v[21:22], v32
	v_cvt_f64_f32_e32 v[27:28], v33
	;; [unrolled: 1-line block ×4, first 2 shown]
	v_fma_f64 v[23:24], v[23:24], v[13:14], v[29:30]
	v_fma_f64 v[15:16], v[15:16], v[13:14], v[25:26]
	;; [unrolled: 1-line block ×4, first 2 shown]
	s_waitcnt vmcnt(1)
	v_cvt_f64_f32_e32 v[13:14], v92
	v_cvt_f64_f32_e32 v[29:30], v93
	;; [unrolled: 1-line block ×4, first 2 shown]
	s_waitcnt vmcnt(0)
	v_fma_f64 v[17:18], v[21:22], v[36:37], v[23:24]
	v_fma_f64 v[15:16], v[27:28], v[36:37], v[15:16]
	v_fma_f64 v[21:22], v[32:33], v[36:37], v[25:26]
	v_fma_f64 v[11:12], v[34:35], v[36:37], v[11:12]
	v_fma_f64 v[17:18], v[13:14], v[38:39], v[17:18]
	v_fma_f64 v[15:16], v[29:30], v[38:39], v[15:16]
	v_fma_f64 v[13:14], v[40:41], v[38:39], v[21:22]
	v_fma_f64 v[11:12], v[42:43], v[38:39], v[11:12]
	s_andn2_b32 exec_lo, exec_lo, s8
	s_cbranch_execnz .LBB158_33
; %bb.34:
	s_or_b32 exec_lo, exec_lo, s8
.LBB158_35:
	s_or_b32 exec_lo, exec_lo, s3
.LBB158_36:
	s_or_b32 exec_lo, exec_lo, s1
.LBB158_37:
	v_mbcnt_lo_u32_b32 v23, -1, 0
	v_xor_b32_e32 v0, 16, v23
	v_cmp_gt_i32_e32 vcc_lo, 32, v0
	v_cndmask_b32_e32 v0, v23, v0, vcc_lo
	v_lshlrev_b32_e32 v20, 2, v0
	ds_bpermute_b32 v0, v20, v17
	ds_bpermute_b32 v1, v20, v18
	;; [unrolled: 1-line block ×8, first 2 shown]
	s_waitcnt lgkmcnt(6)
	v_add_f64 v[0:1], v[17:18], v[0:1]
	s_waitcnt lgkmcnt(4)
	v_add_f64 v[4:5], v[15:16], v[4:5]
	;; [unrolled: 2-line block ×3, first 2 shown]
	v_xor_b32_e32 v13, 8, v23
	s_waitcnt lgkmcnt(0)
	v_add_f64 v[11:12], v[11:12], v[19:20]
	v_cmp_gt_i32_e32 vcc_lo, 32, v13
	v_cndmask_b32_e32 v13, v23, v13, vcc_lo
	v_lshlrev_b32_e32 v20, 2, v13
	ds_bpermute_b32 v13, v20, v0
	ds_bpermute_b32 v14, v20, v1
	;; [unrolled: 1-line block ×8, first 2 shown]
	s_waitcnt lgkmcnt(6)
	v_add_f64 v[0:1], v[0:1], v[13:14]
	v_xor_b32_e32 v13, 4, v23
	s_waitcnt lgkmcnt(4)
	v_add_f64 v[4:5], v[4:5], v[15:16]
	s_waitcnt lgkmcnt(2)
	v_add_f64 v[6:7], v[6:7], v[17:18]
	;; [unrolled: 2-line block ×3, first 2 shown]
	v_cmp_gt_i32_e32 vcc_lo, 32, v13
	v_cndmask_b32_e32 v13, v23, v13, vcc_lo
	v_lshlrev_b32_e32 v20, 2, v13
	ds_bpermute_b32 v13, v20, v0
	ds_bpermute_b32 v14, v20, v1
	;; [unrolled: 1-line block ×8, first 2 shown]
	s_waitcnt lgkmcnt(6)
	v_add_f64 v[0:1], v[0:1], v[13:14]
	s_waitcnt lgkmcnt(4)
	v_add_f64 v[4:5], v[4:5], v[15:16]
	;; [unrolled: 2-line block ×3, first 2 shown]
	v_xor_b32_e32 v6, 2, v23
	s_waitcnt lgkmcnt(0)
	v_add_f64 v[15:16], v[11:12], v[19:20]
	v_cmp_gt_i32_e32 vcc_lo, 32, v6
	v_cndmask_b32_e32 v6, v23, v6, vcc_lo
	v_lshlrev_b32_e32 v11, 2, v6
	ds_bpermute_b32 v6, v11, v0
	ds_bpermute_b32 v7, v11, v1
	;; [unrolled: 1-line block ×8, first 2 shown]
	s_waitcnt lgkmcnt(6)
	v_add_f64 v[11:12], v[0:1], v[6:7]
	s_waitcnt lgkmcnt(4)
	v_add_f64 v[6:7], v[4:5], v[17:18]
	;; [unrolled: 2-line block ×3, first 2 shown]
	v_xor_b32_e32 v13, 1, v23
	s_waitcnt lgkmcnt(0)
	v_add_f64 v[4:5], v[15:16], v[21:22]
	v_cmp_gt_i32_e32 vcc_lo, 32, v13
	v_cndmask_b32_e32 v13, v23, v13, vcc_lo
	v_cmp_eq_u32_e32 vcc_lo, 31, v31
	v_lshlrev_b32_e32 v14, 2, v13
	ds_bpermute_b32 v19, v14, v11
	ds_bpermute_b32 v20, v14, v12
	;; [unrolled: 1-line block ×8, first 2 shown]
	s_and_b32 exec_lo, exec_lo, vcc_lo
	s_cbranch_execz .LBB158_10
; %bb.38:
	s_waitcnt lgkmcnt(6)
	v_add_f64 v[11:12], v[11:12], v[19:20]
	s_waitcnt lgkmcnt(4)
	v_add_f64 v[6:7], v[6:7], v[17:18]
	;; [unrolled: 2-line block ×4, first 2 shown]
	s_load_dwordx2 s[0:1], s[4:5], 0x50
	v_lshlrev_b32_e32 v10, 2, v10
	s_mov_b32 s2, exec_lo
	v_mul_f64 v[4:5], v[2:3], v[11:12]
	v_mul_f64 v[6:7], v[2:3], v[6:7]
	;; [unrolled: 1-line block ×4, first 2 shown]
	v_cmpx_eq_f64_e32 0, v[8:9]
	s_xor_b32 s2, exec_lo, s2
	s_cbranch_execz .LBB158_40
; %bb.39:
	v_ashrrev_i32_e32 v11, 31, v10
	v_lshlrev_b64 v[8:9], 3, v[10:11]
                                        ; implicit-def: $vgpr10
	s_waitcnt lgkmcnt(0)
	v_add_co_u32 v8, vcc_lo, s0, v8
	v_add_co_ci_u32_e64 v9, null, s1, v9, vcc_lo
	global_store_dwordx4 v[8:9], v[4:7], off
	global_store_dwordx4 v[8:9], v[0:3], off offset:16
                                        ; implicit-def: $vgpr8_vgpr9
                                        ; implicit-def: $vgpr4_vgpr5
                                        ; implicit-def: $vgpr0_vgpr1
.LBB158_40:
	s_andn2_saveexec_b32 s2, s2
	s_cbranch_execz .LBB158_10
; %bb.41:
	v_ashrrev_i32_e32 v11, 31, v10
	v_lshlrev_b64 v[10:11], 3, v[10:11]
	s_waitcnt lgkmcnt(0)
	v_add_co_u32 v18, vcc_lo, s0, v10
	v_add_co_ci_u32_e64 v19, null, s1, v11, vcc_lo
	s_clause 0x1
	global_load_dwordx4 v[10:13], v[18:19], off
	global_load_dwordx4 v[14:17], v[18:19], off offset:16
	s_waitcnt vmcnt(1)
	v_fma_f64 v[4:5], v[8:9], v[10:11], v[4:5]
	v_fma_f64 v[6:7], v[8:9], v[12:13], v[6:7]
	s_waitcnt vmcnt(0)
	v_fma_f64 v[0:1], v[8:9], v[14:15], v[0:1]
	v_fma_f64 v[2:3], v[8:9], v[16:17], v[2:3]
	global_store_dwordx4 v[18:19], v[4:7], off
	global_store_dwordx4 v[18:19], v[0:3], off offset:16
	s_endpgm
	.section	.rodata,"a",@progbits
	.p2align	6, 0x0
	.amdhsa_kernel _ZN9rocsparseL18bsrxmvn_4x4_kernelILj128ELj32EdlifddEEvT3_20rocsparse_direction_NS_24const_host_device_scalarIT1_EES1_PKS1_PKT2_SA_S7_PKT4_PKT5_S5_PT6_21rocsparse_index_base_b
		.amdhsa_group_segment_fixed_size 0
		.amdhsa_private_segment_fixed_size 0
		.amdhsa_kernarg_size 96
		.amdhsa_user_sgpr_count 6
		.amdhsa_user_sgpr_private_segment_buffer 1
		.amdhsa_user_sgpr_dispatch_ptr 0
		.amdhsa_user_sgpr_queue_ptr 0
		.amdhsa_user_sgpr_kernarg_segment_ptr 1
		.amdhsa_user_sgpr_dispatch_id 0
		.amdhsa_user_sgpr_flat_scratch_init 0
		.amdhsa_user_sgpr_private_segment_size 0
		.amdhsa_wavefront_size32 1
		.amdhsa_uses_dynamic_stack 0
		.amdhsa_system_sgpr_private_segment_wavefront_offset 0
		.amdhsa_system_sgpr_workgroup_id_x 1
		.amdhsa_system_sgpr_workgroup_id_y 0
		.amdhsa_system_sgpr_workgroup_id_z 0
		.amdhsa_system_sgpr_workgroup_info 0
		.amdhsa_system_vgpr_workitem_id 0
		.amdhsa_next_free_vgpr 132
		.amdhsa_next_free_sgpr 16
		.amdhsa_reserve_vcc 1
		.amdhsa_reserve_flat_scratch 0
		.amdhsa_float_round_mode_32 0
		.amdhsa_float_round_mode_16_64 0
		.amdhsa_float_denorm_mode_32 3
		.amdhsa_float_denorm_mode_16_64 3
		.amdhsa_dx10_clamp 1
		.amdhsa_ieee_mode 1
		.amdhsa_fp16_overflow 0
		.amdhsa_workgroup_processor_mode 1
		.amdhsa_memory_ordered 1
		.amdhsa_forward_progress 1
		.amdhsa_shared_vgpr_count 0
		.amdhsa_exception_fp_ieee_invalid_op 0
		.amdhsa_exception_fp_denorm_src 0
		.amdhsa_exception_fp_ieee_div_zero 0
		.amdhsa_exception_fp_ieee_overflow 0
		.amdhsa_exception_fp_ieee_underflow 0
		.amdhsa_exception_fp_ieee_inexact 0
		.amdhsa_exception_int_div_zero 0
	.end_amdhsa_kernel
	.section	.text._ZN9rocsparseL18bsrxmvn_4x4_kernelILj128ELj32EdlifddEEvT3_20rocsparse_direction_NS_24const_host_device_scalarIT1_EES1_PKS1_PKT2_SA_S7_PKT4_PKT5_S5_PT6_21rocsparse_index_base_b,"axG",@progbits,_ZN9rocsparseL18bsrxmvn_4x4_kernelILj128ELj32EdlifddEEvT3_20rocsparse_direction_NS_24const_host_device_scalarIT1_EES1_PKS1_PKT2_SA_S7_PKT4_PKT5_S5_PT6_21rocsparse_index_base_b,comdat
.Lfunc_end158:
	.size	_ZN9rocsparseL18bsrxmvn_4x4_kernelILj128ELj32EdlifddEEvT3_20rocsparse_direction_NS_24const_host_device_scalarIT1_EES1_PKS1_PKT2_SA_S7_PKT4_PKT5_S5_PT6_21rocsparse_index_base_b, .Lfunc_end158-_ZN9rocsparseL18bsrxmvn_4x4_kernelILj128ELj32EdlifddEEvT3_20rocsparse_direction_NS_24const_host_device_scalarIT1_EES1_PKS1_PKT2_SA_S7_PKT4_PKT5_S5_PT6_21rocsparse_index_base_b
                                        ; -- End function
	.set _ZN9rocsparseL18bsrxmvn_4x4_kernelILj128ELj32EdlifddEEvT3_20rocsparse_direction_NS_24const_host_device_scalarIT1_EES1_PKS1_PKT2_SA_S7_PKT4_PKT5_S5_PT6_21rocsparse_index_base_b.num_vgpr, 132
	.set _ZN9rocsparseL18bsrxmvn_4x4_kernelILj128ELj32EdlifddEEvT3_20rocsparse_direction_NS_24const_host_device_scalarIT1_EES1_PKS1_PKT2_SA_S7_PKT4_PKT5_S5_PT6_21rocsparse_index_base_b.num_agpr, 0
	.set _ZN9rocsparseL18bsrxmvn_4x4_kernelILj128ELj32EdlifddEEvT3_20rocsparse_direction_NS_24const_host_device_scalarIT1_EES1_PKS1_PKT2_SA_S7_PKT4_PKT5_S5_PT6_21rocsparse_index_base_b.numbered_sgpr, 16
	.set _ZN9rocsparseL18bsrxmvn_4x4_kernelILj128ELj32EdlifddEEvT3_20rocsparse_direction_NS_24const_host_device_scalarIT1_EES1_PKS1_PKT2_SA_S7_PKT4_PKT5_S5_PT6_21rocsparse_index_base_b.num_named_barrier, 0
	.set _ZN9rocsparseL18bsrxmvn_4x4_kernelILj128ELj32EdlifddEEvT3_20rocsparse_direction_NS_24const_host_device_scalarIT1_EES1_PKS1_PKT2_SA_S7_PKT4_PKT5_S5_PT6_21rocsparse_index_base_b.private_seg_size, 0
	.set _ZN9rocsparseL18bsrxmvn_4x4_kernelILj128ELj32EdlifddEEvT3_20rocsparse_direction_NS_24const_host_device_scalarIT1_EES1_PKS1_PKT2_SA_S7_PKT4_PKT5_S5_PT6_21rocsparse_index_base_b.uses_vcc, 1
	.set _ZN9rocsparseL18bsrxmvn_4x4_kernelILj128ELj32EdlifddEEvT3_20rocsparse_direction_NS_24const_host_device_scalarIT1_EES1_PKS1_PKT2_SA_S7_PKT4_PKT5_S5_PT6_21rocsparse_index_base_b.uses_flat_scratch, 0
	.set _ZN9rocsparseL18bsrxmvn_4x4_kernelILj128ELj32EdlifddEEvT3_20rocsparse_direction_NS_24const_host_device_scalarIT1_EES1_PKS1_PKT2_SA_S7_PKT4_PKT5_S5_PT6_21rocsparse_index_base_b.has_dyn_sized_stack, 0
	.set _ZN9rocsparseL18bsrxmvn_4x4_kernelILj128ELj32EdlifddEEvT3_20rocsparse_direction_NS_24const_host_device_scalarIT1_EES1_PKS1_PKT2_SA_S7_PKT4_PKT5_S5_PT6_21rocsparse_index_base_b.has_recursion, 0
	.set _ZN9rocsparseL18bsrxmvn_4x4_kernelILj128ELj32EdlifddEEvT3_20rocsparse_direction_NS_24const_host_device_scalarIT1_EES1_PKS1_PKT2_SA_S7_PKT4_PKT5_S5_PT6_21rocsparse_index_base_b.has_indirect_call, 0
	.section	.AMDGPU.csdata,"",@progbits
; Kernel info:
; codeLenInByte = 5856
; TotalNumSgprs: 18
; NumVgprs: 132
; ScratchSize: 0
; MemoryBound: 0
; FloatMode: 240
; IeeeMode: 1
; LDSByteSize: 0 bytes/workgroup (compile time only)
; SGPRBlocks: 0
; VGPRBlocks: 16
; NumSGPRsForWavesPerEU: 18
; NumVGPRsForWavesPerEU: 132
; Occupancy: 7
; WaveLimiterHint : 1
; COMPUTE_PGM_RSRC2:SCRATCH_EN: 0
; COMPUTE_PGM_RSRC2:USER_SGPR: 6
; COMPUTE_PGM_RSRC2:TRAP_HANDLER: 0
; COMPUTE_PGM_RSRC2:TGID_X_EN: 1
; COMPUTE_PGM_RSRC2:TGID_Y_EN: 0
; COMPUTE_PGM_RSRC2:TGID_Z_EN: 0
; COMPUTE_PGM_RSRC2:TIDIG_COMP_CNT: 0
	.section	.text._ZN9rocsparseL18bsrxmvn_4x4_kernelILj128ELj64EdlifddEEvT3_20rocsparse_direction_NS_24const_host_device_scalarIT1_EES1_PKS1_PKT2_SA_S7_PKT4_PKT5_S5_PT6_21rocsparse_index_base_b,"axG",@progbits,_ZN9rocsparseL18bsrxmvn_4x4_kernelILj128ELj64EdlifddEEvT3_20rocsparse_direction_NS_24const_host_device_scalarIT1_EES1_PKS1_PKT2_SA_S7_PKT4_PKT5_S5_PT6_21rocsparse_index_base_b,comdat
	.globl	_ZN9rocsparseL18bsrxmvn_4x4_kernelILj128ELj64EdlifddEEvT3_20rocsparse_direction_NS_24const_host_device_scalarIT1_EES1_PKS1_PKT2_SA_S7_PKT4_PKT5_S5_PT6_21rocsparse_index_base_b ; -- Begin function _ZN9rocsparseL18bsrxmvn_4x4_kernelILj128ELj64EdlifddEEvT3_20rocsparse_direction_NS_24const_host_device_scalarIT1_EES1_PKS1_PKT2_SA_S7_PKT4_PKT5_S5_PT6_21rocsparse_index_base_b
	.p2align	8
	.type	_ZN9rocsparseL18bsrxmvn_4x4_kernelILj128ELj64EdlifddEEvT3_20rocsparse_direction_NS_24const_host_device_scalarIT1_EES1_PKS1_PKT2_SA_S7_PKT4_PKT5_S5_PT6_21rocsparse_index_base_b,@function
_ZN9rocsparseL18bsrxmvn_4x4_kernelILj128ELj64EdlifddEEvT3_20rocsparse_direction_NS_24const_host_device_scalarIT1_EES1_PKS1_PKT2_SA_S7_PKT4_PKT5_S5_PT6_21rocsparse_index_base_b: ; @_ZN9rocsparseL18bsrxmvn_4x4_kernelILj128ELj64EdlifddEEvT3_20rocsparse_direction_NS_24const_host_device_scalarIT1_EES1_PKS1_PKT2_SA_S7_PKT4_PKT5_S5_PT6_21rocsparse_index_base_b
; %bb.0:
	s_clause 0x2
	s_load_dwordx2 s[2:3], s[4:5], 0x58
	s_load_dwordx2 s[8:9], s[4:5], 0x8
	;; [unrolled: 1-line block ×3, first 2 shown]
	s_waitcnt lgkmcnt(0)
	s_bitcmp1_b32 s3, 0
	v_mov_b32_e32 v2, s8
	v_mov_b32_e32 v3, s9
	s_cselect_b32 s3, -1, 0
	s_and_b32 vcc_lo, exec_lo, s3
	s_xor_b32 s3, s3, -1
	s_cbranch_vccnz .LBB159_2
; %bb.1:
	v_mov_b32_e32 v1, s8
	v_mov_b32_e32 v2, s9
	flat_load_dwordx2 v[2:3], v[1:2]
.LBB159_2:
	v_mov_b32_e32 v9, s1
	v_mov_b32_e32 v8, s0
	s_andn2_b32 vcc_lo, exec_lo, s3
	s_cbranch_vccnz .LBB159_4
; %bb.3:
	v_mov_b32_e32 v5, s1
	v_mov_b32_e32 v4, s0
	flat_load_dwordx2 v[8:9], v[4:5]
.LBB159_4:
	s_waitcnt vmcnt(0) lgkmcnt(0)
	v_cmp_neq_f64_e32 vcc_lo, 0, v[2:3]
	v_cmp_neq_f64_e64 s0, 1.0, v[8:9]
	s_or_b32 s0, vcc_lo, s0
	s_and_saveexec_b32 s1, s0
	s_cbranch_execz .LBB159_10
; %bb.5:
	s_clause 0x1
	s_load_dwordx2 s[8:9], s[4:5], 0x18
	s_load_dwordx2 s[0:1], s[4:5], 0x0
	v_lshrrev_b32_e32 v1, 6, v0
	v_lshl_or_b32 v10, s6, 1, v1
	s_waitcnt lgkmcnt(0)
	s_cmp_lg_u64 s[8:9], 0
	s_cbranch_scc0 .LBB159_11
; %bb.6:
	s_load_dword s3, s[4:5], 0x10
	s_mov_b32 s6, 0
                                        ; implicit-def: $vgpr1
	s_waitcnt lgkmcnt(0)
	v_cmp_gt_i32_e32 vcc_lo, s3, v10
	s_mov_b32 s3, 0
	s_and_saveexec_b32 s7, vcc_lo
	s_xor_b32 s7, exec_lo, s7
	s_cbranch_execz .LBB159_8
; %bb.7:
	v_ashrrev_i32_e32 v11, 31, v10
	s_mov_b32 s3, exec_lo
	v_lshlrev_b64 v[4:5], 2, v[10:11]
	v_add_co_u32 v4, vcc_lo, s8, v4
	v_add_co_ci_u32_e64 v5, null, s9, v5, vcc_lo
	global_load_dword v1, v[4:5], off
	s_waitcnt vmcnt(0)
	v_subrev_nc_u32_e32 v1, s2, v1
.LBB159_8:
	s_or_b32 exec_lo, exec_lo, s7
	s_and_b32 vcc_lo, exec_lo, s6
	s_cbranch_vccz .LBB159_12
.LBB159_9:
	v_cmp_gt_i32_e32 vcc_lo, s0, v10
	s_andn2_b32 s0, s3, exec_lo
	s_and_b32 s3, vcc_lo, exec_lo
	s_or_b32 s3, s0, s3
	s_and_b32 exec_lo, exec_lo, s3
	s_cbranch_execnz .LBB159_13
.LBB159_10:
	s_endpgm
.LBB159_11:
	s_mov_b32 s3, 0
                                        ; implicit-def: $vgpr1
	s_cbranch_execnz .LBB159_9
.LBB159_12:
	v_mov_b32_e32 v10, v1
	s_and_b32 exec_lo, exec_lo, s3
	s_cbranch_execz .LBB159_10
.LBB159_13:
	s_load_dwordx8 s[8:15], s[4:5], 0x20
	v_ashrrev_i32_e32 v11, 31, v10
	v_and_b32_e32 v31, 63, v0
	s_load_dwordx2 s[6:7], s[4:5], 0x40
	v_lshlrev_b64 v[4:5], 3, v[10:11]
	s_waitcnt lgkmcnt(0)
	v_add_co_u32 v6, vcc_lo, s8, v4
	v_add_co_ci_u32_e64 v7, null, s9, v5, vcc_lo
	v_add_co_u32 v1, vcc_lo, s10, v4
	v_add_co_ci_u32_e64 v4, null, s11, v5, vcc_lo
	v_add_co_u32 v11, vcc_lo, v6, 8
	global_load_dwordx2 v[19:20], v[6:7], off
	v_add_co_ci_u32_e64 v5, null, 0, v7, vcc_lo
	s_cmp_eq_u64 s[10:11], 0
	s_cselect_b32 vcc_lo, -1, 0
	s_cmp_eq_u32 s1, 1
	v_cndmask_b32_e32 v5, v4, v5, vcc_lo
	v_cndmask_b32_e32 v4, v1, v11, vcc_lo
	global_load_dwordx2 v[4:5], v[4:5], off
	s_waitcnt vmcnt(1)
	v_sub_co_u32 v0, vcc_lo, v19, s2
	v_subrev_co_ci_u32_e64 v1, null, 0, v20, vcc_lo
	v_add_co_u32 v0, vcc_lo, v0, v31
	v_add_co_ci_u32_e64 v1, null, 0, v1, vcc_lo
	v_lshlrev_b64 v[6:7], 6, v[0:1]
	s_waitcnt vmcnt(0)
	v_sub_co_u32 v4, vcc_lo, v4, s2
	v_subrev_co_ci_u32_e64 v5, null, 0, v5, vcc_lo
	v_add_co_u32 v6, vcc_lo, s14, v6
	v_cmp_lt_i64_e64 s0, v[0:1], v[4:5]
	v_add_co_ci_u32_e64 v7, null, s15, v7, vcc_lo
	s_cbranch_scc1 .LBB159_25
; %bb.14:
	v_mov_b32_e32 v11, 0
	v_mov_b32_e32 v13, 0
	;; [unrolled: 1-line block ×8, first 2 shown]
	s_and_saveexec_b32 s3, s0
	s_cbranch_execz .LBB159_24
; %bb.15:
	v_or_b32_e32 v11, 64, v31
	v_not_b32_e32 v14, v19
	v_not_b32_e32 v13, v20
	v_mov_b32_e32 v22, 0
	v_mov_b32_e32 v17, 0
	v_sub_co_u32 v11, s1, v11, s2
	v_sub_co_ci_u32_e64 v12, null, 0, 0, s1
	v_sub_co_u32 v15, s1, s2, v31
	v_add_co_u32 v11, vcc_lo, v11, v19
	v_add_co_ci_u32_e64 v12, null, v12, v20, vcc_lo
	v_sub_co_ci_u32_e64 v16, null, 0, 0, s1
	v_mov_b32_e32 v24, v1
	v_cmp_gt_i64_e32 vcc_lo, v[11:12], v[4:5]
	v_mov_b32_e32 v18, 0
	v_mov_b32_e32 v23, v0
	v_cndmask_b32_e32 v12, v5, v12, vcc_lo
	v_cndmask_b32_e32 v11, v4, v11, vcc_lo
	v_add_co_u32 v14, vcc_lo, v15, v14
	v_add_co_ci_u32_e64 v13, null, v16, v13, vcc_lo
	v_mov_b32_e32 v15, 0
	v_add_co_u32 v25, vcc_lo, v14, v11
	v_add_co_ci_u32_e64 v26, null, v13, v12, vcc_lo
	v_mov_b32_e32 v13, 0
	v_and_b32_e32 v21, 0xc0, v25
	v_mov_b32_e32 v11, 0
	v_mov_b32_e32 v16, 0
	;; [unrolled: 1-line block ×4, first 2 shown]
	v_cmp_ne_u64_e32 vcc_lo, 0xc0, v[21:22]
	v_mov_b32_e32 v22, v7
	v_mov_b32_e32 v21, v6
	s_and_saveexec_b32 s8, vcc_lo
	s_cbranch_execz .LBB159_19
; %bb.16:
	v_lshrrev_b32_e32 v11, 6, v25
	v_lshlrev_b64 v[17:18], 2, v[0:1]
	v_mov_b32_e32 v22, v7
	v_mov_b32_e32 v13, 0
	;; [unrolled: 1-line block ×3, first 2 shown]
	v_add_nc_u32_e32 v23, 1, v11
	v_mov_b32_e32 v11, 0
	v_add_co_u32 v27, vcc_lo, s12, v17
	v_add_co_ci_u32_e64 v28, null, s13, v18, vcc_lo
	v_and_b32_e32 v23, 3, v23
	v_mov_b32_e32 v17, 0
	v_mov_b32_e32 v12, 0
	;; [unrolled: 1-line block ×4, first 2 shown]
	v_sub_co_u32 v29, s1, 0, v23
	v_mov_b32_e32 v24, v1
	v_mov_b32_e32 v16, 0
	v_sub_co_ci_u32_e64 v30, null, 0, 0, s1
	v_mov_b32_e32 v18, 0
	v_mov_b32_e32 v23, v0
	s_mov_b32 s9, 0
.LBB159_17:                             ; =>This Inner Loop Header: Depth=1
	global_load_dword v48, v[27:28], off
	s_clause 0x3
	global_load_dwordx4 v[32:35], v[21:22], off offset:48
	global_load_dwordx4 v[36:39], v[21:22], off offset:32
	;; [unrolled: 1-line block ×3, first 2 shown]
	global_load_dwordx4 v[44:47], v[21:22], off
	v_add_co_u32 v27, s1, 0x100, v27
	v_add_co_ci_u32_e64 v28, null, 0, v28, s1
	s_waitcnt vmcnt(4)
	v_subrev_nc_u32_e32 v48, s2, v48
	s_waitcnt vmcnt(3)
	v_cvt_f64_f32_e32 v[62:63], v32
	s_waitcnt vmcnt(2)
	v_cvt_f64_f32_e32 v[60:61], v36
	;; [unrolled: 2-line block ×4, first 2 shown]
	v_lshlrev_b32_e32 v48, 2, v48
	v_cvt_f64_f32_e32 v[44:45], v45
	v_cvt_f64_f32_e32 v[40:41], v41
	;; [unrolled: 1-line block ×4, first 2 shown]
	v_ashrrev_i32_e32 v49, 31, v48
	v_lshlrev_b64 v[48:49], 3, v[48:49]
	v_add_co_u32 v52, vcc_lo, s6, v48
	v_add_co_ci_u32_e64 v53, null, s7, v49, vcc_lo
	v_add_co_u32 v21, vcc_lo, 0x1000, v21
	v_add_co_ci_u32_e64 v22, null, 0, v22, vcc_lo
	s_clause 0x1
	global_load_dwordx4 v[48:51], v[52:53], off
	global_load_dwordx4 v[52:55], v[52:53], off offset:16
	v_add_co_u32 v29, vcc_lo, v29, 1
	v_add_co_ci_u32_e64 v30, null, 0, v30, vcc_lo
	v_add_co_u32 v23, vcc_lo, v23, 64
	v_add_co_ci_u32_e64 v24, null, 0, v24, vcc_lo
	v_cmp_eq_u64_e32 vcc_lo, 0, v[29:30]
	s_or_b32 s9, vcc_lo, s9
	s_waitcnt vmcnt(1)
	v_fma_f64 v[17:18], v[56:57], v[48:49], v[17:18]
	v_fma_f64 v[15:16], v[58:59], v[48:49], v[15:16]
	;; [unrolled: 1-line block ×4, first 2 shown]
	v_cvt_f64_f32_e32 v[48:49], v46
	v_cvt_f64_f32_e32 v[56:57], v42
	;; [unrolled: 1-line block ×6, first 2 shown]
	v_fma_f64 v[17:18], v[44:45], v[50:51], v[17:18]
	v_fma_f64 v[15:16], v[40:41], v[50:51], v[15:16]
	;; [unrolled: 1-line block ×4, first 2 shown]
	v_cvt_f64_f32_e32 v[32:33], v47
	v_cvt_f64_f32_e32 v[36:37], v43
	s_waitcnt vmcnt(0)
	v_fma_f64 v[17:18], v[48:49], v[52:53], v[17:18]
	v_fma_f64 v[15:16], v[56:57], v[52:53], v[15:16]
	;; [unrolled: 1-line block ×8, first 2 shown]
	s_andn2_b32 exec_lo, exec_lo, s9
	s_cbranch_execnz .LBB159_17
; %bb.18:
	s_or_b32 exec_lo, exec_lo, s9
.LBB159_19:
	s_or_b32 exec_lo, exec_lo, s8
	s_mov_b32 s8, exec_lo
	v_cmpx_lt_u64_e32 0xbf, v[25:26]
	s_cbranch_execz .LBB159_23
; %bb.20:
	v_lshlrev_b64 v[25:26], 2, v[23:24]
	s_mov_b32 s9, 0
	v_add_co_u32 v25, vcc_lo, s12, v25
	v_add_co_ci_u32_e64 v26, null, s13, v26, vcc_lo
	v_add_co_u32 v25, vcc_lo, 0x200, v25
	v_add_co_ci_u32_e64 v26, null, 0, v26, vcc_lo
.LBB159_21:                             ; =>This Inner Loop Header: Depth=1
	s_clause 0x3
	global_load_dword v44, v[25:26], off offset:-512
	global_load_dword v68, v[25:26], off offset:-256
	global_load_dword v92, v[25:26], off
	global_load_dword v116, v[25:26], off offset:256
	s_clause 0x3
	global_load_dwordx4 v[27:30], v[21:22], off
	global_load_dwordx4 v[32:35], v[21:22], off offset:16
	global_load_dwordx4 v[36:39], v[21:22], off offset:48
	;; [unrolled: 1-line block ×3, first 2 shown]
	s_waitcnt vmcnt(7)
	v_subrev_nc_u32_e32 v44, s2, v44
	s_waitcnt vmcnt(6)
	v_subrev_nc_u32_e32 v68, s2, v68
	;; [unrolled: 2-line block ×4, first 2 shown]
	s_waitcnt vmcnt(3)
	v_cvt_f64_f32_e32 v[124:125], v27
	v_lshlrev_b32_e32 v44, 2, v44
	v_lshlrev_b32_e32 v68, 2, v68
	;; [unrolled: 1-line block ×4, first 2 shown]
	s_waitcnt vmcnt(2)
	v_cvt_f64_f32_e32 v[126:127], v32
	v_ashrrev_i32_e32 v45, 31, v44
	v_ashrrev_i32_e32 v69, 31, v68
	;; [unrolled: 1-line block ×4, first 2 shown]
	s_waitcnt vmcnt(0)
	v_cvt_f64_f32_e32 v[128:129], v40
	v_lshlrev_b64 v[44:45], 3, v[44:45]
	v_lshlrev_b64 v[68:69], 3, v[68:69]
	;; [unrolled: 1-line block ×4, first 2 shown]
	v_cvt_f64_f32_e32 v[130:131], v36
	v_cvt_f64_f32_e32 v[27:28], v28
	v_add_co_u32 v48, vcc_lo, s6, v44
	v_add_co_ci_u32_e64 v49, null, s7, v45, vcc_lo
	v_add_co_u32 v64, vcc_lo, 0x1000, v21
	v_add_co_ci_u32_e64 v65, null, 0, v22, vcc_lo
	s_clause 0x1
	global_load_dwordx4 v[44:47], v[48:49], off
	global_load_dwordx4 v[48:51], v[48:49], off offset:16
	s_clause 0x3
	global_load_dwordx4 v[52:55], v[64:65], off offset:48
	global_load_dwordx4 v[56:59], v[64:65], off offset:32
	global_load_dwordx4 v[60:63], v[64:65], off
	global_load_dwordx4 v[64:67], v[64:65], off offset:16
	v_add_co_u32 v72, vcc_lo, s6, v68
	v_add_co_ci_u32_e64 v73, null, s7, v69, vcc_lo
	s_clause 0x1
	global_load_dwordx4 v[68:71], v[72:73], off
	global_load_dwordx4 v[72:75], v[72:73], off offset:16
	v_add_co_u32 v88, vcc_lo, 0x2000, v21
	v_add_co_ci_u32_e64 v89, null, 0, v22, vcc_lo
	s_clause 0x3
	global_load_dwordx4 v[76:79], v[88:89], off offset:48
	global_load_dwordx4 v[80:83], v[88:89], off offset:32
	global_load_dwordx4 v[84:87], v[88:89], off
	global_load_dwordx4 v[88:91], v[88:89], off offset:16
	v_add_co_u32 v96, vcc_lo, s6, v92
	v_add_co_ci_u32_e64 v97, null, s7, v93, vcc_lo
	s_clause 0x1
	global_load_dwordx4 v[92:95], v[96:97], off
	global_load_dwordx4 v[96:99], v[96:97], off offset:16
	v_add_co_u32 v112, vcc_lo, 0x3000, v21
	v_add_co_ci_u32_e64 v113, null, 0, v22, vcc_lo
	s_clause 0x3
	global_load_dwordx4 v[100:103], v[112:113], off
	global_load_dwordx4 v[104:107], v[112:113], off offset:16
	global_load_dwordx4 v[108:111], v[112:113], off offset:32
	;; [unrolled: 1-line block ×3, first 2 shown]
	v_add_co_u32 v120, vcc_lo, s6, v116
	v_add_co_ci_u32_e64 v121, null, s7, v117, vcc_lo
	v_cvt_f64_f32_e32 v[32:33], v33
	v_cvt_f64_f32_e32 v[40:41], v41
	;; [unrolled: 1-line block ×3, first 2 shown]
	s_clause 0x1
	global_load_dwordx4 v[116:119], v[120:121], off
	global_load_dwordx4 v[120:123], v[120:121], off offset:16
	v_add_co_u32 v23, vcc_lo, 0x100, v23
	v_add_co_ci_u32_e64 v24, null, 0, v24, vcc_lo
	v_add_co_u32 v25, vcc_lo, 0x400, v25
	v_add_co_ci_u32_e64 v26, null, 0, v26, vcc_lo
	v_cmp_ge_i64_e32 vcc_lo, v[23:24], v[4:5]
	v_add_co_u32 v21, s1, 0x4000, v21
	v_add_co_ci_u32_e64 v22, null, 0, v22, s1
	s_or_b32 s9, vcc_lo, s9
	s_waitcnt vmcnt(19)
	v_fma_f64 v[17:18], v[124:125], v[44:45], v[17:18]
	v_fma_f64 v[15:16], v[126:127], v[44:45], v[15:16]
	;; [unrolled: 1-line block ×4, first 2 shown]
	v_cvt_f64_f32_e32 v[44:45], v29
	v_cvt_f64_f32_e32 v[124:125], v34
	;; [unrolled: 1-line block ×4, first 2 shown]
	v_fma_f64 v[17:18], v[27:28], v[46:47], v[17:18]
	v_cvt_f64_f32_e32 v[27:28], v42
	v_fma_f64 v[15:16], v[32:33], v[46:47], v[15:16]
	v_cvt_f64_f32_e32 v[32:33], v38
	v_fma_f64 v[13:14], v[40:41], v[46:47], v[13:14]
	v_fma_f64 v[11:12], v[36:37], v[46:47], v[11:12]
	v_cvt_f64_f32_e32 v[36:37], v43
	v_cvt_f64_f32_e32 v[38:39], v39
	s_waitcnt vmcnt(16)
	v_cvt_f64_f32_e32 v[40:41], v56
	v_cvt_f64_f32_e32 v[42:43], v52
	v_fma_f64 v[17:18], v[44:45], v[48:49], v[17:18]
	v_fma_f64 v[15:16], v[124:125], v[48:49], v[15:16]
	v_fma_f64 v[13:14], v[27:28], v[48:49], v[13:14]
	v_fma_f64 v[11:12], v[32:33], v[48:49], v[11:12]
	s_waitcnt vmcnt(15)
	v_cvt_f64_f32_e32 v[27:28], v60
	s_waitcnt vmcnt(14)
	v_cvt_f64_f32_e32 v[32:33], v64
	v_fma_f64 v[17:18], v[29:30], v[50:51], v[17:18]
	v_cvt_f64_f32_e32 v[29:30], v61
	v_fma_f64 v[15:16], v[34:35], v[50:51], v[15:16]
	;; [unrolled: 2-line block ×3, first 2 shown]
	v_fma_f64 v[11:12], v[38:39], v[50:51], v[11:12]
	v_cvt_f64_f32_e32 v[36:37], v57
	v_cvt_f64_f32_e32 v[38:39], v53
	s_waitcnt vmcnt(13)
	v_fma_f64 v[17:18], v[27:28], v[68:69], v[17:18]
	v_cvt_f64_f32_e32 v[27:28], v62
	v_fma_f64 v[15:16], v[32:33], v[68:69], v[15:16]
	v_cvt_f64_f32_e32 v[32:33], v66
	v_fma_f64 v[13:14], v[40:41], v[68:69], v[13:14]
	v_fma_f64 v[11:12], v[42:43], v[68:69], v[11:12]
	v_cvt_f64_f32_e32 v[40:41], v58
	v_cvt_f64_f32_e32 v[42:43], v54
	v_fma_f64 v[17:18], v[29:30], v[70:71], v[17:18]
	v_cvt_f64_f32_e32 v[29:30], v63
	v_fma_f64 v[15:16], v[34:35], v[70:71], v[15:16]
	v_cvt_f64_f32_e32 v[34:35], v67
	v_fma_f64 v[13:14], v[36:37], v[70:71], v[13:14]
	v_fma_f64 v[11:12], v[38:39], v[70:71], v[11:12]
	v_cvt_f64_f32_e32 v[36:37], v59
	v_cvt_f64_f32_e32 v[38:39], v55
	s_waitcnt vmcnt(12)
	v_fma_f64 v[17:18], v[27:28], v[72:73], v[17:18]
	s_waitcnt vmcnt(9)
	v_cvt_f64_f32_e32 v[27:28], v84
	v_fma_f64 v[15:16], v[32:33], v[72:73], v[15:16]
	s_waitcnt vmcnt(8)
	v_cvt_f64_f32_e32 v[32:33], v88
	v_fma_f64 v[13:14], v[40:41], v[72:73], v[13:14]
	v_fma_f64 v[11:12], v[42:43], v[72:73], v[11:12]
	v_cvt_f64_f32_e32 v[40:41], v80
	v_cvt_f64_f32_e32 v[42:43], v76
	v_fma_f64 v[17:18], v[29:30], v[74:75], v[17:18]
	v_cvt_f64_f32_e32 v[29:30], v85
	v_fma_f64 v[15:16], v[34:35], v[74:75], v[15:16]
	;; [unrolled: 2-line block ×3, first 2 shown]
	v_fma_f64 v[11:12], v[38:39], v[74:75], v[11:12]
	v_cvt_f64_f32_e32 v[36:37], v81
	v_cvt_f64_f32_e32 v[38:39], v77
	s_waitcnt vmcnt(7)
	v_fma_f64 v[17:18], v[27:28], v[92:93], v[17:18]
	v_cvt_f64_f32_e32 v[27:28], v86
	v_fma_f64 v[15:16], v[32:33], v[92:93], v[15:16]
	v_cvt_f64_f32_e32 v[32:33], v90
	v_fma_f64 v[13:14], v[40:41], v[92:93], v[13:14]
	v_fma_f64 v[11:12], v[42:43], v[92:93], v[11:12]
	v_cvt_f64_f32_e32 v[40:41], v82
	v_cvt_f64_f32_e32 v[42:43], v78
	v_fma_f64 v[17:18], v[29:30], v[94:95], v[17:18]
	v_cvt_f64_f32_e32 v[29:30], v87
	v_fma_f64 v[15:16], v[34:35], v[94:95], v[15:16]
	;; [unrolled: 2-line block ×3, first 2 shown]
	v_fma_f64 v[11:12], v[38:39], v[94:95], v[11:12]
	v_cvt_f64_f32_e32 v[36:37], v83
	v_cvt_f64_f32_e32 v[38:39], v79
	s_waitcnt vmcnt(6)
	v_fma_f64 v[17:18], v[27:28], v[96:97], v[17:18]
	s_waitcnt vmcnt(5)
	v_cvt_f64_f32_e32 v[27:28], v100
	v_fma_f64 v[15:16], v[32:33], v[96:97], v[15:16]
	s_waitcnt vmcnt(4)
	v_cvt_f64_f32_e32 v[32:33], v104
	v_fma_f64 v[13:14], v[40:41], v[96:97], v[13:14]
	v_fma_f64 v[11:12], v[42:43], v[96:97], v[11:12]
	s_waitcnt vmcnt(3)
	v_cvt_f64_f32_e32 v[40:41], v108
	s_waitcnt vmcnt(2)
	v_cvt_f64_f32_e32 v[42:43], v112
	v_fma_f64 v[17:18], v[29:30], v[98:99], v[17:18]
	v_cvt_f64_f32_e32 v[29:30], v101
	v_fma_f64 v[15:16], v[34:35], v[98:99], v[15:16]
	;; [unrolled: 2-line block ×3, first 2 shown]
	v_fma_f64 v[11:12], v[38:39], v[98:99], v[11:12]
	v_cvt_f64_f32_e32 v[36:37], v109
	v_cvt_f64_f32_e32 v[38:39], v113
	s_waitcnt vmcnt(1)
	v_fma_f64 v[17:18], v[27:28], v[116:117], v[17:18]
	v_cvt_f64_f32_e32 v[27:28], v102
	v_fma_f64 v[15:16], v[32:33], v[116:117], v[15:16]
	v_cvt_f64_f32_e32 v[32:33], v106
	v_fma_f64 v[13:14], v[40:41], v[116:117], v[13:14]
	v_fma_f64 v[11:12], v[42:43], v[116:117], v[11:12]
	v_cvt_f64_f32_e32 v[40:41], v110
	v_cvt_f64_f32_e32 v[42:43], v114
	v_fma_f64 v[17:18], v[29:30], v[118:119], v[17:18]
	v_cvt_f64_f32_e32 v[29:30], v103
	v_fma_f64 v[15:16], v[34:35], v[118:119], v[15:16]
	;; [unrolled: 2-line block ×3, first 2 shown]
	v_fma_f64 v[11:12], v[38:39], v[118:119], v[11:12]
	v_cvt_f64_f32_e32 v[36:37], v111
	v_cvt_f64_f32_e32 v[38:39], v115
	s_waitcnt vmcnt(0)
	v_fma_f64 v[17:18], v[27:28], v[120:121], v[17:18]
	v_fma_f64 v[15:16], v[32:33], v[120:121], v[15:16]
	;; [unrolled: 1-line block ×8, first 2 shown]
	s_andn2_b32 exec_lo, exec_lo, s9
	s_cbranch_execnz .LBB159_21
; %bb.22:
	s_or_b32 exec_lo, exec_lo, s9
.LBB159_23:
	s_or_b32 exec_lo, exec_lo, s8
.LBB159_24:
	s_or_b32 exec_lo, exec_lo, s3
	s_cbranch_execz .LBB159_26
	s_branch .LBB159_37
.LBB159_25:
                                        ; implicit-def: $vgpr11_vgpr12
                                        ; implicit-def: $vgpr13_vgpr14
                                        ; implicit-def: $vgpr15_vgpr16
                                        ; implicit-def: $vgpr17_vgpr18
.LBB159_26:
	v_mov_b32_e32 v11, 0
	v_mov_b32_e32 v13, 0
	;; [unrolled: 1-line block ×8, first 2 shown]
	s_and_saveexec_b32 s1, s0
	s_cbranch_execz .LBB159_36
; %bb.27:
	v_or_b32_e32 v11, 64, v31
	v_not_b32_e32 v14, v19
	v_not_b32_e32 v13, v20
	v_sub_co_u32 v11, s0, v11, s2
	v_sub_co_ci_u32_e64 v12, null, 0, 0, s0
	v_sub_co_u32 v15, s0, s2, v31
	v_add_co_u32 v11, vcc_lo, v11, v19
	v_add_co_ci_u32_e64 v12, null, v12, v20, vcc_lo
	v_sub_co_ci_u32_e64 v16, null, 0, 0, s0
	v_cmp_gt_i64_e32 vcc_lo, v[11:12], v[4:5]
	v_cndmask_b32_e32 v17, v5, v12, vcc_lo
	v_cndmask_b32_e32 v11, v4, v11, vcc_lo
	v_add_co_u32 v12, vcc_lo, v15, v14
	v_add_co_ci_u32_e64 v13, null, v16, v13, vcc_lo
	v_mov_b32_e32 v15, 0
	v_add_co_u32 v19, vcc_lo, v12, v11
	v_mov_b32_e32 v12, 0
	v_add_co_ci_u32_e64 v20, null, v13, v17, vcc_lo
	v_and_b32_e32 v11, 0xc0, v19
	v_mov_b32_e32 v17, 0
	v_mov_b32_e32 v13, 0
	;; [unrolled: 1-line block ×4, first 2 shown]
	v_cmp_ne_u64_e32 vcc_lo, 0xc0, v[11:12]
	v_mov_b32_e32 v11, 0
	v_mov_b32_e32 v14, 0
	;; [unrolled: 1-line block ×3, first 2 shown]
	s_and_saveexec_b32 s3, vcc_lo
	s_cbranch_execz .LBB159_31
; %bb.28:
	v_lshrrev_b32_e32 v11, 6, v19
	v_lshlrev_b64 v[21:22], 2, v[0:1]
	v_mov_b32_e32 v13, 0
	v_mov_b32_e32 v15, 0
	;; [unrolled: 1-line block ×3, first 2 shown]
	v_add_nc_u32_e32 v23, 1, v11
	v_mov_b32_e32 v11, 0
	v_add_co_u32 v21, vcc_lo, s12, v21
	v_mov_b32_e32 v12, 0
	v_and_b32_e32 v23, 3, v23
	v_mov_b32_e32 v14, 0
	v_mov_b32_e32 v16, 0
	;; [unrolled: 1-line block ×3, first 2 shown]
	v_add_co_ci_u32_e64 v22, null, s13, v22, vcc_lo
	v_sub_co_u32 v23, s0, 0, v23
	v_sub_co_ci_u32_e64 v24, null, 0, 0, s0
	s_mov_b32 s8, 0
.LBB159_29:                             ; =>This Inner Loop Header: Depth=1
	global_load_dword v29, v[21:22], off
	s_clause 0x1
	global_load_dwordx4 v[25:28], v[6:7], off offset:16
	global_load_dwordx4 v[32:35], v[6:7], off
	v_add_co_u32 v21, s0, 0x100, v21
	v_add_co_ci_u32_e64 v22, null, 0, v22, s0
	s_waitcnt vmcnt(2)
	v_subrev_nc_u32_e32 v29, s2, v29
	s_waitcnt vmcnt(1)
	v_cvt_f64_f32_e32 v[54:55], v25
	s_waitcnt vmcnt(0)
	v_cvt_f64_f32_e32 v[52:53], v34
	v_cvt_f64_f32_e32 v[34:35], v35
	;; [unrolled: 1-line block ×3, first 2 shown]
	v_lshlrev_b32_e32 v29, 2, v29
	v_cvt_f64_f32_e32 v[56:57], v27
	v_cvt_f64_f32_e32 v[27:28], v28
	v_ashrrev_i32_e32 v30, 31, v29
	v_lshlrev_b64 v[29:30], 3, v[29:30]
	v_add_co_u32 v29, vcc_lo, s6, v29
	v_add_co_ci_u32_e64 v30, null, s7, v30, vcc_lo
	s_clause 0x1
	global_load_dwordx4 v[36:39], v[29:30], off
	global_load_dwordx4 v[40:43], v[29:30], off offset:16
	s_clause 0x1
	global_load_dwordx4 v[44:47], v[6:7], off offset:32
	global_load_dwordx4 v[48:51], v[6:7], off offset:48
	v_cvt_f64_f32_e32 v[29:30], v32
	v_cvt_f64_f32_e32 v[32:33], v33
	v_add_co_u32 v6, vcc_lo, 0x1000, v6
	v_add_co_ci_u32_e64 v7, null, 0, v7, vcc_lo
	v_add_co_u32 v23, vcc_lo, v23, 1
	v_add_co_ci_u32_e64 v24, null, 0, v24, vcc_lo
	;; [unrolled: 2-line block ×3, first 2 shown]
	v_cmp_eq_u64_e32 vcc_lo, 0, v[23:24]
	s_or_b32 s8, vcc_lo, s8
	s_waitcnt vmcnt(3)
	v_fma_f64 v[17:18], v[29:30], v[36:37], v[17:18]
	v_fma_f64 v[15:16], v[32:33], v[36:37], v[15:16]
	;; [unrolled: 1-line block ×4, first 2 shown]
	s_waitcnt vmcnt(1)
	v_cvt_f64_f32_e32 v[29:30], v44
	v_cvt_f64_f32_e32 v[32:33], v45
	;; [unrolled: 1-line block ×4, first 2 shown]
	s_waitcnt vmcnt(0)
	v_cvt_f64_f32_e32 v[44:45], v51
	v_fma_f64 v[17:18], v[54:55], v[38:39], v[17:18]
	v_fma_f64 v[15:16], v[25:26], v[38:39], v[15:16]
	;; [unrolled: 1-line block ×4, first 2 shown]
	v_cvt_f64_f32_e32 v[25:26], v48
	v_cvt_f64_f32_e32 v[27:28], v49
	;; [unrolled: 1-line block ×3, first 2 shown]
	v_fma_f64 v[17:18], v[29:30], v[40:41], v[17:18]
	v_fma_f64 v[15:16], v[32:33], v[40:41], v[15:16]
	;; [unrolled: 1-line block ×8, first 2 shown]
	s_andn2_b32 exec_lo, exec_lo, s8
	s_cbranch_execnz .LBB159_29
; %bb.30:
	s_or_b32 exec_lo, exec_lo, s8
.LBB159_31:
	s_or_b32 exec_lo, exec_lo, s3
	s_mov_b32 s3, exec_lo
	v_cmpx_lt_u64_e32 0xbf, v[19:20]
	s_cbranch_execz .LBB159_35
; %bb.32:
	v_lshlrev_b64 v[19:20], 2, v[0:1]
	s_mov_b32 s8, 0
	v_add_co_u32 v19, vcc_lo, s12, v19
	v_add_co_ci_u32_e64 v20, null, s13, v20, vcc_lo
	v_add_co_u32 v19, vcc_lo, 0x200, v19
	v_add_co_ci_u32_e64 v20, null, 0, v20, vcc_lo
.LBB159_33:                             ; =>This Inner Loop Header: Depth=1
	s_clause 0x2
	global_load_dword v29, v[19:20], off offset:-512
	global_load_dword v52, v[19:20], off offset:-256
	global_load_dword v76, v[19:20], off
	s_clause 0x1
	global_load_dwordx4 v[21:24], v[6:7], off
	global_load_dwordx4 v[25:28], v[6:7], off offset:16
	global_load_dword v110, v[19:20], off offset:256
	global_load_dwordx4 v[32:35], v[6:7], off offset:32
	s_waitcnt vmcnt(6)
	v_subrev_nc_u32_e32 v29, s2, v29
	s_waitcnt vmcnt(5)
	v_subrev_nc_u32_e32 v52, s2, v52
	;; [unrolled: 2-line block ×3, first 2 shown]
	s_waitcnt vmcnt(3)
	v_cvt_f64_f32_e32 v[96:97], v22
	v_cvt_f64_f32_e32 v[98:99], v23
	v_lshlrev_b32_e32 v29, 2, v29
	v_lshlrev_b32_e32 v52, 2, v52
	;; [unrolled: 1-line block ×3, first 2 shown]
	v_cvt_f64_f32_e32 v[100:101], v24
	s_waitcnt vmcnt(2)
	v_cvt_f64_f32_e32 v[102:103], v25
	v_ashrrev_i32_e32 v30, 31, v29
	v_ashrrev_i32_e32 v53, 31, v52
	;; [unrolled: 1-line block ×3, first 2 shown]
	v_cvt_f64_f32_e32 v[104:105], v26
	v_cvt_f64_f32_e32 v[106:107], v27
	v_lshlrev_b64 v[29:30], 3, v[29:30]
	v_lshlrev_b64 v[52:53], 3, v[52:53]
	;; [unrolled: 1-line block ×3, first 2 shown]
	v_cvt_f64_f32_e32 v[108:109], v28
	s_waitcnt vmcnt(0)
	v_cvt_f64_f32_e32 v[112:113], v33
	v_cvt_f64_f32_e32 v[114:115], v34
	v_add_co_u32 v29, vcc_lo, s6, v29
	v_add_co_ci_u32_e64 v30, null, s7, v30, vcc_lo
	v_cvt_f64_f32_e32 v[116:117], v35
	global_load_dwordx4 v[36:39], v[29:30], off
	global_load_dwordx4 v[40:43], v[6:7], off offset:48
	global_load_dwordx4 v[44:47], v[29:30], off offset:16
	v_add_co_u32 v29, vcc_lo, 0x1000, v6
	v_add_co_ci_u32_e64 v30, null, 0, v7, vcc_lo
	v_add_co_u32 v68, vcc_lo, s6, v52
	v_add_co_ci_u32_e64 v69, null, s7, v53, vcc_lo
	s_clause 0x1
	global_load_dwordx4 v[48:51], v[29:30], off
	global_load_dwordx4 v[52:55], v[29:30], off offset:16
	global_load_dwordx4 v[56:59], v[68:69], off
	s_clause 0x1
	global_load_dwordx4 v[60:63], v[29:30], off offset:32
	global_load_dwordx4 v[64:67], v[29:30], off offset:48
	;; [unrolled: 1-line block ×3, first 2 shown]
	v_add_co_u32 v29, vcc_lo, 0x2000, v6
	v_add_co_ci_u32_e64 v30, null, 0, v7, vcc_lo
	v_add_co_u32 v92, vcc_lo, s6, v76
	v_add_co_ci_u32_e64 v93, null, s7, v77, vcc_lo
	s_clause 0x1
	global_load_dwordx4 v[72:75], v[29:30], off
	global_load_dwordx4 v[76:79], v[29:30], off offset:16
	global_load_dwordx4 v[80:83], v[92:93], off
	s_clause 0x1
	global_load_dwordx4 v[84:87], v[29:30], off offset:32
	global_load_dwordx4 v[88:91], v[29:30], off offset:48
	v_cvt_f64_f32_e32 v[29:30], v21
	v_subrev_nc_u32_e32 v21, s2, v110
	v_add_co_u32 v94, vcc_lo, 0x3000, v6
	v_add_co_ci_u32_e64 v95, null, 0, v7, vcc_lo
	v_lshlrev_b32_e32 v25, 2, v21
	global_load_dwordx4 v[21:24], v[92:93], off offset:16
	v_cvt_f64_f32_e32 v[110:111], v32
	v_add_co_u32 v6, s0, 0x4000, v6
	v_ashrrev_i32_e32 v26, 31, v25
	v_add_co_ci_u32_e64 v7, null, 0, v7, s0
	v_lshlrev_b64 v[25:26], 3, v[25:26]
	v_add_co_u32 v118, vcc_lo, s6, v25
	v_add_co_ci_u32_e64 v119, null, s7, v26, vcc_lo
	global_load_dwordx4 v[25:28], v[94:95], off
	v_add_co_u32 v0, vcc_lo, 0x100, v0
	v_add_co_ci_u32_e64 v1, null, 0, v1, vcc_lo
	v_add_co_u32 v19, vcc_lo, 0x400, v19
	v_add_co_ci_u32_e64 v20, null, 0, v20, vcc_lo
	v_cmp_ge_i64_e32 vcc_lo, v[0:1], v[4:5]
	s_or_b32 s8, vcc_lo, s8
	s_waitcnt vmcnt(15)
	v_fma_f64 v[29:30], v[29:30], v[36:37], v[17:18]
	v_fma_f64 v[32:33], v[96:97], v[36:37], v[15:16]
	global_load_dwordx4 v[15:18], v[94:95], off offset:16
	v_fma_f64 v[92:93], v[98:99], v[36:37], v[13:14]
	v_fma_f64 v[36:37], v[100:101], v[36:37], v[11:12]
	global_load_dwordx4 v[11:14], v[118:119], off
	v_fma_f64 v[29:30], v[102:103], v[38:39], v[29:30]
	v_fma_f64 v[96:97], v[104:105], v[38:39], v[32:33]
	global_load_dwordx4 v[32:35], v[94:95], off offset:32
	v_fma_f64 v[98:99], v[106:107], v[38:39], v[92:93]
	global_load_dwordx4 v[92:95], v[94:95], off offset:48
	;; [unrolled: 2-line block ×3, first 2 shown]
	s_waitcnt vmcnt(19)
	v_cvt_f64_f32_e32 v[102:103], v40
	v_cvt_f64_f32_e32 v[40:41], v41
	;; [unrolled: 1-line block ×4, first 2 shown]
	s_waitcnt vmcnt(17)
	v_cvt_f64_f32_e32 v[106:107], v50
	v_cvt_f64_f32_e32 v[50:51], v51
	v_fma_f64 v[29:30], v[110:111], v[44:45], v[29:30]
	v_fma_f64 v[96:97], v[112:113], v[44:45], v[96:97]
	;; [unrolled: 1-line block ×4, first 2 shown]
	v_cvt_f64_f32_e32 v[100:101], v48
	v_cvt_f64_f32_e32 v[48:49], v49
	v_fma_f64 v[29:30], v[102:103], v[46:47], v[29:30]
	v_fma_f64 v[40:41], v[40:41], v[46:47], v[96:97]
	;; [unrolled: 1-line block ×4, first 2 shown]
	s_waitcnt vmcnt(16)
	v_cvt_f64_f32_e32 v[44:45], v52
	v_cvt_f64_f32_e32 v[46:47], v53
	;; [unrolled: 1-line block ×4, first 2 shown]
	s_waitcnt vmcnt(15)
	v_fma_f64 v[29:30], v[100:101], v[56:57], v[29:30]
	v_fma_f64 v[40:41], v[48:49], v[56:57], v[40:41]
	;; [unrolled: 1-line block ×4, first 2 shown]
	s_waitcnt vmcnt(14)
	v_cvt_f64_f32_e32 v[50:51], v60
	v_cvt_f64_f32_e32 v[56:57], v61
	;; [unrolled: 1-line block ×4, first 2 shown]
	v_fma_f64 v[29:30], v[44:45], v[58:59], v[29:30]
	v_fma_f64 v[40:41], v[46:47], v[58:59], v[40:41]
	s_waitcnt vmcnt(13)
	v_cvt_f64_f32_e32 v[46:47], v64
	v_fma_f64 v[44:45], v[52:53], v[58:59], v[48:49]
	v_cvt_f64_f32_e32 v[48:49], v65
	v_fma_f64 v[42:43], v[54:55], v[58:59], v[42:43]
	v_cvt_f64_f32_e32 v[52:53], v66
	v_cvt_f64_f32_e32 v[54:55], v67
	s_waitcnt vmcnt(11)
	v_cvt_f64_f32_e32 v[58:59], v74
	v_fma_f64 v[29:30], v[50:51], v[68:69], v[29:30]
	v_fma_f64 v[40:41], v[56:57], v[68:69], v[40:41]
	v_cvt_f64_f32_e32 v[50:51], v72
	v_fma_f64 v[44:45], v[60:61], v[68:69], v[44:45]
	v_cvt_f64_f32_e32 v[56:57], v73
	;; [unrolled: 2-line block ×3, first 2 shown]
	v_fma_f64 v[29:30], v[46:47], v[70:71], v[29:30]
	v_fma_f64 v[40:41], v[48:49], v[70:71], v[40:41]
	s_waitcnt vmcnt(10)
	v_cvt_f64_f32_e32 v[46:47], v76
	v_fma_f64 v[44:45], v[52:53], v[70:71], v[44:45]
	v_cvt_f64_f32_e32 v[48:49], v77
	v_fma_f64 v[42:43], v[54:55], v[70:71], v[42:43]
	v_cvt_f64_f32_e32 v[52:53], v78
	v_cvt_f64_f32_e32 v[54:55], v79
	s_waitcnt vmcnt(9)
	v_fma_f64 v[29:30], v[50:51], v[80:81], v[29:30]
	v_fma_f64 v[40:41], v[56:57], v[80:81], v[40:41]
	s_waitcnt vmcnt(8)
	v_cvt_f64_f32_e32 v[50:51], v84
	v_fma_f64 v[44:45], v[58:59], v[80:81], v[44:45]
	v_cvt_f64_f32_e32 v[56:57], v85
	v_fma_f64 v[42:43], v[60:61], v[80:81], v[42:43]
	v_cvt_f64_f32_e32 v[58:59], v86
	v_cvt_f64_f32_e32 v[60:61], v87
	v_fma_f64 v[29:30], v[46:47], v[82:83], v[29:30]
	v_fma_f64 v[40:41], v[48:49], v[82:83], v[40:41]
	s_waitcnt vmcnt(7)
	v_cvt_f64_f32_e32 v[46:47], v88
	v_fma_f64 v[44:45], v[52:53], v[82:83], v[44:45]
	v_cvt_f64_f32_e32 v[48:49], v89
	v_fma_f64 v[42:43], v[54:55], v[82:83], v[42:43]
	v_cvt_f64_f32_e32 v[52:53], v90
	v_cvt_f64_f32_e32 v[54:55], v91
	s_waitcnt vmcnt(6)
	v_fma_f64 v[29:30], v[50:51], v[21:22], v[29:30]
	v_fma_f64 v[40:41], v[56:57], v[21:22], v[40:41]
	s_waitcnt vmcnt(5)
	v_cvt_f64_f32_e32 v[50:51], v27
	v_fma_f64 v[44:45], v[58:59], v[21:22], v[44:45]
	v_cvt_f64_f32_e32 v[27:28], v28
	v_fma_f64 v[21:22], v[60:61], v[21:22], v[42:43]
	v_cvt_f64_f32_e32 v[42:43], v25
	v_cvt_f64_f32_e32 v[25:26], v26
	v_fma_f64 v[29:30], v[46:47], v[23:24], v[29:30]
	v_fma_f64 v[40:41], v[48:49], v[23:24], v[40:41]
	;; [unrolled: 1-line block ×4, first 2 shown]
	s_waitcnt vmcnt(4)
	v_cvt_f64_f32_e32 v[23:24], v15
	v_cvt_f64_f32_e32 v[15:16], v16
	;; [unrolled: 1-line block ×4, first 2 shown]
	s_waitcnt vmcnt(3)
	v_fma_f64 v[29:30], v[42:43], v[11:12], v[29:30]
	v_fma_f64 v[25:26], v[25:26], v[11:12], v[40:41]
	v_fma_f64 v[40:41], v[50:51], v[11:12], v[44:45]
	v_fma_f64 v[11:12], v[27:28], v[11:12], v[21:22]
	s_waitcnt vmcnt(2)
	v_cvt_f64_f32_e32 v[21:22], v32
	v_cvt_f64_f32_e32 v[27:28], v33
	v_cvt_f64_f32_e32 v[32:33], v34
	v_cvt_f64_f32_e32 v[34:35], v35
	v_fma_f64 v[23:24], v[23:24], v[13:14], v[29:30]
	v_fma_f64 v[15:16], v[15:16], v[13:14], v[25:26]
	;; [unrolled: 1-line block ×4, first 2 shown]
	s_waitcnt vmcnt(1)
	v_cvt_f64_f32_e32 v[13:14], v92
	v_cvt_f64_f32_e32 v[29:30], v93
	;; [unrolled: 1-line block ×4, first 2 shown]
	s_waitcnt vmcnt(0)
	v_fma_f64 v[17:18], v[21:22], v[36:37], v[23:24]
	v_fma_f64 v[15:16], v[27:28], v[36:37], v[15:16]
	;; [unrolled: 1-line block ×8, first 2 shown]
	s_andn2_b32 exec_lo, exec_lo, s8
	s_cbranch_execnz .LBB159_33
; %bb.34:
	s_or_b32 exec_lo, exec_lo, s8
.LBB159_35:
	s_or_b32 exec_lo, exec_lo, s3
.LBB159_36:
	s_or_b32 exec_lo, exec_lo, s1
.LBB159_37:
	v_mbcnt_lo_u32_b32 v23, -1, 0
	v_or_b32_e32 v0, 32, v23
	v_cmp_gt_i32_e32 vcc_lo, 32, v0
	v_cndmask_b32_e32 v0, v23, v0, vcc_lo
	v_lshlrev_b32_e32 v20, 2, v0
	ds_bpermute_b32 v0, v20, v17
	ds_bpermute_b32 v1, v20, v18
	;; [unrolled: 1-line block ×8, first 2 shown]
	s_waitcnt lgkmcnt(6)
	v_add_f64 v[0:1], v[17:18], v[0:1]
	s_waitcnt lgkmcnt(4)
	v_add_f64 v[4:5], v[15:16], v[4:5]
	;; [unrolled: 2-line block ×3, first 2 shown]
	v_xor_b32_e32 v13, 16, v23
	s_waitcnt lgkmcnt(0)
	v_add_f64 v[11:12], v[11:12], v[19:20]
	v_cmp_gt_i32_e32 vcc_lo, 32, v13
	v_cndmask_b32_e32 v13, v23, v13, vcc_lo
	v_lshlrev_b32_e32 v20, 2, v13
	ds_bpermute_b32 v13, v20, v0
	ds_bpermute_b32 v14, v20, v1
	;; [unrolled: 1-line block ×8, first 2 shown]
	s_waitcnt lgkmcnt(6)
	v_add_f64 v[0:1], v[0:1], v[13:14]
	v_xor_b32_e32 v13, 8, v23
	s_waitcnt lgkmcnt(4)
	v_add_f64 v[4:5], v[4:5], v[15:16]
	s_waitcnt lgkmcnt(2)
	v_add_f64 v[6:7], v[6:7], v[17:18]
	;; [unrolled: 2-line block ×3, first 2 shown]
	v_cmp_gt_i32_e32 vcc_lo, 32, v13
	v_cndmask_b32_e32 v13, v23, v13, vcc_lo
	v_lshlrev_b32_e32 v20, 2, v13
	ds_bpermute_b32 v13, v20, v0
	ds_bpermute_b32 v14, v20, v1
	;; [unrolled: 1-line block ×8, first 2 shown]
	s_waitcnt lgkmcnt(6)
	v_add_f64 v[0:1], v[0:1], v[13:14]
	v_xor_b32_e32 v13, 4, v23
	s_waitcnt lgkmcnt(4)
	v_add_f64 v[4:5], v[4:5], v[15:16]
	s_waitcnt lgkmcnt(2)
	v_add_f64 v[6:7], v[6:7], v[17:18]
	;; [unrolled: 2-line block ×3, first 2 shown]
	v_cmp_gt_i32_e32 vcc_lo, 32, v13
	v_cndmask_b32_e32 v13, v23, v13, vcc_lo
	v_lshlrev_b32_e32 v20, 2, v13
	ds_bpermute_b32 v13, v20, v0
	ds_bpermute_b32 v14, v20, v1
	;; [unrolled: 1-line block ×8, first 2 shown]
	s_waitcnt lgkmcnt(6)
	v_add_f64 v[0:1], v[0:1], v[13:14]
	s_waitcnt lgkmcnt(4)
	v_add_f64 v[4:5], v[4:5], v[15:16]
	;; [unrolled: 2-line block ×3, first 2 shown]
	v_xor_b32_e32 v6, 2, v23
	s_waitcnt lgkmcnt(0)
	v_add_f64 v[15:16], v[11:12], v[19:20]
	v_cmp_gt_i32_e32 vcc_lo, 32, v6
	v_cndmask_b32_e32 v6, v23, v6, vcc_lo
	v_lshlrev_b32_e32 v11, 2, v6
	ds_bpermute_b32 v6, v11, v0
	ds_bpermute_b32 v7, v11, v1
	;; [unrolled: 1-line block ×8, first 2 shown]
	s_waitcnt lgkmcnt(6)
	v_add_f64 v[11:12], v[0:1], v[6:7]
	s_waitcnt lgkmcnt(4)
	v_add_f64 v[6:7], v[4:5], v[17:18]
	;; [unrolled: 2-line block ×3, first 2 shown]
	v_xor_b32_e32 v13, 1, v23
	s_waitcnt lgkmcnt(0)
	v_add_f64 v[4:5], v[15:16], v[21:22]
	v_cmp_gt_i32_e32 vcc_lo, 32, v13
	v_cndmask_b32_e32 v13, v23, v13, vcc_lo
	v_cmp_eq_u32_e32 vcc_lo, 63, v31
	v_lshlrev_b32_e32 v14, 2, v13
	ds_bpermute_b32 v19, v14, v11
	ds_bpermute_b32 v20, v14, v12
	;; [unrolled: 1-line block ×8, first 2 shown]
	s_and_b32 exec_lo, exec_lo, vcc_lo
	s_cbranch_execz .LBB159_10
; %bb.38:
	s_waitcnt lgkmcnt(6)
	v_add_f64 v[11:12], v[11:12], v[19:20]
	s_waitcnt lgkmcnt(4)
	v_add_f64 v[6:7], v[6:7], v[17:18]
	;; [unrolled: 2-line block ×4, first 2 shown]
	s_load_dwordx2 s[0:1], s[4:5], 0x50
	v_lshlrev_b32_e32 v10, 2, v10
	s_mov_b32 s2, exec_lo
	v_mul_f64 v[4:5], v[2:3], v[11:12]
	v_mul_f64 v[6:7], v[2:3], v[6:7]
	;; [unrolled: 1-line block ×4, first 2 shown]
	v_cmpx_eq_f64_e32 0, v[8:9]
	s_xor_b32 s2, exec_lo, s2
	s_cbranch_execz .LBB159_40
; %bb.39:
	v_ashrrev_i32_e32 v11, 31, v10
	v_lshlrev_b64 v[8:9], 3, v[10:11]
                                        ; implicit-def: $vgpr10
	s_waitcnt lgkmcnt(0)
	v_add_co_u32 v8, vcc_lo, s0, v8
	v_add_co_ci_u32_e64 v9, null, s1, v9, vcc_lo
	global_store_dwordx4 v[8:9], v[4:7], off
	global_store_dwordx4 v[8:9], v[0:3], off offset:16
                                        ; implicit-def: $vgpr8_vgpr9
                                        ; implicit-def: $vgpr4_vgpr5
                                        ; implicit-def: $vgpr0_vgpr1
.LBB159_40:
	s_andn2_saveexec_b32 s2, s2
	s_cbranch_execz .LBB159_10
; %bb.41:
	v_ashrrev_i32_e32 v11, 31, v10
	v_lshlrev_b64 v[10:11], 3, v[10:11]
	s_waitcnt lgkmcnt(0)
	v_add_co_u32 v18, vcc_lo, s0, v10
	v_add_co_ci_u32_e64 v19, null, s1, v11, vcc_lo
	s_clause 0x1
	global_load_dwordx4 v[10:13], v[18:19], off
	global_load_dwordx4 v[14:17], v[18:19], off offset:16
	s_waitcnt vmcnt(1)
	v_fma_f64 v[4:5], v[8:9], v[10:11], v[4:5]
	v_fma_f64 v[6:7], v[8:9], v[12:13], v[6:7]
	s_waitcnt vmcnt(0)
	v_fma_f64 v[0:1], v[8:9], v[14:15], v[0:1]
	v_fma_f64 v[2:3], v[8:9], v[16:17], v[2:3]
	global_store_dwordx4 v[18:19], v[4:7], off
	global_store_dwordx4 v[18:19], v[0:3], off offset:16
	s_endpgm
	.section	.rodata,"a",@progbits
	.p2align	6, 0x0
	.amdhsa_kernel _ZN9rocsparseL18bsrxmvn_4x4_kernelILj128ELj64EdlifddEEvT3_20rocsparse_direction_NS_24const_host_device_scalarIT1_EES1_PKS1_PKT2_SA_S7_PKT4_PKT5_S5_PT6_21rocsparse_index_base_b
		.amdhsa_group_segment_fixed_size 0
		.amdhsa_private_segment_fixed_size 0
		.amdhsa_kernarg_size 96
		.amdhsa_user_sgpr_count 6
		.amdhsa_user_sgpr_private_segment_buffer 1
		.amdhsa_user_sgpr_dispatch_ptr 0
		.amdhsa_user_sgpr_queue_ptr 0
		.amdhsa_user_sgpr_kernarg_segment_ptr 1
		.amdhsa_user_sgpr_dispatch_id 0
		.amdhsa_user_sgpr_flat_scratch_init 0
		.amdhsa_user_sgpr_private_segment_size 0
		.amdhsa_wavefront_size32 1
		.amdhsa_uses_dynamic_stack 0
		.amdhsa_system_sgpr_private_segment_wavefront_offset 0
		.amdhsa_system_sgpr_workgroup_id_x 1
		.amdhsa_system_sgpr_workgroup_id_y 0
		.amdhsa_system_sgpr_workgroup_id_z 0
		.amdhsa_system_sgpr_workgroup_info 0
		.amdhsa_system_vgpr_workitem_id 0
		.amdhsa_next_free_vgpr 132
		.amdhsa_next_free_sgpr 16
		.amdhsa_reserve_vcc 1
		.amdhsa_reserve_flat_scratch 0
		.amdhsa_float_round_mode_32 0
		.amdhsa_float_round_mode_16_64 0
		.amdhsa_float_denorm_mode_32 3
		.amdhsa_float_denorm_mode_16_64 3
		.amdhsa_dx10_clamp 1
		.amdhsa_ieee_mode 1
		.amdhsa_fp16_overflow 0
		.amdhsa_workgroup_processor_mode 1
		.amdhsa_memory_ordered 1
		.amdhsa_forward_progress 1
		.amdhsa_shared_vgpr_count 0
		.amdhsa_exception_fp_ieee_invalid_op 0
		.amdhsa_exception_fp_denorm_src 0
		.amdhsa_exception_fp_ieee_div_zero 0
		.amdhsa_exception_fp_ieee_overflow 0
		.amdhsa_exception_fp_ieee_underflow 0
		.amdhsa_exception_fp_ieee_inexact 0
		.amdhsa_exception_int_div_zero 0
	.end_amdhsa_kernel
	.section	.text._ZN9rocsparseL18bsrxmvn_4x4_kernelILj128ELj64EdlifddEEvT3_20rocsparse_direction_NS_24const_host_device_scalarIT1_EES1_PKS1_PKT2_SA_S7_PKT4_PKT5_S5_PT6_21rocsparse_index_base_b,"axG",@progbits,_ZN9rocsparseL18bsrxmvn_4x4_kernelILj128ELj64EdlifddEEvT3_20rocsparse_direction_NS_24const_host_device_scalarIT1_EES1_PKS1_PKT2_SA_S7_PKT4_PKT5_S5_PT6_21rocsparse_index_base_b,comdat
.Lfunc_end159:
	.size	_ZN9rocsparseL18bsrxmvn_4x4_kernelILj128ELj64EdlifddEEvT3_20rocsparse_direction_NS_24const_host_device_scalarIT1_EES1_PKS1_PKT2_SA_S7_PKT4_PKT5_S5_PT6_21rocsparse_index_base_b, .Lfunc_end159-_ZN9rocsparseL18bsrxmvn_4x4_kernelILj128ELj64EdlifddEEvT3_20rocsparse_direction_NS_24const_host_device_scalarIT1_EES1_PKS1_PKT2_SA_S7_PKT4_PKT5_S5_PT6_21rocsparse_index_base_b
                                        ; -- End function
	.set _ZN9rocsparseL18bsrxmvn_4x4_kernelILj128ELj64EdlifddEEvT3_20rocsparse_direction_NS_24const_host_device_scalarIT1_EES1_PKS1_PKT2_SA_S7_PKT4_PKT5_S5_PT6_21rocsparse_index_base_b.num_vgpr, 132
	.set _ZN9rocsparseL18bsrxmvn_4x4_kernelILj128ELj64EdlifddEEvT3_20rocsparse_direction_NS_24const_host_device_scalarIT1_EES1_PKS1_PKT2_SA_S7_PKT4_PKT5_S5_PT6_21rocsparse_index_base_b.num_agpr, 0
	.set _ZN9rocsparseL18bsrxmvn_4x4_kernelILj128ELj64EdlifddEEvT3_20rocsparse_direction_NS_24const_host_device_scalarIT1_EES1_PKS1_PKT2_SA_S7_PKT4_PKT5_S5_PT6_21rocsparse_index_base_b.numbered_sgpr, 16
	.set _ZN9rocsparseL18bsrxmvn_4x4_kernelILj128ELj64EdlifddEEvT3_20rocsparse_direction_NS_24const_host_device_scalarIT1_EES1_PKS1_PKT2_SA_S7_PKT4_PKT5_S5_PT6_21rocsparse_index_base_b.num_named_barrier, 0
	.set _ZN9rocsparseL18bsrxmvn_4x4_kernelILj128ELj64EdlifddEEvT3_20rocsparse_direction_NS_24const_host_device_scalarIT1_EES1_PKS1_PKT2_SA_S7_PKT4_PKT5_S5_PT6_21rocsparse_index_base_b.private_seg_size, 0
	.set _ZN9rocsparseL18bsrxmvn_4x4_kernelILj128ELj64EdlifddEEvT3_20rocsparse_direction_NS_24const_host_device_scalarIT1_EES1_PKS1_PKT2_SA_S7_PKT4_PKT5_S5_PT6_21rocsparse_index_base_b.uses_vcc, 1
	.set _ZN9rocsparseL18bsrxmvn_4x4_kernelILj128ELj64EdlifddEEvT3_20rocsparse_direction_NS_24const_host_device_scalarIT1_EES1_PKS1_PKT2_SA_S7_PKT4_PKT5_S5_PT6_21rocsparse_index_base_b.uses_flat_scratch, 0
	.set _ZN9rocsparseL18bsrxmvn_4x4_kernelILj128ELj64EdlifddEEvT3_20rocsparse_direction_NS_24const_host_device_scalarIT1_EES1_PKS1_PKT2_SA_S7_PKT4_PKT5_S5_PT6_21rocsparse_index_base_b.has_dyn_sized_stack, 0
	.set _ZN9rocsparseL18bsrxmvn_4x4_kernelILj128ELj64EdlifddEEvT3_20rocsparse_direction_NS_24const_host_device_scalarIT1_EES1_PKS1_PKT2_SA_S7_PKT4_PKT5_S5_PT6_21rocsparse_index_base_b.has_recursion, 0
	.set _ZN9rocsparseL18bsrxmvn_4x4_kernelILj128ELj64EdlifddEEvT3_20rocsparse_direction_NS_24const_host_device_scalarIT1_EES1_PKS1_PKT2_SA_S7_PKT4_PKT5_S5_PT6_21rocsparse_index_base_b.has_indirect_call, 0
	.section	.AMDGPU.csdata,"",@progbits
; Kernel info:
; codeLenInByte = 5956
; TotalNumSgprs: 18
; NumVgprs: 132
; ScratchSize: 0
; MemoryBound: 0
; FloatMode: 240
; IeeeMode: 1
; LDSByteSize: 0 bytes/workgroup (compile time only)
; SGPRBlocks: 0
; VGPRBlocks: 16
; NumSGPRsForWavesPerEU: 18
; NumVGPRsForWavesPerEU: 132
; Occupancy: 7
; WaveLimiterHint : 1
; COMPUTE_PGM_RSRC2:SCRATCH_EN: 0
; COMPUTE_PGM_RSRC2:USER_SGPR: 6
; COMPUTE_PGM_RSRC2:TRAP_HANDLER: 0
; COMPUTE_PGM_RSRC2:TGID_X_EN: 1
; COMPUTE_PGM_RSRC2:TGID_Y_EN: 0
; COMPUTE_PGM_RSRC2:TGID_Z_EN: 0
; COMPUTE_PGM_RSRC2:TIDIG_COMP_CNT: 0
	.section	.text._ZN9rocsparseL18bsrxmvn_4x4_kernelILj128ELj4EdllfddEEvT3_20rocsparse_direction_NS_24const_host_device_scalarIT1_EES1_PKS1_PKT2_SA_S7_PKT4_PKT5_S5_PT6_21rocsparse_index_base_b,"axG",@progbits,_ZN9rocsparseL18bsrxmvn_4x4_kernelILj128ELj4EdllfddEEvT3_20rocsparse_direction_NS_24const_host_device_scalarIT1_EES1_PKS1_PKT2_SA_S7_PKT4_PKT5_S5_PT6_21rocsparse_index_base_b,comdat
	.globl	_ZN9rocsparseL18bsrxmvn_4x4_kernelILj128ELj4EdllfddEEvT3_20rocsparse_direction_NS_24const_host_device_scalarIT1_EES1_PKS1_PKT2_SA_S7_PKT4_PKT5_S5_PT6_21rocsparse_index_base_b ; -- Begin function _ZN9rocsparseL18bsrxmvn_4x4_kernelILj128ELj4EdllfddEEvT3_20rocsparse_direction_NS_24const_host_device_scalarIT1_EES1_PKS1_PKT2_SA_S7_PKT4_PKT5_S5_PT6_21rocsparse_index_base_b
	.p2align	8
	.type	_ZN9rocsparseL18bsrxmvn_4x4_kernelILj128ELj4EdllfddEEvT3_20rocsparse_direction_NS_24const_host_device_scalarIT1_EES1_PKS1_PKT2_SA_S7_PKT4_PKT5_S5_PT6_21rocsparse_index_base_b,@function
_ZN9rocsparseL18bsrxmvn_4x4_kernelILj128ELj4EdllfddEEvT3_20rocsparse_direction_NS_24const_host_device_scalarIT1_EES1_PKS1_PKT2_SA_S7_PKT4_PKT5_S5_PT6_21rocsparse_index_base_b: ; @_ZN9rocsparseL18bsrxmvn_4x4_kernelILj128ELj4EdllfddEEvT3_20rocsparse_direction_NS_24const_host_device_scalarIT1_EES1_PKS1_PKT2_SA_S7_PKT4_PKT5_S5_PT6_21rocsparse_index_base_b
; %bb.0:
	s_clause 0x2
	s_load_dwordx2 s[8:9], s[4:5], 0x60
	s_load_dwordx4 s[0:3], s[4:5], 0x10
	s_load_dwordx2 s[10:11], s[4:5], 0x50
	s_waitcnt lgkmcnt(0)
	s_bitcmp1_b32 s9, 0
	v_mov_b32_e32 v3, s1
	v_mov_b32_e32 v2, s0
	s_cselect_b32 s7, -1, 0
	s_and_b32 vcc_lo, exec_lo, s7
	s_xor_b32 s7, s7, -1
	s_cbranch_vccnz .LBB160_2
; %bb.1:
	v_mov_b32_e32 v2, s1
	v_mov_b32_e32 v1, s0
	flat_load_dwordx2 v[2:3], v[1:2]
.LBB160_2:
	v_mov_b32_e32 v8, s10
	v_mov_b32_e32 v9, s11
	s_andn2_b32 vcc_lo, exec_lo, s7
	s_cbranch_vccnz .LBB160_4
; %bb.3:
	v_mov_b32_e32 v4, s10
	v_mov_b32_e32 v5, s11
	flat_load_dwordx2 v[8:9], v[4:5]
.LBB160_4:
	s_waitcnt vmcnt(0) lgkmcnt(0)
	v_cmp_neq_f64_e32 vcc_lo, 0, v[2:3]
	v_cmp_neq_f64_e64 s0, 1.0, v[8:9]
	s_or_b32 s0, vcc_lo, s0
	s_and_saveexec_b32 s1, s0
	s_cbranch_execz .LBB160_10
; %bb.5:
	s_load_dwordx2 s[0:1], s[4:5], 0x20
	v_lshrrev_b32_e32 v1, 2, v0
	v_mov_b32_e32 v7, 0
	v_lshl_or_b32 v6, s6, 5, v1
	s_waitcnt lgkmcnt(0)
	s_cmp_lg_u64 s[0:1], 0
	s_cbranch_scc0 .LBB160_11
; %bb.6:
	v_cmp_gt_i64_e32 vcc_lo, s[2:3], v[6:7]
	s_mov_b32 s3, 0
	s_mov_b32 s2, 0
                                        ; implicit-def: $vgpr10_vgpr11
                                        ; implicit-def: $vgpr4_vgpr5
	s_and_saveexec_b32 s6, vcc_lo
	s_xor_b32 s6, exec_lo, s6
	s_cbranch_execz .LBB160_8
; %bb.7:
	v_lshlrev_b64 v[4:5], 3, v[6:7]
	s_mov_b32 s9, 0
	s_mov_b32 s2, exec_lo
	v_add_co_u32 v4, vcc_lo, s0, v4
	v_add_co_ci_u32_e64 v5, null, s1, v5, vcc_lo
	global_load_dwordx2 v[4:5], v[4:5], off
	s_waitcnt vmcnt(0)
	v_sub_co_u32 v10, vcc_lo, v4, s8
	v_subrev_co_ci_u32_e64 v11, null, 0, v5, vcc_lo
	v_mov_b32_e32 v4, s8
	v_mov_b32_e32 v5, s9
.LBB160_8:
	s_or_b32 exec_lo, exec_lo, s6
	s_and_b32 vcc_lo, exec_lo, s3
	s_cbranch_vccnz .LBB160_12
.LBB160_9:
	s_and_b32 exec_lo, exec_lo, s2
	s_cbranch_execnz .LBB160_15
.LBB160_10:
	s_endpgm
.LBB160_11:
	s_mov_b32 s2, 0
                                        ; implicit-def: $vgpr10_vgpr11
                                        ; implicit-def: $vgpr4_vgpr5
	s_cbranch_execz .LBB160_9
.LBB160_12:
	s_load_dwordx2 s[0:1], s[4:5], 0x0
	s_waitcnt lgkmcnt(0)
	v_cmp_gt_i64_e32 vcc_lo, s[0:1], v[6:7]
	s_and_saveexec_b32 s0, vcc_lo
; %bb.13:
	s_mov_b32 s9, 0
	s_or_b32 s2, s2, exec_lo
; %bb.14:
	s_or_b32 exec_lo, exec_lo, s0
	v_mov_b32_e32 v4, s8
	v_mov_b32_e32 v11, v7
	;; [unrolled: 1-line block ×4, first 2 shown]
	s_and_b32 exec_lo, exec_lo, s2
	s_cbranch_execz .LBB160_10
.LBB160_15:
	s_load_dwordx8 s[8:15], s[4:5], 0x28
	v_lshlrev_b64 v[6:7], 3, v[10:11]
	v_and_b32_e32 v34, 3, v0
	s_clause 0x1
	s_load_dword s1, s[4:5], 0x8
	s_load_dwordx2 s[2:3], s[4:5], 0x48
	s_waitcnt lgkmcnt(0)
	v_add_co_u32 v12, vcc_lo, s8, v6
	v_add_co_ci_u32_e64 v13, null, s9, v7, vcc_lo
	v_add_co_u32 v1, vcc_lo, s10, v6
	v_add_co_ci_u32_e64 v6, null, s11, v7, vcc_lo
	v_add_co_u32 v14, vcc_lo, v12, 8
	global_load_dwordx2 v[22:23], v[12:13], off
	v_add_co_ci_u32_e64 v7, null, 0, v13, vcc_lo
	s_cmp_eq_u64 s[10:11], 0
	s_cselect_b32 vcc_lo, -1, 0
	s_cmp_eq_u32 s1, 1
	v_cndmask_b32_e32 v7, v6, v7, vcc_lo
	v_cndmask_b32_e32 v6, v1, v14, vcc_lo
	global_load_dwordx2 v[6:7], v[6:7], off
	s_waitcnt vmcnt(1)
	v_sub_co_u32 v0, vcc_lo, v22, v4
	v_sub_co_ci_u32_e64 v1, null, v23, v5, vcc_lo
	v_add_co_u32 v0, vcc_lo, v0, v34
	v_add_co_ci_u32_e64 v1, null, 0, v1, vcc_lo
	v_lshlrev_b64 v[12:13], 6, v[0:1]
	s_waitcnt vmcnt(0)
	v_sub_co_u32 v6, vcc_lo, v6, v4
	v_sub_co_ci_u32_e64 v7, null, v7, v5, vcc_lo
	v_add_co_u32 v12, vcc_lo, s14, v12
	v_cmp_lt_i64_e64 s0, v[0:1], v[6:7]
	v_add_co_ci_u32_e64 v13, null, s15, v13, vcc_lo
	s_cbranch_scc1 .LBB160_27
; %bb.16:
	v_mov_b32_e32 v14, 0
	v_mov_b32_e32 v16, 0
	;; [unrolled: 1-line block ×8, first 2 shown]
	s_and_saveexec_b32 s6, s0
	s_cbranch_execz .LBB160_26
; %bb.17:
	v_or_b32_e32 v14, 4, v34
	v_not_b32_e32 v17, v22
	v_sub_co_u32 v18, s1, v4, v34
	v_not_b32_e32 v16, v23
	v_sub_co_u32 v14, vcc_lo, v14, v4
	v_sub_co_ci_u32_e64 v15, null, 0, v5, vcc_lo
	v_subrev_co_ci_u32_e64 v19, null, 0, v5, s1
	v_add_co_u32 v14, vcc_lo, v14, v22
	v_add_co_ci_u32_e64 v15, null, v15, v23, vcc_lo
	v_mov_b32_e32 v25, 0
	v_mov_b32_e32 v20, 0
	;; [unrolled: 1-line block ×3, first 2 shown]
	v_cmp_gt_i64_e32 vcc_lo, v[14:15], v[6:7]
	v_mov_b32_e32 v21, 0
	v_mov_b32_e32 v26, v0
	v_cndmask_b32_e32 v15, v7, v15, vcc_lo
	v_cndmask_b32_e32 v14, v6, v14, vcc_lo
	v_add_co_u32 v17, vcc_lo, v18, v17
	v_add_co_ci_u32_e64 v16, null, v19, v16, vcc_lo
	v_mov_b32_e32 v18, 0
	v_add_co_u32 v28, vcc_lo, v17, v14
	v_add_co_ci_u32_e64 v29, null, v16, v15, vcc_lo
	v_mov_b32_e32 v16, 0
	v_and_b32_e32 v24, 12, v28
	v_mov_b32_e32 v14, 0
	v_mov_b32_e32 v19, 0
	;; [unrolled: 1-line block ×4, first 2 shown]
	v_cmp_ne_u64_e32 vcc_lo, 12, v[24:25]
	v_mov_b32_e32 v25, v13
	v_mov_b32_e32 v24, v12
	s_and_saveexec_b32 s7, vcc_lo
	s_cbranch_execz .LBB160_21
; %bb.18:
	v_lshrrev_b32_e32 v14, 2, v28
	v_lshlrev_b64 v[20:21], 3, v[0:1]
	v_mov_b32_e32 v25, v13
	v_mov_b32_e32 v16, 0
	;; [unrolled: 1-line block ×3, first 2 shown]
	v_add_nc_u32_e32 v26, 1, v14
	v_mov_b32_e32 v14, 0
	v_add_co_u32 v30, vcc_lo, s12, v20
	v_add_co_ci_u32_e64 v31, null, s13, v21, vcc_lo
	v_and_b32_e32 v26, 3, v26
	v_mov_b32_e32 v20, 0
	v_mov_b32_e32 v15, 0
	;; [unrolled: 1-line block ×4, first 2 shown]
	v_sub_co_u32 v32, s1, 0, v26
	v_mov_b32_e32 v27, v1
	v_mov_b32_e32 v19, 0
	v_sub_co_ci_u32_e64 v33, null, 0, 0, s1
	v_mov_b32_e32 v21, 0
	v_mov_b32_e32 v26, v0
	s_mov_b32 s8, 0
.LBB160_19:                             ; =>This Inner Loop Header: Depth=1
	global_load_dwordx2 v[51:52], v[30:31], off
	s_clause 0x3
	global_load_dwordx4 v[35:38], v[24:25], off offset:48
	global_load_dwordx4 v[39:42], v[24:25], off offset:32
	;; [unrolled: 1-line block ×3, first 2 shown]
	global_load_dwordx4 v[47:50], v[24:25], off
	v_add_co_u32 v30, s1, v30, 32
	v_add_co_ci_u32_e64 v31, null, 0, v31, s1
	s_waitcnt vmcnt(4)
	v_sub_co_u32 v51, vcc_lo, v51, v4
	v_sub_co_ci_u32_e64 v52, null, v52, v5, vcc_lo
	s_waitcnt vmcnt(0)
	v_cvt_f64_f32_e32 v[59:60], v47
	v_cvt_f64_f32_e32 v[61:62], v43
	;; [unrolled: 1-line block ×3, first 2 shown]
	v_lshlrev_b64 v[51:52], 5, v[51:52]
	v_cvt_f64_f32_e32 v[65:66], v35
	v_cvt_f64_f32_e32 v[47:48], v48
	;; [unrolled: 1-line block ×5, first 2 shown]
	v_add_co_u32 v55, vcc_lo, s2, v51
	v_add_co_ci_u32_e64 v56, null, s3, v52, vcc_lo
	v_add_co_u32 v24, vcc_lo, 0x100, v24
	v_add_co_ci_u32_e64 v25, null, 0, v25, vcc_lo
	s_clause 0x1
	global_load_dwordx4 v[51:54], v[55:56], off
	global_load_dwordx4 v[55:58], v[55:56], off offset:16
	v_add_co_u32 v32, vcc_lo, v32, 1
	v_add_co_ci_u32_e64 v33, null, 0, v33, vcc_lo
	v_add_co_u32 v26, vcc_lo, v26, 4
	v_add_co_ci_u32_e64 v27, null, 0, v27, vcc_lo
	v_cmp_eq_u64_e32 vcc_lo, 0, v[32:33]
	s_or_b32 s8, vcc_lo, s8
	s_waitcnt vmcnt(1)
	v_fma_f64 v[20:21], v[59:60], v[51:52], v[20:21]
	v_fma_f64 v[18:19], v[61:62], v[51:52], v[18:19]
	;; [unrolled: 1-line block ×4, first 2 shown]
	v_cvt_f64_f32_e32 v[51:52], v49
	v_cvt_f64_f32_e32 v[59:60], v45
	;; [unrolled: 1-line block ×6, first 2 shown]
	v_fma_f64 v[20:21], v[47:48], v[53:54], v[20:21]
	v_fma_f64 v[18:19], v[43:44], v[53:54], v[18:19]
	;; [unrolled: 1-line block ×4, first 2 shown]
	v_cvt_f64_f32_e32 v[35:36], v50
	v_cvt_f64_f32_e32 v[39:40], v46
	s_waitcnt vmcnt(0)
	v_fma_f64 v[20:21], v[51:52], v[55:56], v[20:21]
	v_fma_f64 v[18:19], v[59:60], v[55:56], v[18:19]
	;; [unrolled: 1-line block ×8, first 2 shown]
	s_andn2_b32 exec_lo, exec_lo, s8
	s_cbranch_execnz .LBB160_19
; %bb.20:
	s_or_b32 exec_lo, exec_lo, s8
.LBB160_21:
	s_or_b32 exec_lo, exec_lo, s7
	s_mov_b32 s7, exec_lo
	v_cmpx_lt_u64_e32 11, v[28:29]
	s_cbranch_execz .LBB160_25
; %bb.22:
	v_lshlrev_b64 v[28:29], 3, v[26:27]
	s_mov_b32 s8, 0
	v_add_co_u32 v28, vcc_lo, s12, v28
	v_add_co_ci_u32_e64 v29, null, s13, v29, vcc_lo
	v_add_co_u32 v28, vcc_lo, v28, 64
	v_add_co_ci_u32_e64 v29, null, 0, v29, vcc_lo
.LBB160_23:                             ; =>This Inner Loop Header: Depth=1
	s_clause 0x3
	global_load_dwordx2 v[47:48], v[28:29], off offset:-64
	global_load_dwordx2 v[71:72], v[28:29], off offset:-32
	global_load_dwordx2 v[95:96], v[28:29], off
	global_load_dwordx2 v[119:120], v[28:29], off offset:32
	s_clause 0x3
	global_load_dwordx4 v[30:33], v[24:25], off
	global_load_dwordx4 v[35:38], v[24:25], off offset:16
	global_load_dwordx4 v[39:42], v[24:25], off offset:32
	;; [unrolled: 1-line block ×3, first 2 shown]
	v_add_co_u32 v28, s1, 0x80, v28
	v_add_co_ci_u32_e64 v29, null, 0, v29, s1
	s_waitcnt vmcnt(7)
	v_sub_co_u32 v47, vcc_lo, v47, v4
	v_sub_co_ci_u32_e64 v48, null, v48, v5, vcc_lo
	s_waitcnt vmcnt(3)
	v_cvt_f64_f32_e32 v[127:128], v30
	s_waitcnt vmcnt(2)
	v_cvt_f64_f32_e32 v[129:130], v35
	;; [unrolled: 2-line block ×3, first 2 shown]
	v_lshlrev_b64 v[47:48], 5, v[47:48]
	s_waitcnt vmcnt(0)
	v_cvt_f64_f32_e32 v[133:134], v43
	v_cvt_f64_f32_e32 v[30:31], v31
	;; [unrolled: 1-line block ×5, first 2 shown]
	v_add_co_u32 v51, vcc_lo, s2, v47
	v_add_co_ci_u32_e64 v52, null, s3, v48, vcc_lo
	v_sub_co_u32 v71, vcc_lo, v71, v4
	v_sub_co_ci_u32_e64 v72, null, v72, v5, vcc_lo
	s_clause 0x1
	global_load_dwordx4 v[47:50], v[51:52], off
	global_load_dwordx4 v[51:54], v[51:52], off offset:16
	s_clause 0x3
	global_load_dwordx4 v[55:58], v[24:25], off offset:256
	global_load_dwordx4 v[59:62], v[24:25], off offset:272
	;; [unrolled: 1-line block ×4, first 2 shown]
	v_lshlrev_b64 v[71:72], 5, v[71:72]
	v_add_co_u32 v75, vcc_lo, s2, v71
	v_add_co_ci_u32_e64 v76, null, s3, v72, vcc_lo
	v_sub_co_u32 v95, vcc_lo, v95, v4
	s_clause 0x1
	global_load_dwordx4 v[71:74], v[75:76], off
	global_load_dwordx4 v[75:78], v[75:76], off offset:16
	s_clause 0x3
	global_load_dwordx4 v[79:82], v[24:25], off offset:512
	global_load_dwordx4 v[83:86], v[24:25], off offset:528
	;; [unrolled: 1-line block ×4, first 2 shown]
	v_sub_co_ci_u32_e64 v96, null, v96, v5, vcc_lo
	v_lshlrev_b64 v[95:96], 5, v[95:96]
	v_add_co_u32 v99, vcc_lo, s2, v95
	v_add_co_ci_u32_e64 v100, null, s3, v96, vcc_lo
	s_clause 0x1
	global_load_dwordx4 v[95:98], v[99:100], off
	global_load_dwordx4 v[99:102], v[99:100], off offset:16
	s_clause 0x3
	global_load_dwordx4 v[103:106], v[24:25], off offset:768
	global_load_dwordx4 v[107:110], v[24:25], off offset:784
	;; [unrolled: 1-line block ×4, first 2 shown]
	v_sub_co_u32 v119, vcc_lo, v119, v4
	v_sub_co_ci_u32_e64 v120, null, v120, v5, vcc_lo
	v_lshlrev_b64 v[119:120], 5, v[119:120]
	v_add_co_u32 v123, vcc_lo, s2, v119
	v_add_co_ci_u32_e64 v124, null, s3, v120, vcc_lo
	v_add_co_u32 v26, vcc_lo, v26, 16
	v_add_co_ci_u32_e64 v27, null, 0, v27, vcc_lo
	s_clause 0x1
	global_load_dwordx4 v[119:122], v[123:124], off
	global_load_dwordx4 v[123:126], v[123:124], off offset:16
	v_add_co_u32 v24, vcc_lo, 0x400, v24
	v_add_co_ci_u32_e64 v25, null, 0, v25, vcc_lo
	v_cmp_ge_i64_e32 vcc_lo, v[26:27], v[6:7]
	s_or_b32 s8, vcc_lo, s8
	s_waitcnt vmcnt(19)
	v_fma_f64 v[20:21], v[127:128], v[47:48], v[20:21]
	v_fma_f64 v[18:19], v[129:130], v[47:48], v[18:19]
	;; [unrolled: 1-line block ×4, first 2 shown]
	v_cvt_f64_f32_e32 v[47:48], v32
	v_cvt_f64_f32_e32 v[32:33], v33
	v_fma_f64 v[20:21], v[30:31], v[49:50], v[20:21]
	v_cvt_f64_f32_e32 v[30:31], v37
	v_fma_f64 v[18:19], v[35:36], v[49:50], v[18:19]
	;; [unrolled: 2-line block ×4, first 2 shown]
	v_cvt_f64_f32_e32 v[37:38], v38
	v_cvt_f64_f32_e32 v[41:42], v42
	;; [unrolled: 1-line block ×3, first 2 shown]
	s_waitcnt vmcnt(14)
	v_cvt_f64_f32_e32 v[45:46], v67
	v_fma_f64 v[20:21], v[47:48], v[51:52], v[20:21]
	v_fma_f64 v[18:19], v[30:31], v[51:52], v[18:19]
	v_cvt_f64_f32_e32 v[30:31], v55
	v_fma_f64 v[16:17], v[35:36], v[51:52], v[16:17]
	v_cvt_f64_f32_e32 v[35:36], v59
	;; [unrolled: 2-line block ×7, first 2 shown]
	s_waitcnt vmcnt(13)
	v_fma_f64 v[20:21], v[30:31], v[71:72], v[20:21]
	v_cvt_f64_f32_e32 v[30:31], v57
	v_fma_f64 v[18:19], v[35:36], v[71:72], v[18:19]
	v_cvt_f64_f32_e32 v[35:36], v61
	;; [unrolled: 2-line block ×8, first 2 shown]
	s_waitcnt vmcnt(12)
	v_fma_f64 v[20:21], v[30:31], v[75:76], v[20:21]
	s_waitcnt vmcnt(11)
	v_cvt_f64_f32_e32 v[30:31], v79
	v_fma_f64 v[18:19], v[35:36], v[75:76], v[18:19]
	s_waitcnt vmcnt(10)
	v_cvt_f64_f32_e32 v[35:36], v83
	;; [unrolled: 3-line block ×4, first 2 shown]
	v_fma_f64 v[20:21], v[32:33], v[77:78], v[20:21]
	v_cvt_f64_f32_e32 v[32:33], v80
	v_fma_f64 v[18:19], v[37:38], v[77:78], v[18:19]
	v_cvt_f64_f32_e32 v[37:38], v84
	;; [unrolled: 2-line block ×4, first 2 shown]
	s_waitcnt vmcnt(7)
	v_fma_f64 v[20:21], v[30:31], v[95:96], v[20:21]
	v_cvt_f64_f32_e32 v[30:31], v81
	v_fma_f64 v[18:19], v[35:36], v[95:96], v[18:19]
	v_cvt_f64_f32_e32 v[35:36], v85
	;; [unrolled: 2-line block ×8, first 2 shown]
	s_waitcnt vmcnt(6)
	v_fma_f64 v[20:21], v[30:31], v[99:100], v[20:21]
	s_waitcnt vmcnt(5)
	v_cvt_f64_f32_e32 v[30:31], v103
	v_fma_f64 v[18:19], v[35:36], v[99:100], v[18:19]
	s_waitcnt vmcnt(4)
	v_cvt_f64_f32_e32 v[35:36], v107
	;; [unrolled: 3-line block ×4, first 2 shown]
	v_fma_f64 v[20:21], v[32:33], v[101:102], v[20:21]
	v_cvt_f64_f32_e32 v[32:33], v104
	v_fma_f64 v[18:19], v[37:38], v[101:102], v[18:19]
	v_cvt_f64_f32_e32 v[37:38], v108
	;; [unrolled: 2-line block ×4, first 2 shown]
	s_waitcnt vmcnt(1)
	v_fma_f64 v[20:21], v[30:31], v[119:120], v[20:21]
	v_cvt_f64_f32_e32 v[30:31], v105
	v_fma_f64 v[18:19], v[35:36], v[119:120], v[18:19]
	v_cvt_f64_f32_e32 v[35:36], v109
	;; [unrolled: 2-line block ×8, first 2 shown]
	s_waitcnt vmcnt(0)
	v_fma_f64 v[20:21], v[30:31], v[123:124], v[20:21]
	v_fma_f64 v[18:19], v[35:36], v[123:124], v[18:19]
	;; [unrolled: 1-line block ×8, first 2 shown]
	s_andn2_b32 exec_lo, exec_lo, s8
	s_cbranch_execnz .LBB160_23
; %bb.24:
	s_or_b32 exec_lo, exec_lo, s8
.LBB160_25:
	s_or_b32 exec_lo, exec_lo, s7
.LBB160_26:
	s_or_b32 exec_lo, exec_lo, s6
	s_cbranch_execz .LBB160_28
	s_branch .LBB160_39
.LBB160_27:
                                        ; implicit-def: $vgpr14_vgpr15
                                        ; implicit-def: $vgpr16_vgpr17
                                        ; implicit-def: $vgpr18_vgpr19
                                        ; implicit-def: $vgpr20_vgpr21
.LBB160_28:
	v_mov_b32_e32 v14, 0
	v_mov_b32_e32 v16, 0
	;; [unrolled: 1-line block ×8, first 2 shown]
	s_and_saveexec_b32 s1, s0
	s_cbranch_execz .LBB160_38
; %bb.29:
	v_or_b32_e32 v14, 4, v34
	v_not_b32_e32 v17, v22
	v_sub_co_u32 v18, s0, v4, v34
	v_not_b32_e32 v16, v23
	v_sub_co_u32 v14, vcc_lo, v14, v4
	v_sub_co_ci_u32_e64 v15, null, 0, v5, vcc_lo
	v_subrev_co_ci_u32_e64 v19, null, 0, v5, s0
	v_add_co_u32 v14, vcc_lo, v14, v22
	v_add_co_ci_u32_e64 v15, null, v15, v23, vcc_lo
	v_cmp_gt_i64_e32 vcc_lo, v[14:15], v[6:7]
	v_cndmask_b32_e32 v20, v7, v15, vcc_lo
	v_cndmask_b32_e32 v14, v6, v14, vcc_lo
	v_add_co_u32 v15, vcc_lo, v18, v17
	v_add_co_ci_u32_e64 v16, null, v19, v16, vcc_lo
	v_mov_b32_e32 v18, 0
	v_add_co_u32 v22, vcc_lo, v15, v14
	v_mov_b32_e32 v15, 0
	v_add_co_ci_u32_e64 v23, null, v16, v20, vcc_lo
	v_and_b32_e32 v14, 12, v22
	v_mov_b32_e32 v20, 0
	v_mov_b32_e32 v16, 0
	;; [unrolled: 1-line block ×4, first 2 shown]
	v_cmp_ne_u64_e32 vcc_lo, 12, v[14:15]
	v_mov_b32_e32 v14, 0
	v_mov_b32_e32 v17, 0
	;; [unrolled: 1-line block ×3, first 2 shown]
	s_and_saveexec_b32 s6, vcc_lo
	s_cbranch_execz .LBB160_33
; %bb.30:
	v_lshrrev_b32_e32 v14, 2, v22
	v_lshlrev_b64 v[24:25], 3, v[0:1]
	v_mov_b32_e32 v16, 0
	v_mov_b32_e32 v18, 0
	;; [unrolled: 1-line block ×3, first 2 shown]
	v_add_nc_u32_e32 v26, 1, v14
	v_mov_b32_e32 v14, 0
	v_add_co_u32 v24, vcc_lo, s12, v24
	v_mov_b32_e32 v15, 0
	v_and_b32_e32 v26, 3, v26
	v_mov_b32_e32 v17, 0
	v_mov_b32_e32 v19, 0
	;; [unrolled: 1-line block ×3, first 2 shown]
	v_add_co_ci_u32_e64 v25, null, s13, v25, vcc_lo
	v_sub_co_u32 v26, s0, 0, v26
	v_sub_co_ci_u32_e64 v27, null, 0, 0, s0
	s_mov_b32 s7, 0
.LBB160_31:                             ; =>This Inner Loop Header: Depth=1
	global_load_dwordx2 v[32:33], v[24:25], off
	s_clause 0x1
	global_load_dwordx4 v[28:31], v[12:13], off offset:16
	global_load_dwordx4 v[35:38], v[12:13], off
	v_add_co_u32 v24, s0, v24, 32
	v_add_co_ci_u32_e64 v25, null, 0, v25, s0
	s_waitcnt vmcnt(2)
	v_sub_co_u32 v32, vcc_lo, v32, v4
	v_sub_co_ci_u32_e64 v33, null, v33, v5, vcc_lo
	s_waitcnt vmcnt(0)
	v_cvt_f64_f32_e32 v[55:56], v37
	v_cvt_f64_f32_e32 v[37:38], v38
	v_cvt_f64_f32_e32 v[57:58], v28
	v_lshlrev_b64 v[32:33], 5, v[32:33]
	v_cvt_f64_f32_e32 v[28:29], v29
	v_cvt_f64_f32_e32 v[59:60], v30
	;; [unrolled: 1-line block ×3, first 2 shown]
	v_add_co_u32 v32, vcc_lo, s2, v32
	v_add_co_ci_u32_e64 v33, null, s3, v33, vcc_lo
	s_clause 0x1
	global_load_dwordx4 v[39:42], v[32:33], off
	global_load_dwordx4 v[43:46], v[32:33], off offset:16
	s_clause 0x1
	global_load_dwordx4 v[47:50], v[12:13], off offset:32
	global_load_dwordx4 v[51:54], v[12:13], off offset:48
	v_cvt_f64_f32_e32 v[32:33], v35
	v_cvt_f64_f32_e32 v[35:36], v36
	v_add_co_u32 v12, vcc_lo, 0x100, v12
	v_add_co_ci_u32_e64 v13, null, 0, v13, vcc_lo
	v_add_co_u32 v26, vcc_lo, v26, 1
	v_add_co_ci_u32_e64 v27, null, 0, v27, vcc_lo
	;; [unrolled: 2-line block ×3, first 2 shown]
	v_cmp_eq_u64_e32 vcc_lo, 0, v[26:27]
	s_or_b32 s7, vcc_lo, s7
	s_waitcnt vmcnt(3)
	v_fma_f64 v[20:21], v[32:33], v[39:40], v[20:21]
	v_fma_f64 v[18:19], v[35:36], v[39:40], v[18:19]
	;; [unrolled: 1-line block ×4, first 2 shown]
	s_waitcnt vmcnt(1)
	v_cvt_f64_f32_e32 v[32:33], v47
	v_cvt_f64_f32_e32 v[35:36], v48
	;; [unrolled: 1-line block ×4, first 2 shown]
	s_waitcnt vmcnt(0)
	v_cvt_f64_f32_e32 v[47:48], v54
	v_fma_f64 v[20:21], v[57:58], v[41:42], v[20:21]
	v_fma_f64 v[18:19], v[28:29], v[41:42], v[18:19]
	;; [unrolled: 1-line block ×4, first 2 shown]
	v_cvt_f64_f32_e32 v[28:29], v51
	v_cvt_f64_f32_e32 v[30:31], v52
	;; [unrolled: 1-line block ×3, first 2 shown]
	v_fma_f64 v[20:21], v[32:33], v[43:44], v[20:21]
	v_fma_f64 v[18:19], v[35:36], v[43:44], v[18:19]
	;; [unrolled: 1-line block ×8, first 2 shown]
	s_andn2_b32 exec_lo, exec_lo, s7
	s_cbranch_execnz .LBB160_31
; %bb.32:
	s_or_b32 exec_lo, exec_lo, s7
.LBB160_33:
	s_or_b32 exec_lo, exec_lo, s6
	s_mov_b32 s6, exec_lo
	v_cmpx_lt_u64_e32 11, v[22:23]
	s_cbranch_execz .LBB160_37
; %bb.34:
	v_lshlrev_b64 v[22:23], 3, v[0:1]
	s_mov_b32 s7, 0
	v_add_co_u32 v22, vcc_lo, s12, v22
	v_add_co_ci_u32_e64 v23, null, s13, v23, vcc_lo
	v_add_co_u32 v22, vcc_lo, v22, 64
	v_add_co_ci_u32_e64 v23, null, 0, v23, vcc_lo
.LBB160_35:                             ; =>This Inner Loop Header: Depth=1
	s_clause 0x2
	global_load_dwordx2 v[32:33], v[22:23], off offset:-64
	global_load_dwordx2 v[55:56], v[22:23], off offset:-32
	global_load_dwordx2 v[79:80], v[22:23], off
	s_clause 0x1
	global_load_dwordx4 v[24:27], v[12:13], off
	global_load_dwordx4 v[28:31], v[12:13], off offset:16
	global_load_dwordx2 v[95:96], v[22:23], off offset:32
	s_clause 0x1
	global_load_dwordx4 v[35:38], v[12:13], off offset:32
	global_load_dwordx4 v[39:42], v[12:13], off offset:48
	v_add_co_u32 v22, s0, 0x80, v22
	v_add_co_ci_u32_e64 v23, null, 0, v23, s0
	s_waitcnt vmcnt(7)
	v_sub_co_u32 v32, vcc_lo, v32, v4
	v_sub_co_ci_u32_e64 v33, null, v33, v5, vcc_lo
	s_waitcnt vmcnt(4)
	v_cvt_f64_f32_e32 v[97:98], v24
	v_cvt_f64_f32_e32 v[99:100], v25
	;; [unrolled: 1-line block ×3, first 2 shown]
	v_lshlrev_b64 v[32:33], 5, v[32:33]
	v_cvt_f64_f32_e32 v[103:104], v27
	s_waitcnt vmcnt(3)
	v_cvt_f64_f32_e32 v[105:106], v28
	v_cvt_f64_f32_e32 v[107:108], v29
	;; [unrolled: 1-line block ×4, first 2 shown]
	v_add_co_u32 v32, vcc_lo, s2, v32
	v_add_co_ci_u32_e64 v33, null, s3, v33, vcc_lo
	s_waitcnt vmcnt(1)
	v_cvt_f64_f32_e32 v[113:114], v37
	v_cvt_f64_f32_e32 v[115:116], v38
	s_clause 0x1
	global_load_dwordx4 v[43:46], v[32:33], off
	global_load_dwordx4 v[47:50], v[32:33], off offset:16
	global_load_dwordx4 v[51:54], v[12:13], off offset:256
	v_sub_co_u32 v32, vcc_lo, v55, v4
	v_sub_co_ci_u32_e64 v33, null, v56, v5, vcc_lo
	v_lshlrev_b64 v[32:33], 5, v[32:33]
	v_add_co_u32 v32, vcc_lo, s2, v32
	v_add_co_ci_u32_e64 v33, null, s3, v33, vcc_lo
	global_load_dwordx4 v[55:58], v[12:13], off offset:272
	global_load_dwordx4 v[59:62], v[32:33], off
	s_clause 0x1
	global_load_dwordx4 v[63:66], v[12:13], off offset:288
	global_load_dwordx4 v[67:70], v[12:13], off offset:304
	;; [unrolled: 1-line block ×4, first 2 shown]
	v_sub_co_u32 v32, vcc_lo, v79, v4
	v_sub_co_ci_u32_e64 v33, null, v80, v5, vcc_lo
	v_lshlrev_b64 v[32:33], 5, v[32:33]
	v_add_co_u32 v32, vcc_lo, s2, v32
	v_add_co_ci_u32_e64 v33, null, s3, v33, vcc_lo
	global_load_dwordx4 v[79:82], v[12:13], off offset:528
	global_load_dwordx4 v[83:86], v[32:33], off
	s_clause 0x1
	global_load_dwordx4 v[87:90], v[12:13], off offset:544
	global_load_dwordx4 v[91:94], v[12:13], off offset:560
	;; [unrolled: 1-line block ×3, first 2 shown]
	v_sub_co_u32 v28, vcc_lo, v95, v4
	v_sub_co_ci_u32_e64 v29, null, v96, v5, vcc_lo
	v_cvt_f64_f32_e32 v[32:33], v35
	v_cvt_f64_f32_e32 v[95:96], v36
	v_lshlrev_b64 v[28:29], 5, v[28:29]
	v_add_co_u32 v117, vcc_lo, s2, v28
	v_add_co_ci_u32_e64 v118, null, s3, v29, vcc_lo
	global_load_dwordx4 v[28:31], v[12:13], off offset:768
	v_add_co_u32 v0, vcc_lo, v0, 16
	v_add_co_ci_u32_e64 v1, null, 0, v1, vcc_lo
	s_waitcnt vmcnt(14)
	v_fma_f64 v[35:36], v[97:98], v[43:44], v[20:21]
	v_fma_f64 v[37:38], v[99:100], v[43:44], v[18:19]
	global_load_dwordx4 v[18:21], v[12:13], off offset:784
	v_fma_f64 v[97:98], v[101:102], v[43:44], v[16:17]
	v_fma_f64 v[43:44], v[103:104], v[43:44], v[14:15]
	global_load_dwordx4 v[14:17], v[117:118], off
	v_cvt_f64_f32_e32 v[103:104], v39
	v_fma_f64 v[99:100], v[105:106], v[45:46], v[35:36]
	v_fma_f64 v[101:102], v[107:108], v[45:46], v[37:38]
	global_load_dwordx4 v[35:38], v[12:13], off offset:800
	v_fma_f64 v[97:98], v[109:110], v[45:46], v[97:98]
	v_fma_f64 v[105:106], v[111:112], v[45:46], v[43:44]
	v_cvt_f64_f32_e32 v[107:108], v40
	v_cvt_f64_f32_e32 v[109:110], v41
	;; [unrolled: 1-line block ×3, first 2 shown]
	global_load_dwordx4 v[39:42], v[12:13], off offset:816
	global_load_dwordx4 v[43:46], v[117:118], off offset:16
	v_add_co_u32 v12, vcc_lo, 0x400, v12
	v_add_co_ci_u32_e64 v13, null, 0, v13, vcc_lo
	v_cmp_ge_i64_e32 vcc_lo, v[0:1], v[6:7]
	s_or_b32 s7, vcc_lo, s7
	s_waitcnt vmcnt(18)
	v_fma_f64 v[32:33], v[32:33], v[47:48], v[99:100]
	v_fma_f64 v[95:96], v[95:96], v[47:48], v[101:102]
	s_waitcnt vmcnt(17)
	v_cvt_f64_f32_e32 v[99:100], v51
	v_fma_f64 v[97:98], v[113:114], v[47:48], v[97:98]
	v_fma_f64 v[47:48], v[115:116], v[47:48], v[105:106]
	v_cvt_f64_f32_e32 v[51:52], v52
	v_cvt_f64_f32_e32 v[101:102], v53
	;; [unrolled: 1-line block ×3, first 2 shown]
	v_fma_f64 v[32:33], v[103:104], v[49:50], v[32:33]
	v_fma_f64 v[95:96], v[107:108], v[49:50], v[95:96]
	s_waitcnt vmcnt(16)
	v_cvt_f64_f32_e32 v[103:104], v57
	v_fma_f64 v[97:98], v[109:110], v[49:50], v[97:98]
	v_fma_f64 v[47:48], v[111:112], v[49:50], v[47:48]
	v_cvt_f64_f32_e32 v[49:50], v55
	v_cvt_f64_f32_e32 v[55:56], v56
	;; [unrolled: 1-line block ×3, first 2 shown]
	s_waitcnt vmcnt(15)
	v_fma_f64 v[32:33], v[99:100], v[59:60], v[32:33]
	v_fma_f64 v[51:52], v[51:52], v[59:60], v[95:96]
	;; [unrolled: 1-line block ×4, first 2 shown]
	s_waitcnt vmcnt(14)
	v_cvt_f64_f32_e32 v[53:54], v63
	v_cvt_f64_f32_e32 v[59:60], v64
	;; [unrolled: 1-line block ×4, first 2 shown]
	v_fma_f64 v[32:33], v[49:50], v[61:62], v[32:33]
	v_fma_f64 v[49:50], v[55:56], v[61:62], v[51:52]
	s_waitcnt vmcnt(13)
	v_cvt_f64_f32_e32 v[55:56], v67
	v_fma_f64 v[51:52], v[103:104], v[61:62], v[95:96]
	v_fma_f64 v[47:48], v[57:58], v[61:62], v[47:48]
	v_cvt_f64_f32_e32 v[57:58], v68
	v_cvt_f64_f32_e32 v[61:62], v69
	v_cvt_f64_f32_e32 v[67:68], v70
	s_waitcnt vmcnt(12)
	v_fma_f64 v[32:33], v[53:54], v[71:72], v[32:33]
	v_fma_f64 v[49:50], v[59:60], v[71:72], v[49:50]
	s_waitcnt vmcnt(11)
	v_cvt_f64_f32_e32 v[53:54], v75
	v_fma_f64 v[51:52], v[63:64], v[71:72], v[51:52]
	v_fma_f64 v[47:48], v[65:66], v[71:72], v[47:48]
	v_cvt_f64_f32_e32 v[59:60], v76
	v_cvt_f64_f32_e32 v[63:64], v77
	v_cvt_f64_f32_e32 v[65:66], v78
	v_fma_f64 v[32:33], v[55:56], v[73:74], v[32:33]
	v_fma_f64 v[49:50], v[57:58], v[73:74], v[49:50]
	s_waitcnt vmcnt(10)
	v_cvt_f64_f32_e32 v[55:56], v79
	v_fma_f64 v[51:52], v[61:62], v[73:74], v[51:52]
	v_fma_f64 v[47:48], v[67:68], v[73:74], v[47:48]
	v_cvt_f64_f32_e32 v[57:58], v80
	v_cvt_f64_f32_e32 v[61:62], v81
	v_cvt_f64_f32_e32 v[67:68], v82
	s_waitcnt vmcnt(9)
	v_fma_f64 v[32:33], v[53:54], v[83:84], v[32:33]
	v_fma_f64 v[49:50], v[59:60], v[83:84], v[49:50]
	s_waitcnt vmcnt(8)
	v_cvt_f64_f32_e32 v[53:54], v87
	v_fma_f64 v[51:52], v[63:64], v[83:84], v[51:52]
	v_fma_f64 v[47:48], v[65:66], v[83:84], v[47:48]
	v_cvt_f64_f32_e32 v[59:60], v88
	v_cvt_f64_f32_e32 v[63:64], v89
	v_cvt_f64_f32_e32 v[65:66], v90
	v_fma_f64 v[32:33], v[55:56], v[85:86], v[32:33]
	v_fma_f64 v[49:50], v[57:58], v[85:86], v[49:50]
	s_waitcnt vmcnt(7)
	v_cvt_f64_f32_e32 v[55:56], v91
	v_fma_f64 v[51:52], v[61:62], v[85:86], v[51:52]
	v_fma_f64 v[47:48], v[67:68], v[85:86], v[47:48]
	v_cvt_f64_f32_e32 v[57:58], v92
	v_cvt_f64_f32_e32 v[61:62], v93
	v_cvt_f64_f32_e32 v[67:68], v94
	s_waitcnt vmcnt(6)
	v_fma_f64 v[32:33], v[53:54], v[24:25], v[32:33]
	v_fma_f64 v[49:50], v[59:60], v[24:25], v[49:50]
	s_waitcnt vmcnt(5)
	v_cvt_f64_f32_e32 v[53:54], v30
	v_fma_f64 v[51:52], v[63:64], v[24:25], v[51:52]
	v_fma_f64 v[24:25], v[65:66], v[24:25], v[47:48]
	v_cvt_f64_f32_e32 v[47:48], v28
	v_cvt_f64_f32_e32 v[28:29], v29
	v_cvt_f64_f32_e32 v[30:31], v31
	v_fma_f64 v[32:33], v[55:56], v[26:27], v[32:33]
	v_fma_f64 v[49:50], v[57:58], v[26:27], v[49:50]
	;; [unrolled: 1-line block ×4, first 2 shown]
	s_waitcnt vmcnt(4)
	v_cvt_f64_f32_e32 v[26:27], v18
	v_cvt_f64_f32_e32 v[18:19], v19
	;; [unrolled: 1-line block ×4, first 2 shown]
	s_waitcnt vmcnt(3)
	v_fma_f64 v[32:33], v[47:48], v[14:15], v[32:33]
	v_fma_f64 v[28:29], v[28:29], v[14:15], v[49:50]
	;; [unrolled: 1-line block ×4, first 2 shown]
	s_waitcnt vmcnt(2)
	v_cvt_f64_f32_e32 v[24:25], v35
	v_cvt_f64_f32_e32 v[30:31], v36
	;; [unrolled: 1-line block ×4, first 2 shown]
	v_fma_f64 v[26:27], v[26:27], v[16:17], v[32:33]
	v_fma_f64 v[18:19], v[18:19], v[16:17], v[28:29]
	;; [unrolled: 1-line block ×4, first 2 shown]
	s_waitcnt vmcnt(1)
	v_cvt_f64_f32_e32 v[16:17], v39
	v_cvt_f64_f32_e32 v[32:33], v40
	;; [unrolled: 1-line block ×4, first 2 shown]
	s_waitcnt vmcnt(0)
	v_fma_f64 v[20:21], v[24:25], v[43:44], v[26:27]
	v_fma_f64 v[18:19], v[30:31], v[43:44], v[18:19]
	v_fma_f64 v[24:25], v[35:36], v[43:44], v[28:29]
	v_fma_f64 v[14:15], v[37:38], v[43:44], v[14:15]
	v_fma_f64 v[20:21], v[16:17], v[45:46], v[20:21]
	v_fma_f64 v[18:19], v[32:33], v[45:46], v[18:19]
	v_fma_f64 v[16:17], v[39:40], v[45:46], v[24:25]
	v_fma_f64 v[14:15], v[41:42], v[45:46], v[14:15]
	s_andn2_b32 exec_lo, exec_lo, s7
	s_cbranch_execnz .LBB160_35
; %bb.36:
	s_or_b32 exec_lo, exec_lo, s7
.LBB160_37:
	s_or_b32 exec_lo, exec_lo, s6
.LBB160_38:
	s_or_b32 exec_lo, exec_lo, s1
.LBB160_39:
	v_mbcnt_lo_u32_b32 v26, -1, 0
	v_xor_b32_e32 v0, 2, v26
	v_cmp_gt_i32_e32 vcc_lo, 32, v0
	v_cndmask_b32_e32 v0, v26, v0, vcc_lo
	v_lshlrev_b32_e32 v6, 2, v0
	ds_bpermute_b32 v0, v6, v20
	ds_bpermute_b32 v1, v6, v21
	;; [unrolled: 1-line block ×8, first 2 shown]
	s_waitcnt lgkmcnt(6)
	v_add_f64 v[12:13], v[20:21], v[0:1]
	s_waitcnt lgkmcnt(4)
	v_add_f64 v[6:7], v[18:19], v[4:5]
	;; [unrolled: 2-line block ×4, first 2 shown]
	v_xor_b32_e32 v14, 1, v26
	v_cmp_gt_i32_e32 vcc_lo, 32, v14
	v_cndmask_b32_e32 v14, v26, v14, vcc_lo
	v_cmp_eq_u32_e32 vcc_lo, 3, v34
	v_lshlrev_b32_e32 v15, 2, v14
	ds_bpermute_b32 v20, v15, v12
	ds_bpermute_b32 v21, v15, v13
	;; [unrolled: 1-line block ×8, first 2 shown]
	s_and_b32 exec_lo, exec_lo, vcc_lo
	s_cbranch_execz .LBB160_10
; %bb.40:
	s_waitcnt lgkmcnt(6)
	v_add_f64 v[12:13], v[12:13], v[20:21]
	s_waitcnt lgkmcnt(4)
	v_add_f64 v[6:7], v[6:7], v[18:19]
	;; [unrolled: 2-line block ×4, first 2 shown]
	s_load_dwordx2 s[0:1], s[4:5], 0x58
	v_lshlrev_b64 v[10:11], 5, v[10:11]
	s_mov_b32 s2, exec_lo
	v_mul_f64 v[4:5], v[2:3], v[12:13]
	v_mul_f64 v[6:7], v[2:3], v[6:7]
	;; [unrolled: 1-line block ×4, first 2 shown]
	v_cmpx_eq_f64_e32 0, v[8:9]
	s_xor_b32 s2, exec_lo, s2
	s_cbranch_execz .LBB160_42
; %bb.41:
	s_waitcnt lgkmcnt(0)
	v_add_co_u32 v8, vcc_lo, s0, v10
	v_add_co_ci_u32_e64 v9, null, s1, v11, vcc_lo
                                        ; implicit-def: $vgpr10_vgpr11
	global_store_dwordx4 v[8:9], v[4:7], off
	global_store_dwordx4 v[8:9], v[0:3], off offset:16
                                        ; implicit-def: $vgpr8_vgpr9
                                        ; implicit-def: $vgpr4_vgpr5
                                        ; implicit-def: $vgpr0_vgpr1
.LBB160_42:
	s_andn2_saveexec_b32 s2, s2
	s_cbranch_execz .LBB160_10
; %bb.43:
	s_waitcnt lgkmcnt(0)
	v_add_co_u32 v18, vcc_lo, s0, v10
	v_add_co_ci_u32_e64 v19, null, s1, v11, vcc_lo
	s_clause 0x1
	global_load_dwordx4 v[10:13], v[18:19], off
	global_load_dwordx4 v[14:17], v[18:19], off offset:16
	s_waitcnt vmcnt(1)
	v_fma_f64 v[4:5], v[8:9], v[10:11], v[4:5]
	v_fma_f64 v[6:7], v[8:9], v[12:13], v[6:7]
	s_waitcnt vmcnt(0)
	v_fma_f64 v[0:1], v[8:9], v[14:15], v[0:1]
	v_fma_f64 v[2:3], v[8:9], v[16:17], v[2:3]
	global_store_dwordx4 v[18:19], v[4:7], off
	global_store_dwordx4 v[18:19], v[0:3], off offset:16
	s_endpgm
	.section	.rodata,"a",@progbits
	.p2align	6, 0x0
	.amdhsa_kernel _ZN9rocsparseL18bsrxmvn_4x4_kernelILj128ELj4EdllfddEEvT3_20rocsparse_direction_NS_24const_host_device_scalarIT1_EES1_PKS1_PKT2_SA_S7_PKT4_PKT5_S5_PT6_21rocsparse_index_base_b
		.amdhsa_group_segment_fixed_size 0
		.amdhsa_private_segment_fixed_size 0
		.amdhsa_kernarg_size 104
		.amdhsa_user_sgpr_count 6
		.amdhsa_user_sgpr_private_segment_buffer 1
		.amdhsa_user_sgpr_dispatch_ptr 0
		.amdhsa_user_sgpr_queue_ptr 0
		.amdhsa_user_sgpr_kernarg_segment_ptr 1
		.amdhsa_user_sgpr_dispatch_id 0
		.amdhsa_user_sgpr_flat_scratch_init 0
		.amdhsa_user_sgpr_private_segment_size 0
		.amdhsa_wavefront_size32 1
		.amdhsa_uses_dynamic_stack 0
		.amdhsa_system_sgpr_private_segment_wavefront_offset 0
		.amdhsa_system_sgpr_workgroup_id_x 1
		.amdhsa_system_sgpr_workgroup_id_y 0
		.amdhsa_system_sgpr_workgroup_id_z 0
		.amdhsa_system_sgpr_workgroup_info 0
		.amdhsa_system_vgpr_workitem_id 0
		.amdhsa_next_free_vgpr 135
		.amdhsa_next_free_sgpr 16
		.amdhsa_reserve_vcc 1
		.amdhsa_reserve_flat_scratch 0
		.amdhsa_float_round_mode_32 0
		.amdhsa_float_round_mode_16_64 0
		.amdhsa_float_denorm_mode_32 3
		.amdhsa_float_denorm_mode_16_64 3
		.amdhsa_dx10_clamp 1
		.amdhsa_ieee_mode 1
		.amdhsa_fp16_overflow 0
		.amdhsa_workgroup_processor_mode 1
		.amdhsa_memory_ordered 1
		.amdhsa_forward_progress 1
		.amdhsa_shared_vgpr_count 0
		.amdhsa_exception_fp_ieee_invalid_op 0
		.amdhsa_exception_fp_denorm_src 0
		.amdhsa_exception_fp_ieee_div_zero 0
		.amdhsa_exception_fp_ieee_overflow 0
		.amdhsa_exception_fp_ieee_underflow 0
		.amdhsa_exception_fp_ieee_inexact 0
		.amdhsa_exception_int_div_zero 0
	.end_amdhsa_kernel
	.section	.text._ZN9rocsparseL18bsrxmvn_4x4_kernelILj128ELj4EdllfddEEvT3_20rocsparse_direction_NS_24const_host_device_scalarIT1_EES1_PKS1_PKT2_SA_S7_PKT4_PKT5_S5_PT6_21rocsparse_index_base_b,"axG",@progbits,_ZN9rocsparseL18bsrxmvn_4x4_kernelILj128ELj4EdllfddEEvT3_20rocsparse_direction_NS_24const_host_device_scalarIT1_EES1_PKS1_PKT2_SA_S7_PKT4_PKT5_S5_PT6_21rocsparse_index_base_b,comdat
.Lfunc_end160:
	.size	_ZN9rocsparseL18bsrxmvn_4x4_kernelILj128ELj4EdllfddEEvT3_20rocsparse_direction_NS_24const_host_device_scalarIT1_EES1_PKS1_PKT2_SA_S7_PKT4_PKT5_S5_PT6_21rocsparse_index_base_b, .Lfunc_end160-_ZN9rocsparseL18bsrxmvn_4x4_kernelILj128ELj4EdllfddEEvT3_20rocsparse_direction_NS_24const_host_device_scalarIT1_EES1_PKS1_PKT2_SA_S7_PKT4_PKT5_S5_PT6_21rocsparse_index_base_b
                                        ; -- End function
	.set _ZN9rocsparseL18bsrxmvn_4x4_kernelILj128ELj4EdllfddEEvT3_20rocsparse_direction_NS_24const_host_device_scalarIT1_EES1_PKS1_PKT2_SA_S7_PKT4_PKT5_S5_PT6_21rocsparse_index_base_b.num_vgpr, 135
	.set _ZN9rocsparseL18bsrxmvn_4x4_kernelILj128ELj4EdllfddEEvT3_20rocsparse_direction_NS_24const_host_device_scalarIT1_EES1_PKS1_PKT2_SA_S7_PKT4_PKT5_S5_PT6_21rocsparse_index_base_b.num_agpr, 0
	.set _ZN9rocsparseL18bsrxmvn_4x4_kernelILj128ELj4EdllfddEEvT3_20rocsparse_direction_NS_24const_host_device_scalarIT1_EES1_PKS1_PKT2_SA_S7_PKT4_PKT5_S5_PT6_21rocsparse_index_base_b.numbered_sgpr, 16
	.set _ZN9rocsparseL18bsrxmvn_4x4_kernelILj128ELj4EdllfddEEvT3_20rocsparse_direction_NS_24const_host_device_scalarIT1_EES1_PKS1_PKT2_SA_S7_PKT4_PKT5_S5_PT6_21rocsparse_index_base_b.num_named_barrier, 0
	.set _ZN9rocsparseL18bsrxmvn_4x4_kernelILj128ELj4EdllfddEEvT3_20rocsparse_direction_NS_24const_host_device_scalarIT1_EES1_PKS1_PKT2_SA_S7_PKT4_PKT5_S5_PT6_21rocsparse_index_base_b.private_seg_size, 0
	.set _ZN9rocsparseL18bsrxmvn_4x4_kernelILj128ELj4EdllfddEEvT3_20rocsparse_direction_NS_24const_host_device_scalarIT1_EES1_PKS1_PKT2_SA_S7_PKT4_PKT5_S5_PT6_21rocsparse_index_base_b.uses_vcc, 1
	.set _ZN9rocsparseL18bsrxmvn_4x4_kernelILj128ELj4EdllfddEEvT3_20rocsparse_direction_NS_24const_host_device_scalarIT1_EES1_PKS1_PKT2_SA_S7_PKT4_PKT5_S5_PT6_21rocsparse_index_base_b.uses_flat_scratch, 0
	.set _ZN9rocsparseL18bsrxmvn_4x4_kernelILj128ELj4EdllfddEEvT3_20rocsparse_direction_NS_24const_host_device_scalarIT1_EES1_PKS1_PKT2_SA_S7_PKT4_PKT5_S5_PT6_21rocsparse_index_base_b.has_dyn_sized_stack, 0
	.set _ZN9rocsparseL18bsrxmvn_4x4_kernelILj128ELj4EdllfddEEvT3_20rocsparse_direction_NS_24const_host_device_scalarIT1_EES1_PKS1_PKT2_SA_S7_PKT4_PKT5_S5_PT6_21rocsparse_index_base_b.has_recursion, 0
	.set _ZN9rocsparseL18bsrxmvn_4x4_kernelILj128ELj4EdllfddEEvT3_20rocsparse_direction_NS_24const_host_device_scalarIT1_EES1_PKS1_PKT2_SA_S7_PKT4_PKT5_S5_PT6_21rocsparse_index_base_b.has_indirect_call, 0
	.section	.AMDGPU.csdata,"",@progbits
; Kernel info:
; codeLenInByte = 5304
; TotalNumSgprs: 18
; NumVgprs: 135
; ScratchSize: 0
; MemoryBound: 0
; FloatMode: 240
; IeeeMode: 1
; LDSByteSize: 0 bytes/workgroup (compile time only)
; SGPRBlocks: 0
; VGPRBlocks: 16
; NumSGPRsForWavesPerEU: 18
; NumVGPRsForWavesPerEU: 135
; Occupancy: 7
; WaveLimiterHint : 1
; COMPUTE_PGM_RSRC2:SCRATCH_EN: 0
; COMPUTE_PGM_RSRC2:USER_SGPR: 6
; COMPUTE_PGM_RSRC2:TRAP_HANDLER: 0
; COMPUTE_PGM_RSRC2:TGID_X_EN: 1
; COMPUTE_PGM_RSRC2:TGID_Y_EN: 0
; COMPUTE_PGM_RSRC2:TGID_Z_EN: 0
; COMPUTE_PGM_RSRC2:TIDIG_COMP_CNT: 0
	.section	.text._ZN9rocsparseL18bsrxmvn_4x4_kernelILj128ELj8EdllfddEEvT3_20rocsparse_direction_NS_24const_host_device_scalarIT1_EES1_PKS1_PKT2_SA_S7_PKT4_PKT5_S5_PT6_21rocsparse_index_base_b,"axG",@progbits,_ZN9rocsparseL18bsrxmvn_4x4_kernelILj128ELj8EdllfddEEvT3_20rocsparse_direction_NS_24const_host_device_scalarIT1_EES1_PKS1_PKT2_SA_S7_PKT4_PKT5_S5_PT6_21rocsparse_index_base_b,comdat
	.globl	_ZN9rocsparseL18bsrxmvn_4x4_kernelILj128ELj8EdllfddEEvT3_20rocsparse_direction_NS_24const_host_device_scalarIT1_EES1_PKS1_PKT2_SA_S7_PKT4_PKT5_S5_PT6_21rocsparse_index_base_b ; -- Begin function _ZN9rocsparseL18bsrxmvn_4x4_kernelILj128ELj8EdllfddEEvT3_20rocsparse_direction_NS_24const_host_device_scalarIT1_EES1_PKS1_PKT2_SA_S7_PKT4_PKT5_S5_PT6_21rocsparse_index_base_b
	.p2align	8
	.type	_ZN9rocsparseL18bsrxmvn_4x4_kernelILj128ELj8EdllfddEEvT3_20rocsparse_direction_NS_24const_host_device_scalarIT1_EES1_PKS1_PKT2_SA_S7_PKT4_PKT5_S5_PT6_21rocsparse_index_base_b,@function
_ZN9rocsparseL18bsrxmvn_4x4_kernelILj128ELj8EdllfddEEvT3_20rocsparse_direction_NS_24const_host_device_scalarIT1_EES1_PKS1_PKT2_SA_S7_PKT4_PKT5_S5_PT6_21rocsparse_index_base_b: ; @_ZN9rocsparseL18bsrxmvn_4x4_kernelILj128ELj8EdllfddEEvT3_20rocsparse_direction_NS_24const_host_device_scalarIT1_EES1_PKS1_PKT2_SA_S7_PKT4_PKT5_S5_PT6_21rocsparse_index_base_b
; %bb.0:
	s_clause 0x2
	s_load_dwordx2 s[8:9], s[4:5], 0x60
	s_load_dwordx4 s[0:3], s[4:5], 0x10
	s_load_dwordx2 s[10:11], s[4:5], 0x50
	s_waitcnt lgkmcnt(0)
	s_bitcmp1_b32 s9, 0
	v_mov_b32_e32 v3, s1
	v_mov_b32_e32 v2, s0
	s_cselect_b32 s7, -1, 0
	s_and_b32 vcc_lo, exec_lo, s7
	s_xor_b32 s7, s7, -1
	s_cbranch_vccnz .LBB161_2
; %bb.1:
	v_mov_b32_e32 v2, s1
	v_mov_b32_e32 v1, s0
	flat_load_dwordx2 v[2:3], v[1:2]
.LBB161_2:
	v_mov_b32_e32 v8, s10
	v_mov_b32_e32 v9, s11
	s_andn2_b32 vcc_lo, exec_lo, s7
	s_cbranch_vccnz .LBB161_4
; %bb.3:
	v_mov_b32_e32 v4, s10
	v_mov_b32_e32 v5, s11
	flat_load_dwordx2 v[8:9], v[4:5]
.LBB161_4:
	s_waitcnt vmcnt(0) lgkmcnt(0)
	v_cmp_neq_f64_e32 vcc_lo, 0, v[2:3]
	v_cmp_neq_f64_e64 s0, 1.0, v[8:9]
	s_or_b32 s0, vcc_lo, s0
	s_and_saveexec_b32 s1, s0
	s_cbranch_execz .LBB161_10
; %bb.5:
	s_load_dwordx2 s[0:1], s[4:5], 0x20
	v_lshrrev_b32_e32 v1, 3, v0
	v_mov_b32_e32 v7, 0
	v_lshl_or_b32 v6, s6, 4, v1
	s_waitcnt lgkmcnt(0)
	s_cmp_lg_u64 s[0:1], 0
	s_cbranch_scc0 .LBB161_11
; %bb.6:
	v_cmp_gt_i64_e32 vcc_lo, s[2:3], v[6:7]
	s_mov_b32 s3, 0
	s_mov_b32 s2, 0
                                        ; implicit-def: $vgpr10_vgpr11
                                        ; implicit-def: $vgpr4_vgpr5
	s_and_saveexec_b32 s6, vcc_lo
	s_xor_b32 s6, exec_lo, s6
	s_cbranch_execz .LBB161_8
; %bb.7:
	v_lshlrev_b64 v[4:5], 3, v[6:7]
	s_mov_b32 s9, 0
	s_mov_b32 s2, exec_lo
	v_add_co_u32 v4, vcc_lo, s0, v4
	v_add_co_ci_u32_e64 v5, null, s1, v5, vcc_lo
	global_load_dwordx2 v[4:5], v[4:5], off
	s_waitcnt vmcnt(0)
	v_sub_co_u32 v10, vcc_lo, v4, s8
	v_subrev_co_ci_u32_e64 v11, null, 0, v5, vcc_lo
	v_mov_b32_e32 v4, s8
	v_mov_b32_e32 v5, s9
.LBB161_8:
	s_or_b32 exec_lo, exec_lo, s6
	s_and_b32 vcc_lo, exec_lo, s3
	s_cbranch_vccnz .LBB161_12
.LBB161_9:
	s_and_b32 exec_lo, exec_lo, s2
	s_cbranch_execnz .LBB161_15
.LBB161_10:
	s_endpgm
.LBB161_11:
	s_mov_b32 s2, 0
                                        ; implicit-def: $vgpr10_vgpr11
                                        ; implicit-def: $vgpr4_vgpr5
	s_cbranch_execz .LBB161_9
.LBB161_12:
	s_load_dwordx2 s[0:1], s[4:5], 0x0
	s_waitcnt lgkmcnt(0)
	v_cmp_gt_i64_e32 vcc_lo, s[0:1], v[6:7]
	s_and_saveexec_b32 s0, vcc_lo
; %bb.13:
	s_mov_b32 s9, 0
	s_or_b32 s2, s2, exec_lo
; %bb.14:
	s_or_b32 exec_lo, exec_lo, s0
	v_mov_b32_e32 v4, s8
	v_mov_b32_e32 v11, v7
	;; [unrolled: 1-line block ×4, first 2 shown]
	s_and_b32 exec_lo, exec_lo, s2
	s_cbranch_execz .LBB161_10
.LBB161_15:
	s_load_dwordx8 s[8:15], s[4:5], 0x28
	v_lshlrev_b64 v[6:7], 3, v[10:11]
	v_and_b32_e32 v34, 7, v0
	s_clause 0x1
	s_load_dword s1, s[4:5], 0x8
	s_load_dwordx2 s[2:3], s[4:5], 0x48
	s_waitcnt lgkmcnt(0)
	v_add_co_u32 v12, vcc_lo, s8, v6
	v_add_co_ci_u32_e64 v13, null, s9, v7, vcc_lo
	v_add_co_u32 v1, vcc_lo, s10, v6
	v_add_co_ci_u32_e64 v6, null, s11, v7, vcc_lo
	v_add_co_u32 v14, vcc_lo, v12, 8
	global_load_dwordx2 v[22:23], v[12:13], off
	v_add_co_ci_u32_e64 v7, null, 0, v13, vcc_lo
	s_cmp_eq_u64 s[10:11], 0
	s_cselect_b32 vcc_lo, -1, 0
	s_cmp_eq_u32 s1, 1
	v_cndmask_b32_e32 v7, v6, v7, vcc_lo
	v_cndmask_b32_e32 v6, v1, v14, vcc_lo
	global_load_dwordx2 v[6:7], v[6:7], off
	s_waitcnt vmcnt(1)
	v_sub_co_u32 v0, vcc_lo, v22, v4
	v_sub_co_ci_u32_e64 v1, null, v23, v5, vcc_lo
	v_add_co_u32 v0, vcc_lo, v0, v34
	v_add_co_ci_u32_e64 v1, null, 0, v1, vcc_lo
	v_lshlrev_b64 v[12:13], 6, v[0:1]
	s_waitcnt vmcnt(0)
	v_sub_co_u32 v6, vcc_lo, v6, v4
	v_sub_co_ci_u32_e64 v7, null, v7, v5, vcc_lo
	v_add_co_u32 v12, vcc_lo, s14, v12
	v_cmp_lt_i64_e64 s0, v[0:1], v[6:7]
	v_add_co_ci_u32_e64 v13, null, s15, v13, vcc_lo
	s_cbranch_scc1 .LBB161_27
; %bb.16:
	v_mov_b32_e32 v14, 0
	v_mov_b32_e32 v16, 0
	;; [unrolled: 1-line block ×8, first 2 shown]
	s_and_saveexec_b32 s6, s0
	s_cbranch_execz .LBB161_26
; %bb.17:
	v_or_b32_e32 v14, 8, v34
	v_not_b32_e32 v17, v22
	v_sub_co_u32 v18, s1, v4, v34
	v_not_b32_e32 v16, v23
	v_sub_co_u32 v14, vcc_lo, v14, v4
	v_sub_co_ci_u32_e64 v15, null, 0, v5, vcc_lo
	v_subrev_co_ci_u32_e64 v19, null, 0, v5, s1
	v_add_co_u32 v14, vcc_lo, v14, v22
	v_add_co_ci_u32_e64 v15, null, v15, v23, vcc_lo
	v_mov_b32_e32 v25, 0
	v_mov_b32_e32 v20, 0
	;; [unrolled: 1-line block ×3, first 2 shown]
	v_cmp_gt_i64_e32 vcc_lo, v[14:15], v[6:7]
	v_mov_b32_e32 v21, 0
	v_mov_b32_e32 v26, v0
	v_cndmask_b32_e32 v15, v7, v15, vcc_lo
	v_cndmask_b32_e32 v14, v6, v14, vcc_lo
	v_add_co_u32 v17, vcc_lo, v18, v17
	v_add_co_ci_u32_e64 v16, null, v19, v16, vcc_lo
	v_mov_b32_e32 v18, 0
	v_add_co_u32 v28, vcc_lo, v17, v14
	v_add_co_ci_u32_e64 v29, null, v16, v15, vcc_lo
	v_mov_b32_e32 v16, 0
	v_and_b32_e32 v24, 24, v28
	v_mov_b32_e32 v14, 0
	v_mov_b32_e32 v19, 0
	v_mov_b32_e32 v17, 0
	v_mov_b32_e32 v15, 0
	v_cmp_ne_u64_e32 vcc_lo, 24, v[24:25]
	v_mov_b32_e32 v25, v13
	v_mov_b32_e32 v24, v12
	s_and_saveexec_b32 s7, vcc_lo
	s_cbranch_execz .LBB161_21
; %bb.18:
	v_lshrrev_b32_e32 v14, 3, v28
	v_lshlrev_b64 v[20:21], 3, v[0:1]
	v_mov_b32_e32 v25, v13
	v_mov_b32_e32 v16, 0
	;; [unrolled: 1-line block ×3, first 2 shown]
	v_add_nc_u32_e32 v26, 1, v14
	v_mov_b32_e32 v14, 0
	v_add_co_u32 v30, vcc_lo, s12, v20
	v_add_co_ci_u32_e64 v31, null, s13, v21, vcc_lo
	v_and_b32_e32 v26, 3, v26
	v_mov_b32_e32 v20, 0
	v_mov_b32_e32 v15, 0
	;; [unrolled: 1-line block ×4, first 2 shown]
	v_sub_co_u32 v32, s1, 0, v26
	v_mov_b32_e32 v27, v1
	v_mov_b32_e32 v19, 0
	v_sub_co_ci_u32_e64 v33, null, 0, 0, s1
	v_mov_b32_e32 v21, 0
	v_mov_b32_e32 v26, v0
	s_mov_b32 s8, 0
.LBB161_19:                             ; =>This Inner Loop Header: Depth=1
	global_load_dwordx2 v[51:52], v[30:31], off
	s_clause 0x3
	global_load_dwordx4 v[35:38], v[24:25], off offset:48
	global_load_dwordx4 v[39:42], v[24:25], off offset:32
	;; [unrolled: 1-line block ×3, first 2 shown]
	global_load_dwordx4 v[47:50], v[24:25], off
	v_add_co_u32 v30, s1, v30, 64
	v_add_co_ci_u32_e64 v31, null, 0, v31, s1
	s_waitcnt vmcnt(4)
	v_sub_co_u32 v51, vcc_lo, v51, v4
	v_sub_co_ci_u32_e64 v52, null, v52, v5, vcc_lo
	s_waitcnt vmcnt(0)
	v_cvt_f64_f32_e32 v[59:60], v47
	v_cvt_f64_f32_e32 v[61:62], v43
	;; [unrolled: 1-line block ×3, first 2 shown]
	v_lshlrev_b64 v[51:52], 5, v[51:52]
	v_cvt_f64_f32_e32 v[65:66], v35
	v_cvt_f64_f32_e32 v[47:48], v48
	;; [unrolled: 1-line block ×5, first 2 shown]
	v_add_co_u32 v55, vcc_lo, s2, v51
	v_add_co_ci_u32_e64 v56, null, s3, v52, vcc_lo
	v_add_co_u32 v24, vcc_lo, 0x200, v24
	v_add_co_ci_u32_e64 v25, null, 0, v25, vcc_lo
	s_clause 0x1
	global_load_dwordx4 v[51:54], v[55:56], off
	global_load_dwordx4 v[55:58], v[55:56], off offset:16
	v_add_co_u32 v32, vcc_lo, v32, 1
	v_add_co_ci_u32_e64 v33, null, 0, v33, vcc_lo
	v_add_co_u32 v26, vcc_lo, v26, 8
	v_add_co_ci_u32_e64 v27, null, 0, v27, vcc_lo
	v_cmp_eq_u64_e32 vcc_lo, 0, v[32:33]
	s_or_b32 s8, vcc_lo, s8
	s_waitcnt vmcnt(1)
	v_fma_f64 v[20:21], v[59:60], v[51:52], v[20:21]
	v_fma_f64 v[18:19], v[61:62], v[51:52], v[18:19]
	;; [unrolled: 1-line block ×4, first 2 shown]
	v_cvt_f64_f32_e32 v[51:52], v49
	v_cvt_f64_f32_e32 v[59:60], v45
	;; [unrolled: 1-line block ×6, first 2 shown]
	v_fma_f64 v[20:21], v[47:48], v[53:54], v[20:21]
	v_fma_f64 v[18:19], v[43:44], v[53:54], v[18:19]
	;; [unrolled: 1-line block ×4, first 2 shown]
	v_cvt_f64_f32_e32 v[35:36], v50
	v_cvt_f64_f32_e32 v[39:40], v46
	s_waitcnt vmcnt(0)
	v_fma_f64 v[20:21], v[51:52], v[55:56], v[20:21]
	v_fma_f64 v[18:19], v[59:60], v[55:56], v[18:19]
	;; [unrolled: 1-line block ×8, first 2 shown]
	s_andn2_b32 exec_lo, exec_lo, s8
	s_cbranch_execnz .LBB161_19
; %bb.20:
	s_or_b32 exec_lo, exec_lo, s8
.LBB161_21:
	s_or_b32 exec_lo, exec_lo, s7
	s_mov_b32 s7, exec_lo
	v_cmpx_lt_u64_e32 23, v[28:29]
	s_cbranch_execz .LBB161_25
; %bb.22:
	v_lshlrev_b64 v[28:29], 3, v[26:27]
	s_mov_b32 s8, 0
	v_add_co_u32 v28, vcc_lo, s12, v28
	v_add_co_ci_u32_e64 v29, null, s13, v29, vcc_lo
	v_add_co_u32 v28, vcc_lo, 0x80, v28
	v_add_co_ci_u32_e64 v29, null, 0, v29, vcc_lo
.LBB161_23:                             ; =>This Inner Loop Header: Depth=1
	s_clause 0x3
	global_load_dwordx2 v[47:48], v[28:29], off offset:-128
	global_load_dwordx2 v[71:72], v[28:29], off offset:-64
	global_load_dwordx2 v[95:96], v[28:29], off
	global_load_dwordx2 v[119:120], v[28:29], off offset:64
	s_clause 0x3
	global_load_dwordx4 v[30:33], v[24:25], off
	global_load_dwordx4 v[35:38], v[24:25], off offset:16
	global_load_dwordx4 v[39:42], v[24:25], off offset:32
	;; [unrolled: 1-line block ×3, first 2 shown]
	v_add_co_u32 v28, s1, 0x100, v28
	v_add_co_ci_u32_e64 v29, null, 0, v29, s1
	s_waitcnt vmcnt(7)
	v_sub_co_u32 v47, vcc_lo, v47, v4
	v_sub_co_ci_u32_e64 v48, null, v48, v5, vcc_lo
	s_waitcnt vmcnt(3)
	v_cvt_f64_f32_e32 v[127:128], v30
	s_waitcnt vmcnt(2)
	v_cvt_f64_f32_e32 v[129:130], v35
	;; [unrolled: 2-line block ×3, first 2 shown]
	v_lshlrev_b64 v[47:48], 5, v[47:48]
	s_waitcnt vmcnt(0)
	v_cvt_f64_f32_e32 v[133:134], v43
	v_cvt_f64_f32_e32 v[30:31], v31
	;; [unrolled: 1-line block ×5, first 2 shown]
	v_add_co_u32 v51, vcc_lo, s2, v47
	v_add_co_ci_u32_e64 v52, null, s3, v48, vcc_lo
	v_sub_co_u32 v71, vcc_lo, v71, v4
	v_sub_co_ci_u32_e64 v72, null, v72, v5, vcc_lo
	s_clause 0x1
	global_load_dwordx4 v[47:50], v[51:52], off
	global_load_dwordx4 v[51:54], v[51:52], off offset:16
	s_clause 0x3
	global_load_dwordx4 v[55:58], v[24:25], off offset:512
	global_load_dwordx4 v[59:62], v[24:25], off offset:528
	;; [unrolled: 1-line block ×4, first 2 shown]
	v_lshlrev_b64 v[71:72], 5, v[71:72]
	v_add_co_u32 v75, vcc_lo, s2, v71
	v_add_co_ci_u32_e64 v76, null, s3, v72, vcc_lo
	v_sub_co_u32 v95, vcc_lo, v95, v4
	s_clause 0x1
	global_load_dwordx4 v[71:74], v[75:76], off
	global_load_dwordx4 v[75:78], v[75:76], off offset:16
	s_clause 0x3
	global_load_dwordx4 v[79:82], v[24:25], off offset:1024
	global_load_dwordx4 v[83:86], v[24:25], off offset:1040
	;; [unrolled: 1-line block ×4, first 2 shown]
	v_sub_co_ci_u32_e64 v96, null, v96, v5, vcc_lo
	v_lshlrev_b64 v[95:96], 5, v[95:96]
	v_add_co_u32 v99, vcc_lo, s2, v95
	v_add_co_ci_u32_e64 v100, null, s3, v96, vcc_lo
	s_clause 0x1
	global_load_dwordx4 v[95:98], v[99:100], off
	global_load_dwordx4 v[99:102], v[99:100], off offset:16
	s_clause 0x3
	global_load_dwordx4 v[103:106], v[24:25], off offset:1536
	global_load_dwordx4 v[107:110], v[24:25], off offset:1552
	;; [unrolled: 1-line block ×4, first 2 shown]
	v_sub_co_u32 v119, vcc_lo, v119, v4
	v_sub_co_ci_u32_e64 v120, null, v120, v5, vcc_lo
	v_lshlrev_b64 v[119:120], 5, v[119:120]
	v_add_co_u32 v123, vcc_lo, s2, v119
	v_add_co_ci_u32_e64 v124, null, s3, v120, vcc_lo
	v_add_co_u32 v26, vcc_lo, v26, 32
	v_add_co_ci_u32_e64 v27, null, 0, v27, vcc_lo
	s_clause 0x1
	global_load_dwordx4 v[119:122], v[123:124], off
	global_load_dwordx4 v[123:126], v[123:124], off offset:16
	v_add_co_u32 v24, vcc_lo, 0x800, v24
	v_add_co_ci_u32_e64 v25, null, 0, v25, vcc_lo
	v_cmp_ge_i64_e32 vcc_lo, v[26:27], v[6:7]
	s_or_b32 s8, vcc_lo, s8
	s_waitcnt vmcnt(19)
	v_fma_f64 v[20:21], v[127:128], v[47:48], v[20:21]
	v_fma_f64 v[18:19], v[129:130], v[47:48], v[18:19]
	;; [unrolled: 1-line block ×4, first 2 shown]
	v_cvt_f64_f32_e32 v[47:48], v32
	v_cvt_f64_f32_e32 v[32:33], v33
	v_fma_f64 v[20:21], v[30:31], v[49:50], v[20:21]
	v_cvt_f64_f32_e32 v[30:31], v37
	v_fma_f64 v[18:19], v[35:36], v[49:50], v[18:19]
	;; [unrolled: 2-line block ×4, first 2 shown]
	v_cvt_f64_f32_e32 v[37:38], v38
	v_cvt_f64_f32_e32 v[41:42], v42
	;; [unrolled: 1-line block ×3, first 2 shown]
	s_waitcnt vmcnt(14)
	v_cvt_f64_f32_e32 v[45:46], v67
	v_fma_f64 v[20:21], v[47:48], v[51:52], v[20:21]
	v_fma_f64 v[18:19], v[30:31], v[51:52], v[18:19]
	v_cvt_f64_f32_e32 v[30:31], v55
	v_fma_f64 v[16:17], v[35:36], v[51:52], v[16:17]
	v_cvt_f64_f32_e32 v[35:36], v59
	;; [unrolled: 2-line block ×7, first 2 shown]
	s_waitcnt vmcnt(13)
	v_fma_f64 v[20:21], v[30:31], v[71:72], v[20:21]
	v_cvt_f64_f32_e32 v[30:31], v57
	v_fma_f64 v[18:19], v[35:36], v[71:72], v[18:19]
	v_cvt_f64_f32_e32 v[35:36], v61
	;; [unrolled: 2-line block ×8, first 2 shown]
	s_waitcnt vmcnt(12)
	v_fma_f64 v[20:21], v[30:31], v[75:76], v[20:21]
	s_waitcnt vmcnt(11)
	v_cvt_f64_f32_e32 v[30:31], v79
	v_fma_f64 v[18:19], v[35:36], v[75:76], v[18:19]
	s_waitcnt vmcnt(10)
	v_cvt_f64_f32_e32 v[35:36], v83
	;; [unrolled: 3-line block ×4, first 2 shown]
	v_fma_f64 v[20:21], v[32:33], v[77:78], v[20:21]
	v_cvt_f64_f32_e32 v[32:33], v80
	v_fma_f64 v[18:19], v[37:38], v[77:78], v[18:19]
	v_cvt_f64_f32_e32 v[37:38], v84
	;; [unrolled: 2-line block ×4, first 2 shown]
	s_waitcnt vmcnt(7)
	v_fma_f64 v[20:21], v[30:31], v[95:96], v[20:21]
	v_cvt_f64_f32_e32 v[30:31], v81
	v_fma_f64 v[18:19], v[35:36], v[95:96], v[18:19]
	v_cvt_f64_f32_e32 v[35:36], v85
	;; [unrolled: 2-line block ×8, first 2 shown]
	s_waitcnt vmcnt(6)
	v_fma_f64 v[20:21], v[30:31], v[99:100], v[20:21]
	s_waitcnt vmcnt(5)
	v_cvt_f64_f32_e32 v[30:31], v103
	v_fma_f64 v[18:19], v[35:36], v[99:100], v[18:19]
	s_waitcnt vmcnt(4)
	v_cvt_f64_f32_e32 v[35:36], v107
	;; [unrolled: 3-line block ×4, first 2 shown]
	v_fma_f64 v[20:21], v[32:33], v[101:102], v[20:21]
	v_cvt_f64_f32_e32 v[32:33], v104
	v_fma_f64 v[18:19], v[37:38], v[101:102], v[18:19]
	v_cvt_f64_f32_e32 v[37:38], v108
	;; [unrolled: 2-line block ×4, first 2 shown]
	s_waitcnt vmcnt(1)
	v_fma_f64 v[20:21], v[30:31], v[119:120], v[20:21]
	v_cvt_f64_f32_e32 v[30:31], v105
	v_fma_f64 v[18:19], v[35:36], v[119:120], v[18:19]
	v_cvt_f64_f32_e32 v[35:36], v109
	;; [unrolled: 2-line block ×8, first 2 shown]
	s_waitcnt vmcnt(0)
	v_fma_f64 v[20:21], v[30:31], v[123:124], v[20:21]
	v_fma_f64 v[18:19], v[35:36], v[123:124], v[18:19]
	;; [unrolled: 1-line block ×8, first 2 shown]
	s_andn2_b32 exec_lo, exec_lo, s8
	s_cbranch_execnz .LBB161_23
; %bb.24:
	s_or_b32 exec_lo, exec_lo, s8
.LBB161_25:
	s_or_b32 exec_lo, exec_lo, s7
.LBB161_26:
	s_or_b32 exec_lo, exec_lo, s6
	s_cbranch_execz .LBB161_28
	s_branch .LBB161_39
.LBB161_27:
                                        ; implicit-def: $vgpr14_vgpr15
                                        ; implicit-def: $vgpr16_vgpr17
                                        ; implicit-def: $vgpr18_vgpr19
                                        ; implicit-def: $vgpr20_vgpr21
.LBB161_28:
	v_mov_b32_e32 v14, 0
	v_mov_b32_e32 v16, 0
	;; [unrolled: 1-line block ×8, first 2 shown]
	s_and_saveexec_b32 s1, s0
	s_cbranch_execz .LBB161_38
; %bb.29:
	v_or_b32_e32 v14, 8, v34
	v_not_b32_e32 v17, v22
	v_sub_co_u32 v18, s0, v4, v34
	v_not_b32_e32 v16, v23
	v_sub_co_u32 v14, vcc_lo, v14, v4
	v_sub_co_ci_u32_e64 v15, null, 0, v5, vcc_lo
	v_subrev_co_ci_u32_e64 v19, null, 0, v5, s0
	v_add_co_u32 v14, vcc_lo, v14, v22
	v_add_co_ci_u32_e64 v15, null, v15, v23, vcc_lo
	v_cmp_gt_i64_e32 vcc_lo, v[14:15], v[6:7]
	v_cndmask_b32_e32 v20, v7, v15, vcc_lo
	v_cndmask_b32_e32 v14, v6, v14, vcc_lo
	v_add_co_u32 v15, vcc_lo, v18, v17
	v_add_co_ci_u32_e64 v16, null, v19, v16, vcc_lo
	v_mov_b32_e32 v18, 0
	v_add_co_u32 v22, vcc_lo, v15, v14
	v_mov_b32_e32 v15, 0
	v_add_co_ci_u32_e64 v23, null, v16, v20, vcc_lo
	v_and_b32_e32 v14, 24, v22
	v_mov_b32_e32 v20, 0
	v_mov_b32_e32 v16, 0
	;; [unrolled: 1-line block ×4, first 2 shown]
	v_cmp_ne_u64_e32 vcc_lo, 24, v[14:15]
	v_mov_b32_e32 v14, 0
	v_mov_b32_e32 v17, 0
	;; [unrolled: 1-line block ×3, first 2 shown]
	s_and_saveexec_b32 s6, vcc_lo
	s_cbranch_execz .LBB161_33
; %bb.30:
	v_lshrrev_b32_e32 v14, 3, v22
	v_lshlrev_b64 v[24:25], 3, v[0:1]
	v_mov_b32_e32 v16, 0
	v_mov_b32_e32 v18, 0
	;; [unrolled: 1-line block ×3, first 2 shown]
	v_add_nc_u32_e32 v26, 1, v14
	v_mov_b32_e32 v14, 0
	v_add_co_u32 v24, vcc_lo, s12, v24
	v_mov_b32_e32 v15, 0
	v_and_b32_e32 v26, 3, v26
	v_mov_b32_e32 v17, 0
	v_mov_b32_e32 v19, 0
	;; [unrolled: 1-line block ×3, first 2 shown]
	v_add_co_ci_u32_e64 v25, null, s13, v25, vcc_lo
	v_sub_co_u32 v26, s0, 0, v26
	v_sub_co_ci_u32_e64 v27, null, 0, 0, s0
	s_mov_b32 s7, 0
.LBB161_31:                             ; =>This Inner Loop Header: Depth=1
	global_load_dwordx2 v[32:33], v[24:25], off
	s_clause 0x1
	global_load_dwordx4 v[28:31], v[12:13], off offset:16
	global_load_dwordx4 v[35:38], v[12:13], off
	v_add_co_u32 v24, s0, v24, 64
	v_add_co_ci_u32_e64 v25, null, 0, v25, s0
	s_waitcnt vmcnt(2)
	v_sub_co_u32 v32, vcc_lo, v32, v4
	v_sub_co_ci_u32_e64 v33, null, v33, v5, vcc_lo
	s_waitcnt vmcnt(0)
	v_cvt_f64_f32_e32 v[55:56], v37
	v_cvt_f64_f32_e32 v[37:38], v38
	;; [unrolled: 1-line block ×3, first 2 shown]
	v_lshlrev_b64 v[32:33], 5, v[32:33]
	v_cvt_f64_f32_e32 v[28:29], v29
	v_cvt_f64_f32_e32 v[59:60], v30
	;; [unrolled: 1-line block ×3, first 2 shown]
	v_add_co_u32 v32, vcc_lo, s2, v32
	v_add_co_ci_u32_e64 v33, null, s3, v33, vcc_lo
	s_clause 0x1
	global_load_dwordx4 v[39:42], v[32:33], off
	global_load_dwordx4 v[43:46], v[32:33], off offset:16
	s_clause 0x1
	global_load_dwordx4 v[47:50], v[12:13], off offset:32
	global_load_dwordx4 v[51:54], v[12:13], off offset:48
	v_cvt_f64_f32_e32 v[32:33], v35
	v_cvt_f64_f32_e32 v[35:36], v36
	v_add_co_u32 v12, vcc_lo, 0x200, v12
	v_add_co_ci_u32_e64 v13, null, 0, v13, vcc_lo
	v_add_co_u32 v26, vcc_lo, v26, 1
	v_add_co_ci_u32_e64 v27, null, 0, v27, vcc_lo
	;; [unrolled: 2-line block ×3, first 2 shown]
	v_cmp_eq_u64_e32 vcc_lo, 0, v[26:27]
	s_or_b32 s7, vcc_lo, s7
	s_waitcnt vmcnt(3)
	v_fma_f64 v[20:21], v[32:33], v[39:40], v[20:21]
	v_fma_f64 v[18:19], v[35:36], v[39:40], v[18:19]
	;; [unrolled: 1-line block ×4, first 2 shown]
	s_waitcnt vmcnt(1)
	v_cvt_f64_f32_e32 v[32:33], v47
	v_cvt_f64_f32_e32 v[35:36], v48
	;; [unrolled: 1-line block ×4, first 2 shown]
	s_waitcnt vmcnt(0)
	v_cvt_f64_f32_e32 v[47:48], v54
	v_fma_f64 v[20:21], v[57:58], v[41:42], v[20:21]
	v_fma_f64 v[18:19], v[28:29], v[41:42], v[18:19]
	;; [unrolled: 1-line block ×4, first 2 shown]
	v_cvt_f64_f32_e32 v[28:29], v51
	v_cvt_f64_f32_e32 v[30:31], v52
	;; [unrolled: 1-line block ×3, first 2 shown]
	v_fma_f64 v[20:21], v[32:33], v[43:44], v[20:21]
	v_fma_f64 v[18:19], v[35:36], v[43:44], v[18:19]
	;; [unrolled: 1-line block ×8, first 2 shown]
	s_andn2_b32 exec_lo, exec_lo, s7
	s_cbranch_execnz .LBB161_31
; %bb.32:
	s_or_b32 exec_lo, exec_lo, s7
.LBB161_33:
	s_or_b32 exec_lo, exec_lo, s6
	s_mov_b32 s6, exec_lo
	v_cmpx_lt_u64_e32 23, v[22:23]
	s_cbranch_execz .LBB161_37
; %bb.34:
	v_lshlrev_b64 v[22:23], 3, v[0:1]
	s_mov_b32 s7, 0
	v_add_co_u32 v22, vcc_lo, s12, v22
	v_add_co_ci_u32_e64 v23, null, s13, v23, vcc_lo
	v_add_co_u32 v22, vcc_lo, 0x80, v22
	v_add_co_ci_u32_e64 v23, null, 0, v23, vcc_lo
.LBB161_35:                             ; =>This Inner Loop Header: Depth=1
	s_clause 0x2
	global_load_dwordx2 v[32:33], v[22:23], off offset:-128
	global_load_dwordx2 v[55:56], v[22:23], off offset:-64
	global_load_dwordx2 v[79:80], v[22:23], off
	s_clause 0x1
	global_load_dwordx4 v[24:27], v[12:13], off
	global_load_dwordx4 v[28:31], v[12:13], off offset:16
	global_load_dwordx2 v[95:96], v[22:23], off offset:64
	s_clause 0x1
	global_load_dwordx4 v[35:38], v[12:13], off offset:32
	global_load_dwordx4 v[39:42], v[12:13], off offset:48
	v_add_co_u32 v22, s0, 0x100, v22
	v_add_co_ci_u32_e64 v23, null, 0, v23, s0
	s_waitcnt vmcnt(7)
	v_sub_co_u32 v32, vcc_lo, v32, v4
	v_sub_co_ci_u32_e64 v33, null, v33, v5, vcc_lo
	s_waitcnt vmcnt(4)
	v_cvt_f64_f32_e32 v[97:98], v24
	v_cvt_f64_f32_e32 v[99:100], v25
	;; [unrolled: 1-line block ×3, first 2 shown]
	v_lshlrev_b64 v[32:33], 5, v[32:33]
	v_cvt_f64_f32_e32 v[103:104], v27
	s_waitcnt vmcnt(3)
	v_cvt_f64_f32_e32 v[105:106], v28
	v_cvt_f64_f32_e32 v[107:108], v29
	;; [unrolled: 1-line block ×4, first 2 shown]
	v_add_co_u32 v32, vcc_lo, s2, v32
	v_add_co_ci_u32_e64 v33, null, s3, v33, vcc_lo
	s_waitcnt vmcnt(1)
	v_cvt_f64_f32_e32 v[113:114], v37
	v_cvt_f64_f32_e32 v[115:116], v38
	s_clause 0x1
	global_load_dwordx4 v[43:46], v[32:33], off
	global_load_dwordx4 v[47:50], v[32:33], off offset:16
	global_load_dwordx4 v[51:54], v[12:13], off offset:512
	v_sub_co_u32 v32, vcc_lo, v55, v4
	v_sub_co_ci_u32_e64 v33, null, v56, v5, vcc_lo
	v_lshlrev_b64 v[32:33], 5, v[32:33]
	v_add_co_u32 v32, vcc_lo, s2, v32
	v_add_co_ci_u32_e64 v33, null, s3, v33, vcc_lo
	global_load_dwordx4 v[55:58], v[12:13], off offset:528
	global_load_dwordx4 v[59:62], v[32:33], off
	s_clause 0x1
	global_load_dwordx4 v[63:66], v[12:13], off offset:544
	global_load_dwordx4 v[67:70], v[12:13], off offset:560
	;; [unrolled: 1-line block ×4, first 2 shown]
	v_sub_co_u32 v32, vcc_lo, v79, v4
	v_sub_co_ci_u32_e64 v33, null, v80, v5, vcc_lo
	v_lshlrev_b64 v[32:33], 5, v[32:33]
	v_add_co_u32 v32, vcc_lo, s2, v32
	v_add_co_ci_u32_e64 v33, null, s3, v33, vcc_lo
	global_load_dwordx4 v[79:82], v[12:13], off offset:1040
	global_load_dwordx4 v[83:86], v[32:33], off
	s_clause 0x1
	global_load_dwordx4 v[87:90], v[12:13], off offset:1056
	global_load_dwordx4 v[91:94], v[12:13], off offset:1072
	;; [unrolled: 1-line block ×3, first 2 shown]
	v_sub_co_u32 v28, vcc_lo, v95, v4
	v_sub_co_ci_u32_e64 v29, null, v96, v5, vcc_lo
	v_cvt_f64_f32_e32 v[32:33], v35
	v_cvt_f64_f32_e32 v[95:96], v36
	v_lshlrev_b64 v[28:29], 5, v[28:29]
	v_add_co_u32 v117, vcc_lo, s2, v28
	v_add_co_ci_u32_e64 v118, null, s3, v29, vcc_lo
	global_load_dwordx4 v[28:31], v[12:13], off offset:1536
	v_add_co_u32 v0, vcc_lo, v0, 32
	v_add_co_ci_u32_e64 v1, null, 0, v1, vcc_lo
	s_waitcnt vmcnt(14)
	v_fma_f64 v[35:36], v[97:98], v[43:44], v[20:21]
	v_fma_f64 v[37:38], v[99:100], v[43:44], v[18:19]
	global_load_dwordx4 v[18:21], v[12:13], off offset:1552
	v_fma_f64 v[97:98], v[101:102], v[43:44], v[16:17]
	v_fma_f64 v[43:44], v[103:104], v[43:44], v[14:15]
	global_load_dwordx4 v[14:17], v[117:118], off
	v_cvt_f64_f32_e32 v[103:104], v39
	v_fma_f64 v[99:100], v[105:106], v[45:46], v[35:36]
	v_fma_f64 v[101:102], v[107:108], v[45:46], v[37:38]
	global_load_dwordx4 v[35:38], v[12:13], off offset:1568
	v_fma_f64 v[97:98], v[109:110], v[45:46], v[97:98]
	v_fma_f64 v[105:106], v[111:112], v[45:46], v[43:44]
	v_cvt_f64_f32_e32 v[107:108], v40
	v_cvt_f64_f32_e32 v[109:110], v41
	v_cvt_f64_f32_e32 v[111:112], v42
	global_load_dwordx4 v[39:42], v[12:13], off offset:1584
	global_load_dwordx4 v[43:46], v[117:118], off offset:16
	v_add_co_u32 v12, vcc_lo, 0x800, v12
	v_add_co_ci_u32_e64 v13, null, 0, v13, vcc_lo
	v_cmp_ge_i64_e32 vcc_lo, v[0:1], v[6:7]
	s_or_b32 s7, vcc_lo, s7
	s_waitcnt vmcnt(18)
	v_fma_f64 v[32:33], v[32:33], v[47:48], v[99:100]
	v_fma_f64 v[95:96], v[95:96], v[47:48], v[101:102]
	s_waitcnt vmcnt(17)
	v_cvt_f64_f32_e32 v[99:100], v51
	v_fma_f64 v[97:98], v[113:114], v[47:48], v[97:98]
	v_fma_f64 v[47:48], v[115:116], v[47:48], v[105:106]
	v_cvt_f64_f32_e32 v[51:52], v52
	v_cvt_f64_f32_e32 v[101:102], v53
	;; [unrolled: 1-line block ×3, first 2 shown]
	v_fma_f64 v[32:33], v[103:104], v[49:50], v[32:33]
	v_fma_f64 v[95:96], v[107:108], v[49:50], v[95:96]
	s_waitcnt vmcnt(16)
	v_cvt_f64_f32_e32 v[103:104], v57
	v_fma_f64 v[97:98], v[109:110], v[49:50], v[97:98]
	v_fma_f64 v[47:48], v[111:112], v[49:50], v[47:48]
	v_cvt_f64_f32_e32 v[49:50], v55
	v_cvt_f64_f32_e32 v[55:56], v56
	;; [unrolled: 1-line block ×3, first 2 shown]
	s_waitcnt vmcnt(15)
	v_fma_f64 v[32:33], v[99:100], v[59:60], v[32:33]
	v_fma_f64 v[51:52], v[51:52], v[59:60], v[95:96]
	;; [unrolled: 1-line block ×4, first 2 shown]
	s_waitcnt vmcnt(14)
	v_cvt_f64_f32_e32 v[53:54], v63
	v_cvt_f64_f32_e32 v[59:60], v64
	;; [unrolled: 1-line block ×4, first 2 shown]
	v_fma_f64 v[32:33], v[49:50], v[61:62], v[32:33]
	v_fma_f64 v[49:50], v[55:56], v[61:62], v[51:52]
	s_waitcnt vmcnt(13)
	v_cvt_f64_f32_e32 v[55:56], v67
	v_fma_f64 v[51:52], v[103:104], v[61:62], v[95:96]
	v_fma_f64 v[47:48], v[57:58], v[61:62], v[47:48]
	v_cvt_f64_f32_e32 v[57:58], v68
	v_cvt_f64_f32_e32 v[61:62], v69
	v_cvt_f64_f32_e32 v[67:68], v70
	s_waitcnt vmcnt(12)
	v_fma_f64 v[32:33], v[53:54], v[71:72], v[32:33]
	v_fma_f64 v[49:50], v[59:60], v[71:72], v[49:50]
	s_waitcnt vmcnt(11)
	v_cvt_f64_f32_e32 v[53:54], v75
	v_fma_f64 v[51:52], v[63:64], v[71:72], v[51:52]
	v_fma_f64 v[47:48], v[65:66], v[71:72], v[47:48]
	v_cvt_f64_f32_e32 v[59:60], v76
	v_cvt_f64_f32_e32 v[63:64], v77
	v_cvt_f64_f32_e32 v[65:66], v78
	v_fma_f64 v[32:33], v[55:56], v[73:74], v[32:33]
	v_fma_f64 v[49:50], v[57:58], v[73:74], v[49:50]
	s_waitcnt vmcnt(10)
	v_cvt_f64_f32_e32 v[55:56], v79
	v_fma_f64 v[51:52], v[61:62], v[73:74], v[51:52]
	v_fma_f64 v[47:48], v[67:68], v[73:74], v[47:48]
	v_cvt_f64_f32_e32 v[57:58], v80
	v_cvt_f64_f32_e32 v[61:62], v81
	v_cvt_f64_f32_e32 v[67:68], v82
	s_waitcnt vmcnt(9)
	v_fma_f64 v[32:33], v[53:54], v[83:84], v[32:33]
	v_fma_f64 v[49:50], v[59:60], v[83:84], v[49:50]
	s_waitcnt vmcnt(8)
	v_cvt_f64_f32_e32 v[53:54], v87
	v_fma_f64 v[51:52], v[63:64], v[83:84], v[51:52]
	v_fma_f64 v[47:48], v[65:66], v[83:84], v[47:48]
	v_cvt_f64_f32_e32 v[59:60], v88
	v_cvt_f64_f32_e32 v[63:64], v89
	v_cvt_f64_f32_e32 v[65:66], v90
	;; [unrolled: 19-line block ×3, first 2 shown]
	v_fma_f64 v[32:33], v[55:56], v[26:27], v[32:33]
	v_fma_f64 v[49:50], v[57:58], v[26:27], v[49:50]
	;; [unrolled: 1-line block ×4, first 2 shown]
	s_waitcnt vmcnt(4)
	v_cvt_f64_f32_e32 v[26:27], v18
	v_cvt_f64_f32_e32 v[18:19], v19
	;; [unrolled: 1-line block ×4, first 2 shown]
	s_waitcnt vmcnt(3)
	v_fma_f64 v[32:33], v[47:48], v[14:15], v[32:33]
	v_fma_f64 v[28:29], v[28:29], v[14:15], v[49:50]
	;; [unrolled: 1-line block ×4, first 2 shown]
	s_waitcnt vmcnt(2)
	v_cvt_f64_f32_e32 v[24:25], v35
	v_cvt_f64_f32_e32 v[30:31], v36
	v_cvt_f64_f32_e32 v[35:36], v37
	v_cvt_f64_f32_e32 v[37:38], v38
	v_fma_f64 v[26:27], v[26:27], v[16:17], v[32:33]
	v_fma_f64 v[18:19], v[18:19], v[16:17], v[28:29]
	;; [unrolled: 1-line block ×4, first 2 shown]
	s_waitcnt vmcnt(1)
	v_cvt_f64_f32_e32 v[16:17], v39
	v_cvt_f64_f32_e32 v[32:33], v40
	;; [unrolled: 1-line block ×4, first 2 shown]
	s_waitcnt vmcnt(0)
	v_fma_f64 v[20:21], v[24:25], v[43:44], v[26:27]
	v_fma_f64 v[18:19], v[30:31], v[43:44], v[18:19]
	v_fma_f64 v[24:25], v[35:36], v[43:44], v[28:29]
	v_fma_f64 v[14:15], v[37:38], v[43:44], v[14:15]
	v_fma_f64 v[20:21], v[16:17], v[45:46], v[20:21]
	v_fma_f64 v[18:19], v[32:33], v[45:46], v[18:19]
	v_fma_f64 v[16:17], v[39:40], v[45:46], v[24:25]
	v_fma_f64 v[14:15], v[41:42], v[45:46], v[14:15]
	s_andn2_b32 exec_lo, exec_lo, s7
	s_cbranch_execnz .LBB161_35
; %bb.36:
	s_or_b32 exec_lo, exec_lo, s7
.LBB161_37:
	s_or_b32 exec_lo, exec_lo, s6
.LBB161_38:
	s_or_b32 exec_lo, exec_lo, s1
.LBB161_39:
	v_mbcnt_lo_u32_b32 v24, -1, 0
	v_xor_b32_e32 v0, 4, v24
	v_cmp_gt_i32_e32 vcc_lo, 32, v0
	v_cndmask_b32_e32 v0, v24, v0, vcc_lo
	v_lshlrev_b32_e32 v13, 2, v0
	ds_bpermute_b32 v0, v13, v20
	ds_bpermute_b32 v1, v13, v21
	;; [unrolled: 1-line block ×8, first 2 shown]
	s_waitcnt lgkmcnt(6)
	v_add_f64 v[0:1], v[20:21], v[0:1]
	s_waitcnt lgkmcnt(4)
	v_add_f64 v[4:5], v[18:19], v[4:5]
	;; [unrolled: 2-line block ×3, first 2 shown]
	v_xor_b32_e32 v6, 2, v24
	s_waitcnt lgkmcnt(0)
	v_add_f64 v[14:15], v[14:15], v[12:13]
	v_cmp_gt_i32_e32 vcc_lo, 32, v6
	v_cndmask_b32_e32 v6, v24, v6, vcc_lo
	v_lshlrev_b32_e32 v12, 2, v6
	ds_bpermute_b32 v6, v12, v0
	ds_bpermute_b32 v7, v12, v1
	;; [unrolled: 1-line block ×8, first 2 shown]
	s_waitcnt lgkmcnt(6)
	v_add_f64 v[12:13], v[0:1], v[6:7]
	s_waitcnt lgkmcnt(4)
	v_add_f64 v[6:7], v[4:5], v[18:19]
	;; [unrolled: 2-line block ×4, first 2 shown]
	v_xor_b32_e32 v14, 1, v24
	v_cmp_gt_i32_e32 vcc_lo, 32, v14
	v_cndmask_b32_e32 v14, v24, v14, vcc_lo
	v_cmp_eq_u32_e32 vcc_lo, 7, v34
	v_lshlrev_b32_e32 v15, 2, v14
	ds_bpermute_b32 v20, v15, v12
	ds_bpermute_b32 v21, v15, v13
	;; [unrolled: 1-line block ×8, first 2 shown]
	s_and_b32 exec_lo, exec_lo, vcc_lo
	s_cbranch_execz .LBB161_10
; %bb.40:
	s_waitcnt lgkmcnt(6)
	v_add_f64 v[12:13], v[12:13], v[20:21]
	s_waitcnt lgkmcnt(4)
	v_add_f64 v[6:7], v[6:7], v[18:19]
	;; [unrolled: 2-line block ×4, first 2 shown]
	s_load_dwordx2 s[0:1], s[4:5], 0x58
	v_lshlrev_b64 v[10:11], 5, v[10:11]
	s_mov_b32 s2, exec_lo
	v_mul_f64 v[4:5], v[2:3], v[12:13]
	v_mul_f64 v[6:7], v[2:3], v[6:7]
	;; [unrolled: 1-line block ×4, first 2 shown]
	v_cmpx_eq_f64_e32 0, v[8:9]
	s_xor_b32 s2, exec_lo, s2
	s_cbranch_execz .LBB161_42
; %bb.41:
	s_waitcnt lgkmcnt(0)
	v_add_co_u32 v8, vcc_lo, s0, v10
	v_add_co_ci_u32_e64 v9, null, s1, v11, vcc_lo
                                        ; implicit-def: $vgpr10_vgpr11
	global_store_dwordx4 v[8:9], v[4:7], off
	global_store_dwordx4 v[8:9], v[0:3], off offset:16
                                        ; implicit-def: $vgpr8_vgpr9
                                        ; implicit-def: $vgpr4_vgpr5
                                        ; implicit-def: $vgpr0_vgpr1
.LBB161_42:
	s_andn2_saveexec_b32 s2, s2
	s_cbranch_execz .LBB161_10
; %bb.43:
	s_waitcnt lgkmcnt(0)
	v_add_co_u32 v18, vcc_lo, s0, v10
	v_add_co_ci_u32_e64 v19, null, s1, v11, vcc_lo
	s_clause 0x1
	global_load_dwordx4 v[10:13], v[18:19], off
	global_load_dwordx4 v[14:17], v[18:19], off offset:16
	s_waitcnt vmcnt(1)
	v_fma_f64 v[4:5], v[8:9], v[10:11], v[4:5]
	v_fma_f64 v[6:7], v[8:9], v[12:13], v[6:7]
	s_waitcnt vmcnt(0)
	v_fma_f64 v[0:1], v[8:9], v[14:15], v[0:1]
	v_fma_f64 v[2:3], v[8:9], v[16:17], v[2:3]
	global_store_dwordx4 v[18:19], v[4:7], off
	global_store_dwordx4 v[18:19], v[0:3], off offset:16
	s_endpgm
	.section	.rodata,"a",@progbits
	.p2align	6, 0x0
	.amdhsa_kernel _ZN9rocsparseL18bsrxmvn_4x4_kernelILj128ELj8EdllfddEEvT3_20rocsparse_direction_NS_24const_host_device_scalarIT1_EES1_PKS1_PKT2_SA_S7_PKT4_PKT5_S5_PT6_21rocsparse_index_base_b
		.amdhsa_group_segment_fixed_size 0
		.amdhsa_private_segment_fixed_size 0
		.amdhsa_kernarg_size 104
		.amdhsa_user_sgpr_count 6
		.amdhsa_user_sgpr_private_segment_buffer 1
		.amdhsa_user_sgpr_dispatch_ptr 0
		.amdhsa_user_sgpr_queue_ptr 0
		.amdhsa_user_sgpr_kernarg_segment_ptr 1
		.amdhsa_user_sgpr_dispatch_id 0
		.amdhsa_user_sgpr_flat_scratch_init 0
		.amdhsa_user_sgpr_private_segment_size 0
		.amdhsa_wavefront_size32 1
		.amdhsa_uses_dynamic_stack 0
		.amdhsa_system_sgpr_private_segment_wavefront_offset 0
		.amdhsa_system_sgpr_workgroup_id_x 1
		.amdhsa_system_sgpr_workgroup_id_y 0
		.amdhsa_system_sgpr_workgroup_id_z 0
		.amdhsa_system_sgpr_workgroup_info 0
		.amdhsa_system_vgpr_workitem_id 0
		.amdhsa_next_free_vgpr 135
		.amdhsa_next_free_sgpr 16
		.amdhsa_reserve_vcc 1
		.amdhsa_reserve_flat_scratch 0
		.amdhsa_float_round_mode_32 0
		.amdhsa_float_round_mode_16_64 0
		.amdhsa_float_denorm_mode_32 3
		.amdhsa_float_denorm_mode_16_64 3
		.amdhsa_dx10_clamp 1
		.amdhsa_ieee_mode 1
		.amdhsa_fp16_overflow 0
		.amdhsa_workgroup_processor_mode 1
		.amdhsa_memory_ordered 1
		.amdhsa_forward_progress 1
		.amdhsa_shared_vgpr_count 0
		.amdhsa_exception_fp_ieee_invalid_op 0
		.amdhsa_exception_fp_denorm_src 0
		.amdhsa_exception_fp_ieee_div_zero 0
		.amdhsa_exception_fp_ieee_overflow 0
		.amdhsa_exception_fp_ieee_underflow 0
		.amdhsa_exception_fp_ieee_inexact 0
		.amdhsa_exception_int_div_zero 0
	.end_amdhsa_kernel
	.section	.text._ZN9rocsparseL18bsrxmvn_4x4_kernelILj128ELj8EdllfddEEvT3_20rocsparse_direction_NS_24const_host_device_scalarIT1_EES1_PKS1_PKT2_SA_S7_PKT4_PKT5_S5_PT6_21rocsparse_index_base_b,"axG",@progbits,_ZN9rocsparseL18bsrxmvn_4x4_kernelILj128ELj8EdllfddEEvT3_20rocsparse_direction_NS_24const_host_device_scalarIT1_EES1_PKS1_PKT2_SA_S7_PKT4_PKT5_S5_PT6_21rocsparse_index_base_b,comdat
.Lfunc_end161:
	.size	_ZN9rocsparseL18bsrxmvn_4x4_kernelILj128ELj8EdllfddEEvT3_20rocsparse_direction_NS_24const_host_device_scalarIT1_EES1_PKS1_PKT2_SA_S7_PKT4_PKT5_S5_PT6_21rocsparse_index_base_b, .Lfunc_end161-_ZN9rocsparseL18bsrxmvn_4x4_kernelILj128ELj8EdllfddEEvT3_20rocsparse_direction_NS_24const_host_device_scalarIT1_EES1_PKS1_PKT2_SA_S7_PKT4_PKT5_S5_PT6_21rocsparse_index_base_b
                                        ; -- End function
	.set _ZN9rocsparseL18bsrxmvn_4x4_kernelILj128ELj8EdllfddEEvT3_20rocsparse_direction_NS_24const_host_device_scalarIT1_EES1_PKS1_PKT2_SA_S7_PKT4_PKT5_S5_PT6_21rocsparse_index_base_b.num_vgpr, 135
	.set _ZN9rocsparseL18bsrxmvn_4x4_kernelILj128ELj8EdllfddEEvT3_20rocsparse_direction_NS_24const_host_device_scalarIT1_EES1_PKS1_PKT2_SA_S7_PKT4_PKT5_S5_PT6_21rocsparse_index_base_b.num_agpr, 0
	.set _ZN9rocsparseL18bsrxmvn_4x4_kernelILj128ELj8EdllfddEEvT3_20rocsparse_direction_NS_24const_host_device_scalarIT1_EES1_PKS1_PKT2_SA_S7_PKT4_PKT5_S5_PT6_21rocsparse_index_base_b.numbered_sgpr, 16
	.set _ZN9rocsparseL18bsrxmvn_4x4_kernelILj128ELj8EdllfddEEvT3_20rocsparse_direction_NS_24const_host_device_scalarIT1_EES1_PKS1_PKT2_SA_S7_PKT4_PKT5_S5_PT6_21rocsparse_index_base_b.num_named_barrier, 0
	.set _ZN9rocsparseL18bsrxmvn_4x4_kernelILj128ELj8EdllfddEEvT3_20rocsparse_direction_NS_24const_host_device_scalarIT1_EES1_PKS1_PKT2_SA_S7_PKT4_PKT5_S5_PT6_21rocsparse_index_base_b.private_seg_size, 0
	.set _ZN9rocsparseL18bsrxmvn_4x4_kernelILj128ELj8EdllfddEEvT3_20rocsparse_direction_NS_24const_host_device_scalarIT1_EES1_PKS1_PKT2_SA_S7_PKT4_PKT5_S5_PT6_21rocsparse_index_base_b.uses_vcc, 1
	.set _ZN9rocsparseL18bsrxmvn_4x4_kernelILj128ELj8EdllfddEEvT3_20rocsparse_direction_NS_24const_host_device_scalarIT1_EES1_PKS1_PKT2_SA_S7_PKT4_PKT5_S5_PT6_21rocsparse_index_base_b.uses_flat_scratch, 0
	.set _ZN9rocsparseL18bsrxmvn_4x4_kernelILj128ELj8EdllfddEEvT3_20rocsparse_direction_NS_24const_host_device_scalarIT1_EES1_PKS1_PKT2_SA_S7_PKT4_PKT5_S5_PT6_21rocsparse_index_base_b.has_dyn_sized_stack, 0
	.set _ZN9rocsparseL18bsrxmvn_4x4_kernelILj128ELj8EdllfddEEvT3_20rocsparse_direction_NS_24const_host_device_scalarIT1_EES1_PKS1_PKT2_SA_S7_PKT4_PKT5_S5_PT6_21rocsparse_index_base_b.has_recursion, 0
	.set _ZN9rocsparseL18bsrxmvn_4x4_kernelILj128ELj8EdllfddEEvT3_20rocsparse_direction_NS_24const_host_device_scalarIT1_EES1_PKS1_PKT2_SA_S7_PKT4_PKT5_S5_PT6_21rocsparse_index_base_b.has_indirect_call, 0
	.section	.AMDGPU.csdata,"",@progbits
; Kernel info:
; codeLenInByte = 5440
; TotalNumSgprs: 18
; NumVgprs: 135
; ScratchSize: 0
; MemoryBound: 0
; FloatMode: 240
; IeeeMode: 1
; LDSByteSize: 0 bytes/workgroup (compile time only)
; SGPRBlocks: 0
; VGPRBlocks: 16
; NumSGPRsForWavesPerEU: 18
; NumVGPRsForWavesPerEU: 135
; Occupancy: 7
; WaveLimiterHint : 1
; COMPUTE_PGM_RSRC2:SCRATCH_EN: 0
; COMPUTE_PGM_RSRC2:USER_SGPR: 6
; COMPUTE_PGM_RSRC2:TRAP_HANDLER: 0
; COMPUTE_PGM_RSRC2:TGID_X_EN: 1
; COMPUTE_PGM_RSRC2:TGID_Y_EN: 0
; COMPUTE_PGM_RSRC2:TGID_Z_EN: 0
; COMPUTE_PGM_RSRC2:TIDIG_COMP_CNT: 0
	.section	.text._ZN9rocsparseL18bsrxmvn_4x4_kernelILj128ELj16EdllfddEEvT3_20rocsparse_direction_NS_24const_host_device_scalarIT1_EES1_PKS1_PKT2_SA_S7_PKT4_PKT5_S5_PT6_21rocsparse_index_base_b,"axG",@progbits,_ZN9rocsparseL18bsrxmvn_4x4_kernelILj128ELj16EdllfddEEvT3_20rocsparse_direction_NS_24const_host_device_scalarIT1_EES1_PKS1_PKT2_SA_S7_PKT4_PKT5_S5_PT6_21rocsparse_index_base_b,comdat
	.globl	_ZN9rocsparseL18bsrxmvn_4x4_kernelILj128ELj16EdllfddEEvT3_20rocsparse_direction_NS_24const_host_device_scalarIT1_EES1_PKS1_PKT2_SA_S7_PKT4_PKT5_S5_PT6_21rocsparse_index_base_b ; -- Begin function _ZN9rocsparseL18bsrxmvn_4x4_kernelILj128ELj16EdllfddEEvT3_20rocsparse_direction_NS_24const_host_device_scalarIT1_EES1_PKS1_PKT2_SA_S7_PKT4_PKT5_S5_PT6_21rocsparse_index_base_b
	.p2align	8
	.type	_ZN9rocsparseL18bsrxmvn_4x4_kernelILj128ELj16EdllfddEEvT3_20rocsparse_direction_NS_24const_host_device_scalarIT1_EES1_PKS1_PKT2_SA_S7_PKT4_PKT5_S5_PT6_21rocsparse_index_base_b,@function
_ZN9rocsparseL18bsrxmvn_4x4_kernelILj128ELj16EdllfddEEvT3_20rocsparse_direction_NS_24const_host_device_scalarIT1_EES1_PKS1_PKT2_SA_S7_PKT4_PKT5_S5_PT6_21rocsparse_index_base_b: ; @_ZN9rocsparseL18bsrxmvn_4x4_kernelILj128ELj16EdllfddEEvT3_20rocsparse_direction_NS_24const_host_device_scalarIT1_EES1_PKS1_PKT2_SA_S7_PKT4_PKT5_S5_PT6_21rocsparse_index_base_b
; %bb.0:
	s_clause 0x2
	s_load_dwordx2 s[8:9], s[4:5], 0x60
	s_load_dwordx4 s[0:3], s[4:5], 0x10
	s_load_dwordx2 s[10:11], s[4:5], 0x50
	s_waitcnt lgkmcnt(0)
	s_bitcmp1_b32 s9, 0
	v_mov_b32_e32 v3, s1
	v_mov_b32_e32 v2, s0
	s_cselect_b32 s7, -1, 0
	s_and_b32 vcc_lo, exec_lo, s7
	s_xor_b32 s7, s7, -1
	s_cbranch_vccnz .LBB162_2
; %bb.1:
	v_mov_b32_e32 v2, s1
	v_mov_b32_e32 v1, s0
	flat_load_dwordx2 v[2:3], v[1:2]
.LBB162_2:
	v_mov_b32_e32 v8, s10
	v_mov_b32_e32 v9, s11
	s_andn2_b32 vcc_lo, exec_lo, s7
	s_cbranch_vccnz .LBB162_4
; %bb.3:
	v_mov_b32_e32 v4, s10
	v_mov_b32_e32 v5, s11
	flat_load_dwordx2 v[8:9], v[4:5]
.LBB162_4:
	s_waitcnt vmcnt(0) lgkmcnt(0)
	v_cmp_neq_f64_e32 vcc_lo, 0, v[2:3]
	v_cmp_neq_f64_e64 s0, 1.0, v[8:9]
	s_or_b32 s0, vcc_lo, s0
	s_and_saveexec_b32 s1, s0
	s_cbranch_execz .LBB162_10
; %bb.5:
	s_load_dwordx2 s[0:1], s[4:5], 0x20
	v_lshrrev_b32_e32 v1, 4, v0
	v_mov_b32_e32 v7, 0
	v_lshl_or_b32 v6, s6, 3, v1
	s_waitcnt lgkmcnt(0)
	s_cmp_lg_u64 s[0:1], 0
	s_cbranch_scc0 .LBB162_11
; %bb.6:
	v_cmp_gt_i64_e32 vcc_lo, s[2:3], v[6:7]
	s_mov_b32 s3, 0
	s_mov_b32 s2, 0
                                        ; implicit-def: $vgpr10_vgpr11
                                        ; implicit-def: $vgpr4_vgpr5
	s_and_saveexec_b32 s6, vcc_lo
	s_xor_b32 s6, exec_lo, s6
	s_cbranch_execz .LBB162_8
; %bb.7:
	v_lshlrev_b64 v[4:5], 3, v[6:7]
	s_mov_b32 s9, 0
	s_mov_b32 s2, exec_lo
	v_add_co_u32 v4, vcc_lo, s0, v4
	v_add_co_ci_u32_e64 v5, null, s1, v5, vcc_lo
	global_load_dwordx2 v[4:5], v[4:5], off
	s_waitcnt vmcnt(0)
	v_sub_co_u32 v10, vcc_lo, v4, s8
	v_subrev_co_ci_u32_e64 v11, null, 0, v5, vcc_lo
	v_mov_b32_e32 v4, s8
	v_mov_b32_e32 v5, s9
.LBB162_8:
	s_or_b32 exec_lo, exec_lo, s6
	s_and_b32 vcc_lo, exec_lo, s3
	s_cbranch_vccnz .LBB162_12
.LBB162_9:
	s_and_b32 exec_lo, exec_lo, s2
	s_cbranch_execnz .LBB162_15
.LBB162_10:
	s_endpgm
.LBB162_11:
	s_mov_b32 s2, 0
                                        ; implicit-def: $vgpr10_vgpr11
                                        ; implicit-def: $vgpr4_vgpr5
	s_cbranch_execz .LBB162_9
.LBB162_12:
	s_load_dwordx2 s[0:1], s[4:5], 0x0
	s_waitcnt lgkmcnt(0)
	v_cmp_gt_i64_e32 vcc_lo, s[0:1], v[6:7]
	s_and_saveexec_b32 s0, vcc_lo
; %bb.13:
	s_mov_b32 s9, 0
	s_or_b32 s2, s2, exec_lo
; %bb.14:
	s_or_b32 exec_lo, exec_lo, s0
	v_mov_b32_e32 v4, s8
	v_mov_b32_e32 v11, v7
	;; [unrolled: 1-line block ×4, first 2 shown]
	s_and_b32 exec_lo, exec_lo, s2
	s_cbranch_execz .LBB162_10
.LBB162_15:
	s_load_dwordx8 s[8:15], s[4:5], 0x28
	v_lshlrev_b64 v[6:7], 3, v[10:11]
	v_and_b32_e32 v34, 15, v0
	s_clause 0x1
	s_load_dword s1, s[4:5], 0x8
	s_load_dwordx2 s[2:3], s[4:5], 0x48
	s_waitcnt lgkmcnt(0)
	v_add_co_u32 v12, vcc_lo, s8, v6
	v_add_co_ci_u32_e64 v13, null, s9, v7, vcc_lo
	v_add_co_u32 v1, vcc_lo, s10, v6
	v_add_co_ci_u32_e64 v6, null, s11, v7, vcc_lo
	v_add_co_u32 v14, vcc_lo, v12, 8
	global_load_dwordx2 v[22:23], v[12:13], off
	v_add_co_ci_u32_e64 v7, null, 0, v13, vcc_lo
	s_cmp_eq_u64 s[10:11], 0
	s_cselect_b32 vcc_lo, -1, 0
	s_cmp_eq_u32 s1, 1
	v_cndmask_b32_e32 v7, v6, v7, vcc_lo
	v_cndmask_b32_e32 v6, v1, v14, vcc_lo
	global_load_dwordx2 v[6:7], v[6:7], off
	s_waitcnt vmcnt(1)
	v_sub_co_u32 v0, vcc_lo, v22, v4
	v_sub_co_ci_u32_e64 v1, null, v23, v5, vcc_lo
	v_add_co_u32 v0, vcc_lo, v0, v34
	v_add_co_ci_u32_e64 v1, null, 0, v1, vcc_lo
	v_lshlrev_b64 v[12:13], 6, v[0:1]
	s_waitcnt vmcnt(0)
	v_sub_co_u32 v6, vcc_lo, v6, v4
	v_sub_co_ci_u32_e64 v7, null, v7, v5, vcc_lo
	v_add_co_u32 v12, vcc_lo, s14, v12
	v_cmp_lt_i64_e64 s0, v[0:1], v[6:7]
	v_add_co_ci_u32_e64 v13, null, s15, v13, vcc_lo
	s_cbranch_scc1 .LBB162_27
; %bb.16:
	v_mov_b32_e32 v14, 0
	v_mov_b32_e32 v16, 0
	;; [unrolled: 1-line block ×8, first 2 shown]
	s_and_saveexec_b32 s6, s0
	s_cbranch_execz .LBB162_26
; %bb.17:
	v_or_b32_e32 v14, 16, v34
	v_not_b32_e32 v17, v22
	v_sub_co_u32 v18, s1, v4, v34
	v_not_b32_e32 v16, v23
	v_sub_co_u32 v14, vcc_lo, v14, v4
	v_sub_co_ci_u32_e64 v15, null, 0, v5, vcc_lo
	v_subrev_co_ci_u32_e64 v19, null, 0, v5, s1
	v_add_co_u32 v14, vcc_lo, v14, v22
	v_add_co_ci_u32_e64 v15, null, v15, v23, vcc_lo
	v_mov_b32_e32 v25, 0
	v_mov_b32_e32 v20, 0
	;; [unrolled: 1-line block ×3, first 2 shown]
	v_cmp_gt_i64_e32 vcc_lo, v[14:15], v[6:7]
	v_mov_b32_e32 v21, 0
	v_mov_b32_e32 v26, v0
	v_cndmask_b32_e32 v15, v7, v15, vcc_lo
	v_cndmask_b32_e32 v14, v6, v14, vcc_lo
	v_add_co_u32 v17, vcc_lo, v18, v17
	v_add_co_ci_u32_e64 v16, null, v19, v16, vcc_lo
	v_mov_b32_e32 v18, 0
	v_add_co_u32 v28, vcc_lo, v17, v14
	v_add_co_ci_u32_e64 v29, null, v16, v15, vcc_lo
	v_mov_b32_e32 v16, 0
	v_and_b32_e32 v24, 48, v28
	v_mov_b32_e32 v14, 0
	v_mov_b32_e32 v19, 0
	;; [unrolled: 1-line block ×4, first 2 shown]
	v_cmp_ne_u64_e32 vcc_lo, 48, v[24:25]
	v_mov_b32_e32 v25, v13
	v_mov_b32_e32 v24, v12
	s_and_saveexec_b32 s7, vcc_lo
	s_cbranch_execz .LBB162_21
; %bb.18:
	v_lshrrev_b32_e32 v14, 4, v28
	v_lshlrev_b64 v[20:21], 3, v[0:1]
	v_mov_b32_e32 v25, v13
	v_mov_b32_e32 v16, 0
	;; [unrolled: 1-line block ×3, first 2 shown]
	v_add_nc_u32_e32 v26, 1, v14
	v_mov_b32_e32 v14, 0
	v_add_co_u32 v30, vcc_lo, s12, v20
	v_add_co_ci_u32_e64 v31, null, s13, v21, vcc_lo
	v_and_b32_e32 v26, 3, v26
	v_mov_b32_e32 v20, 0
	v_mov_b32_e32 v15, 0
	;; [unrolled: 1-line block ×4, first 2 shown]
	v_sub_co_u32 v32, s1, 0, v26
	v_mov_b32_e32 v27, v1
	v_mov_b32_e32 v19, 0
	v_sub_co_ci_u32_e64 v33, null, 0, 0, s1
	v_mov_b32_e32 v21, 0
	v_mov_b32_e32 v26, v0
	s_mov_b32 s8, 0
.LBB162_19:                             ; =>This Inner Loop Header: Depth=1
	global_load_dwordx2 v[51:52], v[30:31], off
	s_clause 0x3
	global_load_dwordx4 v[35:38], v[24:25], off offset:48
	global_load_dwordx4 v[39:42], v[24:25], off offset:32
	;; [unrolled: 1-line block ×3, first 2 shown]
	global_load_dwordx4 v[47:50], v[24:25], off
	v_add_co_u32 v30, s1, 0x80, v30
	v_add_co_ci_u32_e64 v31, null, 0, v31, s1
	s_waitcnt vmcnt(4)
	v_sub_co_u32 v51, vcc_lo, v51, v4
	v_sub_co_ci_u32_e64 v52, null, v52, v5, vcc_lo
	s_waitcnt vmcnt(0)
	v_cvt_f64_f32_e32 v[59:60], v47
	v_cvt_f64_f32_e32 v[61:62], v43
	;; [unrolled: 1-line block ×3, first 2 shown]
	v_lshlrev_b64 v[51:52], 5, v[51:52]
	v_cvt_f64_f32_e32 v[65:66], v35
	v_cvt_f64_f32_e32 v[47:48], v48
	;; [unrolled: 1-line block ×5, first 2 shown]
	v_add_co_u32 v55, vcc_lo, s2, v51
	v_add_co_ci_u32_e64 v56, null, s3, v52, vcc_lo
	v_add_co_u32 v24, vcc_lo, 0x400, v24
	v_add_co_ci_u32_e64 v25, null, 0, v25, vcc_lo
	s_clause 0x1
	global_load_dwordx4 v[51:54], v[55:56], off
	global_load_dwordx4 v[55:58], v[55:56], off offset:16
	v_add_co_u32 v32, vcc_lo, v32, 1
	v_add_co_ci_u32_e64 v33, null, 0, v33, vcc_lo
	v_add_co_u32 v26, vcc_lo, v26, 16
	v_add_co_ci_u32_e64 v27, null, 0, v27, vcc_lo
	v_cmp_eq_u64_e32 vcc_lo, 0, v[32:33]
	s_or_b32 s8, vcc_lo, s8
	s_waitcnt vmcnt(1)
	v_fma_f64 v[20:21], v[59:60], v[51:52], v[20:21]
	v_fma_f64 v[18:19], v[61:62], v[51:52], v[18:19]
	;; [unrolled: 1-line block ×4, first 2 shown]
	v_cvt_f64_f32_e32 v[51:52], v49
	v_cvt_f64_f32_e32 v[59:60], v45
	;; [unrolled: 1-line block ×6, first 2 shown]
	v_fma_f64 v[20:21], v[47:48], v[53:54], v[20:21]
	v_fma_f64 v[18:19], v[43:44], v[53:54], v[18:19]
	;; [unrolled: 1-line block ×4, first 2 shown]
	v_cvt_f64_f32_e32 v[35:36], v50
	v_cvt_f64_f32_e32 v[39:40], v46
	s_waitcnt vmcnt(0)
	v_fma_f64 v[20:21], v[51:52], v[55:56], v[20:21]
	v_fma_f64 v[18:19], v[59:60], v[55:56], v[18:19]
	;; [unrolled: 1-line block ×8, first 2 shown]
	s_andn2_b32 exec_lo, exec_lo, s8
	s_cbranch_execnz .LBB162_19
; %bb.20:
	s_or_b32 exec_lo, exec_lo, s8
.LBB162_21:
	s_or_b32 exec_lo, exec_lo, s7
	s_mov_b32 s7, exec_lo
	v_cmpx_lt_u64_e32 47, v[28:29]
	s_cbranch_execz .LBB162_25
; %bb.22:
	v_lshlrev_b64 v[28:29], 3, v[26:27]
	s_mov_b32 s8, 0
	v_add_co_u32 v28, vcc_lo, s12, v28
	v_add_co_ci_u32_e64 v29, null, s13, v29, vcc_lo
	v_add_co_u32 v28, vcc_lo, 0x100, v28
	v_add_co_ci_u32_e64 v29, null, 0, v29, vcc_lo
.LBB162_23:                             ; =>This Inner Loop Header: Depth=1
	s_clause 0x3
	global_load_dwordx2 v[47:48], v[28:29], off offset:-256
	global_load_dwordx2 v[71:72], v[28:29], off offset:-128
	global_load_dwordx2 v[95:96], v[28:29], off
	global_load_dwordx2 v[119:120], v[28:29], off offset:128
	s_clause 0x3
	global_load_dwordx4 v[30:33], v[24:25], off
	global_load_dwordx4 v[35:38], v[24:25], off offset:16
	global_load_dwordx4 v[39:42], v[24:25], off offset:48
	;; [unrolled: 1-line block ×3, first 2 shown]
	s_waitcnt vmcnt(7)
	v_sub_co_u32 v47, vcc_lo, v47, v4
	v_sub_co_ci_u32_e64 v48, null, v48, v5, vcc_lo
	s_waitcnt vmcnt(3)
	v_cvt_f64_f32_e32 v[127:128], v30
	s_waitcnt vmcnt(2)
	v_cvt_f64_f32_e32 v[129:130], v35
	;; [unrolled: 2-line block ×3, first 2 shown]
	v_lshlrev_b64 v[47:48], 5, v[47:48]
	s_waitcnt vmcnt(0)
	v_cvt_f64_f32_e32 v[131:132], v43
	v_cvt_f64_f32_e32 v[30:31], v31
	;; [unrolled: 1-line block ×5, first 2 shown]
	v_add_co_u32 v51, vcc_lo, s2, v47
	v_add_co_ci_u32_e64 v52, null, s3, v48, vcc_lo
	v_sub_co_u32 v71, vcc_lo, v71, v4
	v_sub_co_ci_u32_e64 v72, null, v72, v5, vcc_lo
	s_clause 0x1
	global_load_dwordx4 v[47:50], v[51:52], off
	global_load_dwordx4 v[51:54], v[51:52], off offset:16
	s_clause 0x3
	global_load_dwordx4 v[55:58], v[24:25], off offset:1024
	global_load_dwordx4 v[59:62], v[24:25], off offset:1040
	;; [unrolled: 1-line block ×4, first 2 shown]
	v_lshlrev_b64 v[71:72], 5, v[71:72]
	v_add_co_u32 v75, vcc_lo, s2, v71
	v_add_co_ci_u32_e64 v76, null, s3, v72, vcc_lo
	v_add_co_u32 v115, vcc_lo, 0x800, v24
	s_clause 0x1
	global_load_dwordx4 v[71:74], v[75:76], off
	global_load_dwordx4 v[75:78], v[75:76], off offset:16
	v_add_co_ci_u32_e64 v116, null, 0, v25, vcc_lo
	s_clause 0x3
	global_load_dwordx4 v[79:82], v[115:116], off
	global_load_dwordx4 v[83:86], v[115:116], off offset:16
	global_load_dwordx4 v[87:90], v[115:116], off offset:32
	;; [unrolled: 1-line block ×3, first 2 shown]
	v_sub_co_u32 v95, vcc_lo, v95, v4
	v_sub_co_ci_u32_e64 v96, null, v96, v5, vcc_lo
	v_add_co_u32 v24, s1, 0x1000, v24
	v_add_co_ci_u32_e64 v25, null, 0, v25, s1
	v_lshlrev_b64 v[95:96], 5, v[95:96]
	v_add_co_u32 v99, vcc_lo, s2, v95
	v_add_co_ci_u32_e64 v100, null, s3, v96, vcc_lo
	s_clause 0x1
	global_load_dwordx4 v[95:98], v[99:100], off
	global_load_dwordx4 v[99:102], v[99:100], off offset:16
	s_clause 0x3
	global_load_dwordx4 v[103:106], v[115:116], off offset:1024
	global_load_dwordx4 v[107:110], v[115:116], off offset:1040
	;; [unrolled: 1-line block ×4, first 2 shown]
	v_sub_co_u32 v119, vcc_lo, v119, v4
	v_sub_co_ci_u32_e64 v120, null, v120, v5, vcc_lo
	v_lshlrev_b64 v[119:120], 5, v[119:120]
	v_add_co_u32 v123, vcc_lo, s2, v119
	v_add_co_ci_u32_e64 v124, null, s3, v120, vcc_lo
	v_add_co_u32 v26, vcc_lo, v26, 64
	v_add_co_ci_u32_e64 v27, null, 0, v27, vcc_lo
	s_clause 0x1
	global_load_dwordx4 v[119:122], v[123:124], off
	global_load_dwordx4 v[123:126], v[123:124], off offset:16
	v_add_co_u32 v28, vcc_lo, 0x200, v28
	v_add_co_ci_u32_e64 v29, null, 0, v29, vcc_lo
	v_cmp_ge_i64_e32 vcc_lo, v[26:27], v[6:7]
	s_or_b32 s8, vcc_lo, s8
	s_waitcnt vmcnt(19)
	v_fma_f64 v[20:21], v[127:128], v[47:48], v[20:21]
	v_fma_f64 v[18:19], v[129:130], v[47:48], v[18:19]
	;; [unrolled: 1-line block ×4, first 2 shown]
	v_cvt_f64_f32_e32 v[47:48], v32
	v_cvt_f64_f32_e32 v[32:33], v33
	v_fma_f64 v[20:21], v[30:31], v[49:50], v[20:21]
	v_cvt_f64_f32_e32 v[30:31], v37
	v_fma_f64 v[18:19], v[35:36], v[49:50], v[18:19]
	;; [unrolled: 2-line block ×4, first 2 shown]
	v_cvt_f64_f32_e32 v[37:38], v38
	v_cvt_f64_f32_e32 v[39:40], v46
	;; [unrolled: 1-line block ×3, first 2 shown]
	s_waitcnt vmcnt(14)
	v_cvt_f64_f32_e32 v[45:46], v67
	v_fma_f64 v[20:21], v[47:48], v[51:52], v[20:21]
	v_fma_f64 v[18:19], v[30:31], v[51:52], v[18:19]
	v_cvt_f64_f32_e32 v[30:31], v55
	v_fma_f64 v[16:17], v[35:36], v[51:52], v[16:17]
	v_cvt_f64_f32_e32 v[35:36], v59
	v_fma_f64 v[14:15], v[43:44], v[51:52], v[14:15]
	v_cvt_f64_f32_e32 v[43:44], v63
	v_fma_f64 v[20:21], v[32:33], v[53:54], v[20:21]
	v_cvt_f64_f32_e32 v[32:33], v56
	v_fma_f64 v[18:19], v[37:38], v[53:54], v[18:19]
	v_cvt_f64_f32_e32 v[37:38], v60
	v_fma_f64 v[16:17], v[39:40], v[53:54], v[16:17]
	v_cvt_f64_f32_e32 v[39:40], v64
	v_fma_f64 v[14:15], v[41:42], v[53:54], v[14:15]
	v_cvt_f64_f32_e32 v[41:42], v68
	s_waitcnt vmcnt(13)
	v_fma_f64 v[20:21], v[30:31], v[71:72], v[20:21]
	v_cvt_f64_f32_e32 v[30:31], v57
	v_fma_f64 v[18:19], v[35:36], v[71:72], v[18:19]
	v_cvt_f64_f32_e32 v[35:36], v61
	;; [unrolled: 2-line block ×8, first 2 shown]
	s_waitcnt vmcnt(12)
	v_fma_f64 v[20:21], v[30:31], v[75:76], v[20:21]
	s_waitcnt vmcnt(11)
	v_cvt_f64_f32_e32 v[30:31], v79
	v_fma_f64 v[18:19], v[35:36], v[75:76], v[18:19]
	s_waitcnt vmcnt(10)
	v_cvt_f64_f32_e32 v[35:36], v83
	;; [unrolled: 3-line block ×4, first 2 shown]
	v_fma_f64 v[20:21], v[32:33], v[77:78], v[20:21]
	v_cvt_f64_f32_e32 v[32:33], v80
	v_fma_f64 v[18:19], v[37:38], v[77:78], v[18:19]
	v_cvt_f64_f32_e32 v[37:38], v84
	;; [unrolled: 2-line block ×4, first 2 shown]
	s_waitcnt vmcnt(7)
	v_fma_f64 v[20:21], v[30:31], v[95:96], v[20:21]
	v_cvt_f64_f32_e32 v[30:31], v81
	v_fma_f64 v[18:19], v[35:36], v[95:96], v[18:19]
	v_cvt_f64_f32_e32 v[35:36], v85
	;; [unrolled: 2-line block ×8, first 2 shown]
	s_waitcnt vmcnt(6)
	v_fma_f64 v[20:21], v[30:31], v[99:100], v[20:21]
	s_waitcnt vmcnt(5)
	v_cvt_f64_f32_e32 v[30:31], v103
	v_fma_f64 v[18:19], v[35:36], v[99:100], v[18:19]
	s_waitcnt vmcnt(4)
	v_cvt_f64_f32_e32 v[35:36], v107
	;; [unrolled: 3-line block ×4, first 2 shown]
	v_fma_f64 v[20:21], v[32:33], v[101:102], v[20:21]
	v_cvt_f64_f32_e32 v[32:33], v104
	v_fma_f64 v[18:19], v[37:38], v[101:102], v[18:19]
	v_cvt_f64_f32_e32 v[37:38], v108
	;; [unrolled: 2-line block ×4, first 2 shown]
	s_waitcnt vmcnt(1)
	v_fma_f64 v[20:21], v[30:31], v[119:120], v[20:21]
	v_cvt_f64_f32_e32 v[30:31], v105
	v_fma_f64 v[18:19], v[35:36], v[119:120], v[18:19]
	v_cvt_f64_f32_e32 v[35:36], v109
	;; [unrolled: 2-line block ×8, first 2 shown]
	s_waitcnt vmcnt(0)
	v_fma_f64 v[20:21], v[30:31], v[123:124], v[20:21]
	v_fma_f64 v[18:19], v[35:36], v[123:124], v[18:19]
	;; [unrolled: 1-line block ×8, first 2 shown]
	s_andn2_b32 exec_lo, exec_lo, s8
	s_cbranch_execnz .LBB162_23
; %bb.24:
	s_or_b32 exec_lo, exec_lo, s8
.LBB162_25:
	s_or_b32 exec_lo, exec_lo, s7
.LBB162_26:
	s_or_b32 exec_lo, exec_lo, s6
	s_cbranch_execz .LBB162_28
	s_branch .LBB162_39
.LBB162_27:
                                        ; implicit-def: $vgpr14_vgpr15
                                        ; implicit-def: $vgpr16_vgpr17
                                        ; implicit-def: $vgpr18_vgpr19
                                        ; implicit-def: $vgpr20_vgpr21
.LBB162_28:
	v_mov_b32_e32 v14, 0
	v_mov_b32_e32 v16, 0
	;; [unrolled: 1-line block ×8, first 2 shown]
	s_and_saveexec_b32 s1, s0
	s_cbranch_execz .LBB162_38
; %bb.29:
	v_or_b32_e32 v14, 16, v34
	v_not_b32_e32 v17, v22
	v_sub_co_u32 v18, s0, v4, v34
	v_not_b32_e32 v16, v23
	v_sub_co_u32 v14, vcc_lo, v14, v4
	v_sub_co_ci_u32_e64 v15, null, 0, v5, vcc_lo
	v_subrev_co_ci_u32_e64 v19, null, 0, v5, s0
	v_add_co_u32 v14, vcc_lo, v14, v22
	v_add_co_ci_u32_e64 v15, null, v15, v23, vcc_lo
	v_cmp_gt_i64_e32 vcc_lo, v[14:15], v[6:7]
	v_cndmask_b32_e32 v20, v7, v15, vcc_lo
	v_cndmask_b32_e32 v14, v6, v14, vcc_lo
	v_add_co_u32 v15, vcc_lo, v18, v17
	v_add_co_ci_u32_e64 v16, null, v19, v16, vcc_lo
	v_mov_b32_e32 v18, 0
	v_add_co_u32 v22, vcc_lo, v15, v14
	v_mov_b32_e32 v15, 0
	v_add_co_ci_u32_e64 v23, null, v16, v20, vcc_lo
	v_and_b32_e32 v14, 48, v22
	v_mov_b32_e32 v20, 0
	v_mov_b32_e32 v16, 0
	;; [unrolled: 1-line block ×4, first 2 shown]
	v_cmp_ne_u64_e32 vcc_lo, 48, v[14:15]
	v_mov_b32_e32 v14, 0
	v_mov_b32_e32 v17, 0
	;; [unrolled: 1-line block ×3, first 2 shown]
	s_and_saveexec_b32 s6, vcc_lo
	s_cbranch_execz .LBB162_33
; %bb.30:
	v_lshrrev_b32_e32 v14, 4, v22
	v_lshlrev_b64 v[24:25], 3, v[0:1]
	v_mov_b32_e32 v16, 0
	v_mov_b32_e32 v18, 0
	v_mov_b32_e32 v20, 0
	v_add_nc_u32_e32 v26, 1, v14
	v_mov_b32_e32 v14, 0
	v_add_co_u32 v24, vcc_lo, s12, v24
	v_mov_b32_e32 v15, 0
	v_and_b32_e32 v26, 3, v26
	v_mov_b32_e32 v17, 0
	v_mov_b32_e32 v19, 0
	;; [unrolled: 1-line block ×3, first 2 shown]
	v_add_co_ci_u32_e64 v25, null, s13, v25, vcc_lo
	v_sub_co_u32 v26, s0, 0, v26
	v_sub_co_ci_u32_e64 v27, null, 0, 0, s0
	s_mov_b32 s7, 0
.LBB162_31:                             ; =>This Inner Loop Header: Depth=1
	global_load_dwordx2 v[32:33], v[24:25], off
	s_clause 0x1
	global_load_dwordx4 v[28:31], v[12:13], off offset:16
	global_load_dwordx4 v[35:38], v[12:13], off
	v_add_co_u32 v24, s0, 0x80, v24
	v_add_co_ci_u32_e64 v25, null, 0, v25, s0
	s_waitcnt vmcnt(2)
	v_sub_co_u32 v32, vcc_lo, v32, v4
	v_sub_co_ci_u32_e64 v33, null, v33, v5, vcc_lo
	s_waitcnt vmcnt(0)
	v_cvt_f64_f32_e32 v[55:56], v37
	v_cvt_f64_f32_e32 v[37:38], v38
	;; [unrolled: 1-line block ×3, first 2 shown]
	v_lshlrev_b64 v[32:33], 5, v[32:33]
	v_cvt_f64_f32_e32 v[28:29], v29
	v_cvt_f64_f32_e32 v[59:60], v30
	;; [unrolled: 1-line block ×3, first 2 shown]
	v_add_co_u32 v32, vcc_lo, s2, v32
	v_add_co_ci_u32_e64 v33, null, s3, v33, vcc_lo
	s_clause 0x1
	global_load_dwordx4 v[39:42], v[32:33], off
	global_load_dwordx4 v[43:46], v[32:33], off offset:16
	s_clause 0x1
	global_load_dwordx4 v[47:50], v[12:13], off offset:32
	global_load_dwordx4 v[51:54], v[12:13], off offset:48
	v_cvt_f64_f32_e32 v[32:33], v35
	v_cvt_f64_f32_e32 v[35:36], v36
	v_add_co_u32 v12, vcc_lo, 0x400, v12
	v_add_co_ci_u32_e64 v13, null, 0, v13, vcc_lo
	v_add_co_u32 v26, vcc_lo, v26, 1
	v_add_co_ci_u32_e64 v27, null, 0, v27, vcc_lo
	v_add_co_u32 v0, vcc_lo, v0, 16
	v_add_co_ci_u32_e64 v1, null, 0, v1, vcc_lo
	v_cmp_eq_u64_e32 vcc_lo, 0, v[26:27]
	s_or_b32 s7, vcc_lo, s7
	s_waitcnt vmcnt(3)
	v_fma_f64 v[20:21], v[32:33], v[39:40], v[20:21]
	v_fma_f64 v[18:19], v[35:36], v[39:40], v[18:19]
	;; [unrolled: 1-line block ×4, first 2 shown]
	s_waitcnt vmcnt(1)
	v_cvt_f64_f32_e32 v[32:33], v47
	v_cvt_f64_f32_e32 v[35:36], v48
	;; [unrolled: 1-line block ×4, first 2 shown]
	s_waitcnt vmcnt(0)
	v_cvt_f64_f32_e32 v[47:48], v54
	v_fma_f64 v[20:21], v[57:58], v[41:42], v[20:21]
	v_fma_f64 v[18:19], v[28:29], v[41:42], v[18:19]
	;; [unrolled: 1-line block ×4, first 2 shown]
	v_cvt_f64_f32_e32 v[28:29], v51
	v_cvt_f64_f32_e32 v[30:31], v52
	;; [unrolled: 1-line block ×3, first 2 shown]
	v_fma_f64 v[20:21], v[32:33], v[43:44], v[20:21]
	v_fma_f64 v[18:19], v[35:36], v[43:44], v[18:19]
	;; [unrolled: 1-line block ×8, first 2 shown]
	s_andn2_b32 exec_lo, exec_lo, s7
	s_cbranch_execnz .LBB162_31
; %bb.32:
	s_or_b32 exec_lo, exec_lo, s7
.LBB162_33:
	s_or_b32 exec_lo, exec_lo, s6
	s_mov_b32 s6, exec_lo
	v_cmpx_lt_u64_e32 47, v[22:23]
	s_cbranch_execz .LBB162_37
; %bb.34:
	v_lshlrev_b64 v[22:23], 3, v[0:1]
	s_mov_b32 s7, 0
	v_add_co_u32 v22, vcc_lo, s12, v22
	v_add_co_ci_u32_e64 v23, null, s13, v23, vcc_lo
	v_add_co_u32 v22, vcc_lo, 0x100, v22
	v_add_co_ci_u32_e64 v23, null, 0, v23, vcc_lo
.LBB162_35:                             ; =>This Inner Loop Header: Depth=1
	s_clause 0x2
	global_load_dwordx2 v[32:33], v[22:23], off offset:-256
	global_load_dwordx2 v[55:56], v[22:23], off offset:-128
	global_load_dwordx2 v[79:80], v[22:23], off
	s_clause 0x3
	global_load_dwordx4 v[24:27], v[12:13], off
	global_load_dwordx4 v[28:31], v[12:13], off offset:16
	global_load_dwordx4 v[35:38], v[12:13], off offset:32
	;; [unrolled: 1-line block ×3, first 2 shown]
	global_load_dwordx2 v[95:96], v[22:23], off offset:128
	s_waitcnt vmcnt(7)
	v_sub_co_u32 v32, vcc_lo, v32, v4
	v_sub_co_ci_u32_e64 v33, null, v33, v5, vcc_lo
	s_waitcnt vmcnt(4)
	v_cvt_f64_f32_e32 v[99:100], v24
	v_cvt_f64_f32_e32 v[101:102], v25
	;; [unrolled: 1-line block ×3, first 2 shown]
	v_lshlrev_b64 v[32:33], 5, v[32:33]
	v_cvt_f64_f32_e32 v[105:106], v27
	s_waitcnt vmcnt(3)
	v_cvt_f64_f32_e32 v[107:108], v28
	v_cvt_f64_f32_e32 v[109:110], v29
	;; [unrolled: 1-line block ×4, first 2 shown]
	v_add_co_u32 v32, vcc_lo, s2, v32
	v_add_co_ci_u32_e64 v33, null, s3, v33, vcc_lo
	s_waitcnt vmcnt(2)
	v_cvt_f64_f32_e32 v[115:116], v35
	v_cvt_f64_f32_e32 v[117:118], v36
	;; [unrolled: 1-line block ×3, first 2 shown]
	s_clause 0x1
	global_load_dwordx4 v[43:46], v[32:33], off
	global_load_dwordx4 v[47:50], v[32:33], off offset:16
	global_load_dwordx4 v[51:54], v[12:13], off offset:1024
	v_sub_co_u32 v32, vcc_lo, v55, v4
	v_sub_co_ci_u32_e64 v33, null, v56, v5, vcc_lo
	v_cvt_f64_f32_e32 v[121:122], v38
	v_lshlrev_b64 v[32:33], 5, v[32:33]
	v_add_co_u32 v32, vcc_lo, s2, v32
	v_add_co_ci_u32_e64 v33, null, s3, v33, vcc_lo
	global_load_dwordx4 v[55:58], v[12:13], off offset:1040
	global_load_dwordx4 v[59:62], v[32:33], off
	s_clause 0x1
	global_load_dwordx4 v[63:66], v[12:13], off offset:1056
	global_load_dwordx4 v[67:70], v[12:13], off offset:1072
	global_load_dwordx4 v[71:74], v[32:33], off offset:16
	v_add_co_u32 v32, vcc_lo, 0x800, v12
	v_add_co_ci_u32_e64 v33, null, 0, v13, vcc_lo
	v_sub_co_u32 v79, vcc_lo, v79, v4
	v_sub_co_ci_u32_e64 v80, null, v80, v5, vcc_lo
	global_load_dwordx4 v[75:78], v[32:33], off
	v_add_co_u32 v12, s0, 0x1000, v12
	v_lshlrev_b64 v[79:80], 5, v[79:80]
	v_add_co_ci_u32_e64 v13, null, 0, v13, s0
	v_add_co_u32 v97, vcc_lo, s2, v79
	v_add_co_ci_u32_e64 v98, null, s3, v80, vcc_lo
	global_load_dwordx4 v[79:82], v[32:33], off offset:16
	global_load_dwordx4 v[83:86], v[97:98], off
	s_clause 0x1
	global_load_dwordx4 v[87:90], v[32:33], off offset:32
	global_load_dwordx4 v[91:94], v[32:33], off offset:48
	;; [unrolled: 1-line block ×3, first 2 shown]
	s_waitcnt vmcnt(14)
	v_sub_co_u32 v28, vcc_lo, v95, v4
	v_sub_co_ci_u32_e64 v29, null, v96, v5, vcc_lo
	v_lshlrev_b64 v[28:29], 5, v[28:29]
	v_add_co_u32 v123, vcc_lo, s2, v28
	v_add_co_ci_u32_e64 v124, null, s3, v29, vcc_lo
	global_load_dwordx4 v[28:31], v[32:33], off offset:1024
	v_add_co_u32 v0, vcc_lo, v0, 64
	global_load_dwordx4 v[35:38], v[123:124], off
	v_add_co_ci_u32_e64 v1, null, 0, v1, vcc_lo
	v_add_co_u32 v22, vcc_lo, 0x200, v22
	v_add_co_ci_u32_e64 v23, null, 0, v23, vcc_lo
	v_cmp_ge_i64_e32 vcc_lo, v[0:1], v[6:7]
	s_or_b32 s7, vcc_lo, s7
	s_waitcnt vmcnt(15)
	v_fma_f64 v[95:96], v[101:102], v[43:44], v[18:19]
	v_fma_f64 v[97:98], v[103:104], v[43:44], v[16:17]
	global_load_dwordx4 v[16:19], v[32:33], off offset:1040
	v_fma_f64 v[20:21], v[99:100], v[43:44], v[20:21]
	v_fma_f64 v[14:15], v[105:106], v[43:44], v[14:15]
	v_cvt_f64_f32_e32 v[103:104], v39
	v_cvt_f64_f32_e32 v[105:106], v40
	v_fma_f64 v[99:100], v[109:110], v[45:46], v[95:96]
	v_fma_f64 v[101:102], v[111:112], v[45:46], v[97:98]
	global_load_dwordx4 v[95:98], v[32:33], off offset:1056
	v_fma_f64 v[20:21], v[107:108], v[45:46], v[20:21]
	v_fma_f64 v[14:15], v[113:114], v[45:46], v[14:15]
	v_cvt_f64_f32_e32 v[107:108], v41
	v_cvt_f64_f32_e32 v[109:110], v42
	global_load_dwordx4 v[39:42], v[32:33], off offset:1072
	global_load_dwordx4 v[43:46], v[123:124], off offset:16
	s_waitcnt vmcnt(18)
	v_fma_f64 v[32:33], v[117:118], v[47:48], v[99:100]
	v_fma_f64 v[99:100], v[119:120], v[47:48], v[101:102]
	s_waitcnt vmcnt(17)
	v_cvt_f64_f32_e32 v[101:102], v53
	v_fma_f64 v[20:21], v[115:116], v[47:48], v[20:21]
	v_fma_f64 v[14:15], v[121:122], v[47:48], v[14:15]
	v_cvt_f64_f32_e32 v[47:48], v51
	v_cvt_f64_f32_e32 v[51:52], v52
	;; [unrolled: 1-line block ×3, first 2 shown]
	v_fma_f64 v[32:33], v[105:106], v[49:50], v[32:33]
	v_fma_f64 v[99:100], v[107:108], v[49:50], v[99:100]
	;; [unrolled: 1-line block ×4, first 2 shown]
	s_waitcnt vmcnt(16)
	v_cvt_f64_f32_e32 v[49:50], v55
	v_cvt_f64_f32_e32 v[55:56], v56
	v_cvt_f64_f32_e32 v[103:104], v57
	v_cvt_f64_f32_e32 v[57:58], v58
	s_waitcnt vmcnt(15)
	v_fma_f64 v[32:33], v[51:52], v[59:60], v[32:33]
	s_waitcnt vmcnt(14)
	v_cvt_f64_f32_e32 v[51:52], v63
	v_fma_f64 v[20:21], v[47:48], v[59:60], v[20:21]
	v_fma_f64 v[47:48], v[101:102], v[59:60], v[99:100]
	v_fma_f64 v[14:15], v[53:54], v[59:60], v[14:15]
	v_cvt_f64_f32_e32 v[53:54], v64
	v_cvt_f64_f32_e32 v[59:60], v65
	v_cvt_f64_f32_e32 v[63:64], v66
	v_fma_f64 v[32:33], v[55:56], v[61:62], v[32:33]
	s_waitcnt vmcnt(13)
	v_cvt_f64_f32_e32 v[55:56], v68
	v_fma_f64 v[20:21], v[49:50], v[61:62], v[20:21]
	v_fma_f64 v[47:48], v[103:104], v[61:62], v[47:48]
	v_fma_f64 v[14:15], v[57:58], v[61:62], v[14:15]
	v_cvt_f64_f32_e32 v[49:50], v67
	v_cvt_f64_f32_e32 v[57:58], v69
	v_cvt_f64_f32_e32 v[61:62], v70
	s_waitcnt vmcnt(12)
	v_fma_f64 v[32:33], v[53:54], v[71:72], v[32:33]
	s_waitcnt vmcnt(11)
	v_cvt_f64_f32_e32 v[53:54], v76
	v_fma_f64 v[20:21], v[51:52], v[71:72], v[20:21]
	v_fma_f64 v[47:48], v[59:60], v[71:72], v[47:48]
	v_fma_f64 v[14:15], v[63:64], v[71:72], v[14:15]
	v_cvt_f64_f32_e32 v[51:52], v75
	v_cvt_f64_f32_e32 v[59:60], v77
	v_cvt_f64_f32_e32 v[63:64], v78
	v_fma_f64 v[32:33], v[55:56], v[73:74], v[32:33]
	s_waitcnt vmcnt(10)
	v_cvt_f64_f32_e32 v[55:56], v80
	v_fma_f64 v[20:21], v[49:50], v[73:74], v[20:21]
	v_fma_f64 v[47:48], v[57:58], v[73:74], v[47:48]
	v_fma_f64 v[14:15], v[61:62], v[73:74], v[14:15]
	v_cvt_f64_f32_e32 v[49:50], v79
	v_cvt_f64_f32_e32 v[57:58], v81
	v_cvt_f64_f32_e32 v[61:62], v82
	;; [unrolled: 19-line block ×3, first 2 shown]
	s_waitcnt vmcnt(6)
	v_fma_f64 v[32:33], v[53:54], v[24:25], v[32:33]
	v_fma_f64 v[20:21], v[51:52], v[24:25], v[20:21]
	;; [unrolled: 1-line block ×4, first 2 shown]
	s_waitcnt vmcnt(5)
	v_cvt_f64_f32_e32 v[24:25], v28
	v_cvt_f64_f32_e32 v[28:29], v29
	;; [unrolled: 1-line block ×4, first 2 shown]
	v_fma_f64 v[32:33], v[55:56], v[26:27], v[32:33]
	v_fma_f64 v[20:21], v[49:50], v[26:27], v[20:21]
	;; [unrolled: 1-line block ×4, first 2 shown]
	s_waitcnt vmcnt(4)
	v_fma_f64 v[20:21], v[24:25], v[35:36], v[20:21]
	v_fma_f64 v[24:25], v[28:29], v[35:36], v[32:33]
	;; [unrolled: 1-line block ×4, first 2 shown]
	s_waitcnt vmcnt(3)
	v_cvt_f64_f32_e32 v[26:27], v16
	v_cvt_f64_f32_e32 v[16:17], v17
	;; [unrolled: 1-line block ×4, first 2 shown]
	s_waitcnt vmcnt(2)
	v_cvt_f64_f32_e32 v[30:31], v95
	v_cvt_f64_f32_e32 v[32:33], v96
	;; [unrolled: 1-line block ×4, first 2 shown]
	v_fma_f64 v[20:21], v[26:27], v[37:38], v[20:21]
	v_fma_f64 v[16:17], v[16:17], v[37:38], v[24:25]
	;; [unrolled: 1-line block ×4, first 2 shown]
	s_waitcnt vmcnt(1)
	v_cvt_f64_f32_e32 v[18:19], v39
	v_cvt_f64_f32_e32 v[26:27], v40
	;; [unrolled: 1-line block ×4, first 2 shown]
	s_waitcnt vmcnt(0)
	v_fma_f64 v[20:21], v[30:31], v[43:44], v[20:21]
	v_fma_f64 v[16:17], v[32:33], v[43:44], v[16:17]
	;; [unrolled: 1-line block ×8, first 2 shown]
	s_andn2_b32 exec_lo, exec_lo, s7
	s_cbranch_execnz .LBB162_35
; %bb.36:
	s_or_b32 exec_lo, exec_lo, s7
.LBB162_37:
	s_or_b32 exec_lo, exec_lo, s6
.LBB162_38:
	s_or_b32 exec_lo, exec_lo, s1
.LBB162_39:
	v_mbcnt_lo_u32_b32 v24, -1, 0
	v_xor_b32_e32 v0, 8, v24
	v_cmp_gt_i32_e32 vcc_lo, 32, v0
	v_cndmask_b32_e32 v0, v24, v0, vcc_lo
	v_lshlrev_b32_e32 v13, 2, v0
	ds_bpermute_b32 v0, v13, v20
	ds_bpermute_b32 v1, v13, v21
	ds_bpermute_b32 v4, v13, v18
	ds_bpermute_b32 v5, v13, v19
	ds_bpermute_b32 v6, v13, v16
	ds_bpermute_b32 v7, v13, v17
	ds_bpermute_b32 v12, v13, v14
	ds_bpermute_b32 v13, v13, v15
	s_waitcnt lgkmcnt(6)
	v_add_f64 v[0:1], v[20:21], v[0:1]
	s_waitcnt lgkmcnt(4)
	v_add_f64 v[4:5], v[18:19], v[4:5]
	s_waitcnt lgkmcnt(2)
	v_add_f64 v[6:7], v[16:17], v[6:7]
	v_xor_b32_e32 v16, 4, v24
	s_waitcnt lgkmcnt(0)
	v_add_f64 v[12:13], v[14:15], v[12:13]
	v_cmp_gt_i32_e32 vcc_lo, 32, v16
	v_cndmask_b32_e32 v14, v24, v16, vcc_lo
	v_lshlrev_b32_e32 v21, 2, v14
	ds_bpermute_b32 v14, v21, v0
	ds_bpermute_b32 v15, v21, v1
	ds_bpermute_b32 v16, v21, v4
	ds_bpermute_b32 v17, v21, v5
	ds_bpermute_b32 v18, v21, v6
	ds_bpermute_b32 v19, v21, v7
	ds_bpermute_b32 v20, v21, v12
	ds_bpermute_b32 v21, v21, v13
	s_waitcnt lgkmcnt(6)
	v_add_f64 v[0:1], v[0:1], v[14:15]
	s_waitcnt lgkmcnt(4)
	v_add_f64 v[4:5], v[4:5], v[16:17]
	s_waitcnt lgkmcnt(2)
	v_add_f64 v[14:15], v[6:7], v[18:19]
	v_xor_b32_e32 v6, 2, v24
	s_waitcnt lgkmcnt(0)
	v_add_f64 v[16:17], v[12:13], v[20:21]
	;; [unrolled: 20-line block ×3, first 2 shown]
	v_cmp_gt_i32_e32 vcc_lo, 32, v14
	v_cndmask_b32_e32 v14, v24, v14, vcc_lo
	v_cmp_eq_u32_e32 vcc_lo, 15, v34
	v_lshlrev_b32_e32 v15, 2, v14
	ds_bpermute_b32 v20, v15, v12
	ds_bpermute_b32 v21, v15, v13
	;; [unrolled: 1-line block ×8, first 2 shown]
	s_and_b32 exec_lo, exec_lo, vcc_lo
	s_cbranch_execz .LBB162_10
; %bb.40:
	s_waitcnt lgkmcnt(6)
	v_add_f64 v[12:13], v[12:13], v[20:21]
	s_waitcnt lgkmcnt(4)
	v_add_f64 v[6:7], v[6:7], v[18:19]
	;; [unrolled: 2-line block ×4, first 2 shown]
	s_load_dwordx2 s[0:1], s[4:5], 0x58
	v_lshlrev_b64 v[10:11], 5, v[10:11]
	s_mov_b32 s2, exec_lo
	v_mul_f64 v[4:5], v[2:3], v[12:13]
	v_mul_f64 v[6:7], v[2:3], v[6:7]
	;; [unrolled: 1-line block ×4, first 2 shown]
	v_cmpx_eq_f64_e32 0, v[8:9]
	s_xor_b32 s2, exec_lo, s2
	s_cbranch_execz .LBB162_42
; %bb.41:
	s_waitcnt lgkmcnt(0)
	v_add_co_u32 v8, vcc_lo, s0, v10
	v_add_co_ci_u32_e64 v9, null, s1, v11, vcc_lo
                                        ; implicit-def: $vgpr10_vgpr11
	global_store_dwordx4 v[8:9], v[4:7], off
	global_store_dwordx4 v[8:9], v[0:3], off offset:16
                                        ; implicit-def: $vgpr8_vgpr9
                                        ; implicit-def: $vgpr4_vgpr5
                                        ; implicit-def: $vgpr0_vgpr1
.LBB162_42:
	s_andn2_saveexec_b32 s2, s2
	s_cbranch_execz .LBB162_10
; %bb.43:
	s_waitcnt lgkmcnt(0)
	v_add_co_u32 v18, vcc_lo, s0, v10
	v_add_co_ci_u32_e64 v19, null, s1, v11, vcc_lo
	s_clause 0x1
	global_load_dwordx4 v[10:13], v[18:19], off
	global_load_dwordx4 v[14:17], v[18:19], off offset:16
	s_waitcnt vmcnt(1)
	v_fma_f64 v[4:5], v[8:9], v[10:11], v[4:5]
	v_fma_f64 v[6:7], v[8:9], v[12:13], v[6:7]
	s_waitcnt vmcnt(0)
	v_fma_f64 v[0:1], v[8:9], v[14:15], v[0:1]
	v_fma_f64 v[2:3], v[8:9], v[16:17], v[2:3]
	global_store_dwordx4 v[18:19], v[4:7], off
	global_store_dwordx4 v[18:19], v[0:3], off offset:16
	s_endpgm
	.section	.rodata,"a",@progbits
	.p2align	6, 0x0
	.amdhsa_kernel _ZN9rocsparseL18bsrxmvn_4x4_kernelILj128ELj16EdllfddEEvT3_20rocsparse_direction_NS_24const_host_device_scalarIT1_EES1_PKS1_PKT2_SA_S7_PKT4_PKT5_S5_PT6_21rocsparse_index_base_b
		.amdhsa_group_segment_fixed_size 0
		.amdhsa_private_segment_fixed_size 0
		.amdhsa_kernarg_size 104
		.amdhsa_user_sgpr_count 6
		.amdhsa_user_sgpr_private_segment_buffer 1
		.amdhsa_user_sgpr_dispatch_ptr 0
		.amdhsa_user_sgpr_queue_ptr 0
		.amdhsa_user_sgpr_kernarg_segment_ptr 1
		.amdhsa_user_sgpr_dispatch_id 0
		.amdhsa_user_sgpr_flat_scratch_init 0
		.amdhsa_user_sgpr_private_segment_size 0
		.amdhsa_wavefront_size32 1
		.amdhsa_uses_dynamic_stack 0
		.amdhsa_system_sgpr_private_segment_wavefront_offset 0
		.amdhsa_system_sgpr_workgroup_id_x 1
		.amdhsa_system_sgpr_workgroup_id_y 0
		.amdhsa_system_sgpr_workgroup_id_z 0
		.amdhsa_system_sgpr_workgroup_info 0
		.amdhsa_system_vgpr_workitem_id 0
		.amdhsa_next_free_vgpr 135
		.amdhsa_next_free_sgpr 16
		.amdhsa_reserve_vcc 1
		.amdhsa_reserve_flat_scratch 0
		.amdhsa_float_round_mode_32 0
		.amdhsa_float_round_mode_16_64 0
		.amdhsa_float_denorm_mode_32 3
		.amdhsa_float_denorm_mode_16_64 3
		.amdhsa_dx10_clamp 1
		.amdhsa_ieee_mode 1
		.amdhsa_fp16_overflow 0
		.amdhsa_workgroup_processor_mode 1
		.amdhsa_memory_ordered 1
		.amdhsa_forward_progress 1
		.amdhsa_shared_vgpr_count 0
		.amdhsa_exception_fp_ieee_invalid_op 0
		.amdhsa_exception_fp_denorm_src 0
		.amdhsa_exception_fp_ieee_div_zero 0
		.amdhsa_exception_fp_ieee_overflow 0
		.amdhsa_exception_fp_ieee_underflow 0
		.amdhsa_exception_fp_ieee_inexact 0
		.amdhsa_exception_int_div_zero 0
	.end_amdhsa_kernel
	.section	.text._ZN9rocsparseL18bsrxmvn_4x4_kernelILj128ELj16EdllfddEEvT3_20rocsparse_direction_NS_24const_host_device_scalarIT1_EES1_PKS1_PKT2_SA_S7_PKT4_PKT5_S5_PT6_21rocsparse_index_base_b,"axG",@progbits,_ZN9rocsparseL18bsrxmvn_4x4_kernelILj128ELj16EdllfddEEvT3_20rocsparse_direction_NS_24const_host_device_scalarIT1_EES1_PKS1_PKT2_SA_S7_PKT4_PKT5_S5_PT6_21rocsparse_index_base_b,comdat
.Lfunc_end162:
	.size	_ZN9rocsparseL18bsrxmvn_4x4_kernelILj128ELj16EdllfddEEvT3_20rocsparse_direction_NS_24const_host_device_scalarIT1_EES1_PKS1_PKT2_SA_S7_PKT4_PKT5_S5_PT6_21rocsparse_index_base_b, .Lfunc_end162-_ZN9rocsparseL18bsrxmvn_4x4_kernelILj128ELj16EdllfddEEvT3_20rocsparse_direction_NS_24const_host_device_scalarIT1_EES1_PKS1_PKT2_SA_S7_PKT4_PKT5_S5_PT6_21rocsparse_index_base_b
                                        ; -- End function
	.set _ZN9rocsparseL18bsrxmvn_4x4_kernelILj128ELj16EdllfddEEvT3_20rocsparse_direction_NS_24const_host_device_scalarIT1_EES1_PKS1_PKT2_SA_S7_PKT4_PKT5_S5_PT6_21rocsparse_index_base_b.num_vgpr, 135
	.set _ZN9rocsparseL18bsrxmvn_4x4_kernelILj128ELj16EdllfddEEvT3_20rocsparse_direction_NS_24const_host_device_scalarIT1_EES1_PKS1_PKT2_SA_S7_PKT4_PKT5_S5_PT6_21rocsparse_index_base_b.num_agpr, 0
	.set _ZN9rocsparseL18bsrxmvn_4x4_kernelILj128ELj16EdllfddEEvT3_20rocsparse_direction_NS_24const_host_device_scalarIT1_EES1_PKS1_PKT2_SA_S7_PKT4_PKT5_S5_PT6_21rocsparse_index_base_b.numbered_sgpr, 16
	.set _ZN9rocsparseL18bsrxmvn_4x4_kernelILj128ELj16EdllfddEEvT3_20rocsparse_direction_NS_24const_host_device_scalarIT1_EES1_PKS1_PKT2_SA_S7_PKT4_PKT5_S5_PT6_21rocsparse_index_base_b.num_named_barrier, 0
	.set _ZN9rocsparseL18bsrxmvn_4x4_kernelILj128ELj16EdllfddEEvT3_20rocsparse_direction_NS_24const_host_device_scalarIT1_EES1_PKS1_PKT2_SA_S7_PKT4_PKT5_S5_PT6_21rocsparse_index_base_b.private_seg_size, 0
	.set _ZN9rocsparseL18bsrxmvn_4x4_kernelILj128ELj16EdllfddEEvT3_20rocsparse_direction_NS_24const_host_device_scalarIT1_EES1_PKS1_PKT2_SA_S7_PKT4_PKT5_S5_PT6_21rocsparse_index_base_b.uses_vcc, 1
	.set _ZN9rocsparseL18bsrxmvn_4x4_kernelILj128ELj16EdllfddEEvT3_20rocsparse_direction_NS_24const_host_device_scalarIT1_EES1_PKS1_PKT2_SA_S7_PKT4_PKT5_S5_PT6_21rocsparse_index_base_b.uses_flat_scratch, 0
	.set _ZN9rocsparseL18bsrxmvn_4x4_kernelILj128ELj16EdllfddEEvT3_20rocsparse_direction_NS_24const_host_device_scalarIT1_EES1_PKS1_PKT2_SA_S7_PKT4_PKT5_S5_PT6_21rocsparse_index_base_b.has_dyn_sized_stack, 0
	.set _ZN9rocsparseL18bsrxmvn_4x4_kernelILj128ELj16EdllfddEEvT3_20rocsparse_direction_NS_24const_host_device_scalarIT1_EES1_PKS1_PKT2_SA_S7_PKT4_PKT5_S5_PT6_21rocsparse_index_base_b.has_recursion, 0
	.set _ZN9rocsparseL18bsrxmvn_4x4_kernelILj128ELj16EdllfddEEvT3_20rocsparse_direction_NS_24const_host_device_scalarIT1_EES1_PKS1_PKT2_SA_S7_PKT4_PKT5_S5_PT6_21rocsparse_index_base_b.has_indirect_call, 0
	.section	.AMDGPU.csdata,"",@progbits
; Kernel info:
; codeLenInByte = 5616
; TotalNumSgprs: 18
; NumVgprs: 135
; ScratchSize: 0
; MemoryBound: 0
; FloatMode: 240
; IeeeMode: 1
; LDSByteSize: 0 bytes/workgroup (compile time only)
; SGPRBlocks: 0
; VGPRBlocks: 16
; NumSGPRsForWavesPerEU: 18
; NumVGPRsForWavesPerEU: 135
; Occupancy: 7
; WaveLimiterHint : 1
; COMPUTE_PGM_RSRC2:SCRATCH_EN: 0
; COMPUTE_PGM_RSRC2:USER_SGPR: 6
; COMPUTE_PGM_RSRC2:TRAP_HANDLER: 0
; COMPUTE_PGM_RSRC2:TGID_X_EN: 1
; COMPUTE_PGM_RSRC2:TGID_Y_EN: 0
; COMPUTE_PGM_RSRC2:TGID_Z_EN: 0
; COMPUTE_PGM_RSRC2:TIDIG_COMP_CNT: 0
	.section	.text._ZN9rocsparseL18bsrxmvn_4x4_kernelILj128ELj32EdllfddEEvT3_20rocsparse_direction_NS_24const_host_device_scalarIT1_EES1_PKS1_PKT2_SA_S7_PKT4_PKT5_S5_PT6_21rocsparse_index_base_b,"axG",@progbits,_ZN9rocsparseL18bsrxmvn_4x4_kernelILj128ELj32EdllfddEEvT3_20rocsparse_direction_NS_24const_host_device_scalarIT1_EES1_PKS1_PKT2_SA_S7_PKT4_PKT5_S5_PT6_21rocsparse_index_base_b,comdat
	.globl	_ZN9rocsparseL18bsrxmvn_4x4_kernelILj128ELj32EdllfddEEvT3_20rocsparse_direction_NS_24const_host_device_scalarIT1_EES1_PKS1_PKT2_SA_S7_PKT4_PKT5_S5_PT6_21rocsparse_index_base_b ; -- Begin function _ZN9rocsparseL18bsrxmvn_4x4_kernelILj128ELj32EdllfddEEvT3_20rocsparse_direction_NS_24const_host_device_scalarIT1_EES1_PKS1_PKT2_SA_S7_PKT4_PKT5_S5_PT6_21rocsparse_index_base_b
	.p2align	8
	.type	_ZN9rocsparseL18bsrxmvn_4x4_kernelILj128ELj32EdllfddEEvT3_20rocsparse_direction_NS_24const_host_device_scalarIT1_EES1_PKS1_PKT2_SA_S7_PKT4_PKT5_S5_PT6_21rocsparse_index_base_b,@function
_ZN9rocsparseL18bsrxmvn_4x4_kernelILj128ELj32EdllfddEEvT3_20rocsparse_direction_NS_24const_host_device_scalarIT1_EES1_PKS1_PKT2_SA_S7_PKT4_PKT5_S5_PT6_21rocsparse_index_base_b: ; @_ZN9rocsparseL18bsrxmvn_4x4_kernelILj128ELj32EdllfddEEvT3_20rocsparse_direction_NS_24const_host_device_scalarIT1_EES1_PKS1_PKT2_SA_S7_PKT4_PKT5_S5_PT6_21rocsparse_index_base_b
; %bb.0:
	s_clause 0x2
	s_load_dwordx2 s[8:9], s[4:5], 0x60
	s_load_dwordx4 s[0:3], s[4:5], 0x10
	s_load_dwordx2 s[10:11], s[4:5], 0x50
	s_waitcnt lgkmcnt(0)
	s_bitcmp1_b32 s9, 0
	v_mov_b32_e32 v3, s1
	v_mov_b32_e32 v2, s0
	s_cselect_b32 s7, -1, 0
	s_and_b32 vcc_lo, exec_lo, s7
	s_xor_b32 s7, s7, -1
	s_cbranch_vccnz .LBB163_2
; %bb.1:
	v_mov_b32_e32 v2, s1
	v_mov_b32_e32 v1, s0
	flat_load_dwordx2 v[2:3], v[1:2]
.LBB163_2:
	v_mov_b32_e32 v8, s10
	v_mov_b32_e32 v9, s11
	s_andn2_b32 vcc_lo, exec_lo, s7
	s_cbranch_vccnz .LBB163_4
; %bb.3:
	v_mov_b32_e32 v4, s10
	v_mov_b32_e32 v5, s11
	flat_load_dwordx2 v[8:9], v[4:5]
.LBB163_4:
	s_waitcnt vmcnt(0) lgkmcnt(0)
	v_cmp_neq_f64_e32 vcc_lo, 0, v[2:3]
	v_cmp_neq_f64_e64 s0, 1.0, v[8:9]
	s_or_b32 s0, vcc_lo, s0
	s_and_saveexec_b32 s1, s0
	s_cbranch_execz .LBB163_10
; %bb.5:
	s_load_dwordx2 s[0:1], s[4:5], 0x20
	v_lshrrev_b32_e32 v1, 5, v0
	v_mov_b32_e32 v7, 0
	v_lshl_or_b32 v6, s6, 2, v1
	s_waitcnt lgkmcnt(0)
	s_cmp_lg_u64 s[0:1], 0
	s_cbranch_scc0 .LBB163_11
; %bb.6:
	v_cmp_gt_i64_e32 vcc_lo, s[2:3], v[6:7]
	s_mov_b32 s3, 0
	s_mov_b32 s2, 0
                                        ; implicit-def: $vgpr10_vgpr11
                                        ; implicit-def: $vgpr4_vgpr5
	s_and_saveexec_b32 s6, vcc_lo
	s_xor_b32 s6, exec_lo, s6
	s_cbranch_execz .LBB163_8
; %bb.7:
	v_lshlrev_b64 v[4:5], 3, v[6:7]
	s_mov_b32 s9, 0
	s_mov_b32 s2, exec_lo
	v_add_co_u32 v4, vcc_lo, s0, v4
	v_add_co_ci_u32_e64 v5, null, s1, v5, vcc_lo
	global_load_dwordx2 v[4:5], v[4:5], off
	s_waitcnt vmcnt(0)
	v_sub_co_u32 v10, vcc_lo, v4, s8
	v_subrev_co_ci_u32_e64 v11, null, 0, v5, vcc_lo
	v_mov_b32_e32 v4, s8
	v_mov_b32_e32 v5, s9
.LBB163_8:
	s_or_b32 exec_lo, exec_lo, s6
	s_and_b32 vcc_lo, exec_lo, s3
	s_cbranch_vccnz .LBB163_12
.LBB163_9:
	s_and_b32 exec_lo, exec_lo, s2
	s_cbranch_execnz .LBB163_15
.LBB163_10:
	s_endpgm
.LBB163_11:
	s_mov_b32 s2, 0
                                        ; implicit-def: $vgpr10_vgpr11
                                        ; implicit-def: $vgpr4_vgpr5
	s_cbranch_execz .LBB163_9
.LBB163_12:
	s_load_dwordx2 s[0:1], s[4:5], 0x0
	s_waitcnt lgkmcnt(0)
	v_cmp_gt_i64_e32 vcc_lo, s[0:1], v[6:7]
	s_and_saveexec_b32 s0, vcc_lo
; %bb.13:
	s_mov_b32 s9, 0
	s_or_b32 s2, s2, exec_lo
; %bb.14:
	s_or_b32 exec_lo, exec_lo, s0
	v_mov_b32_e32 v4, s8
	v_mov_b32_e32 v11, v7
	;; [unrolled: 1-line block ×4, first 2 shown]
	s_and_b32 exec_lo, exec_lo, s2
	s_cbranch_execz .LBB163_10
.LBB163_15:
	s_load_dwordx8 s[8:15], s[4:5], 0x28
	v_lshlrev_b64 v[6:7], 3, v[10:11]
	v_and_b32_e32 v34, 31, v0
	s_clause 0x1
	s_load_dword s1, s[4:5], 0x8
	s_load_dwordx2 s[2:3], s[4:5], 0x48
	s_waitcnt lgkmcnt(0)
	v_add_co_u32 v12, vcc_lo, s8, v6
	v_add_co_ci_u32_e64 v13, null, s9, v7, vcc_lo
	v_add_co_u32 v1, vcc_lo, s10, v6
	v_add_co_ci_u32_e64 v6, null, s11, v7, vcc_lo
	v_add_co_u32 v14, vcc_lo, v12, 8
	global_load_dwordx2 v[22:23], v[12:13], off
	v_add_co_ci_u32_e64 v7, null, 0, v13, vcc_lo
	s_cmp_eq_u64 s[10:11], 0
	s_cselect_b32 vcc_lo, -1, 0
	s_cmp_eq_u32 s1, 1
	v_cndmask_b32_e32 v7, v6, v7, vcc_lo
	v_cndmask_b32_e32 v6, v1, v14, vcc_lo
	global_load_dwordx2 v[6:7], v[6:7], off
	s_waitcnt vmcnt(1)
	v_sub_co_u32 v0, vcc_lo, v22, v4
	v_sub_co_ci_u32_e64 v1, null, v23, v5, vcc_lo
	v_add_co_u32 v0, vcc_lo, v0, v34
	v_add_co_ci_u32_e64 v1, null, 0, v1, vcc_lo
	v_lshlrev_b64 v[12:13], 6, v[0:1]
	s_waitcnt vmcnt(0)
	v_sub_co_u32 v6, vcc_lo, v6, v4
	v_sub_co_ci_u32_e64 v7, null, v7, v5, vcc_lo
	v_add_co_u32 v12, vcc_lo, s14, v12
	v_cmp_lt_i64_e64 s0, v[0:1], v[6:7]
	v_add_co_ci_u32_e64 v13, null, s15, v13, vcc_lo
	s_cbranch_scc1 .LBB163_27
; %bb.16:
	v_mov_b32_e32 v14, 0
	v_mov_b32_e32 v16, 0
	;; [unrolled: 1-line block ×8, first 2 shown]
	s_and_saveexec_b32 s6, s0
	s_cbranch_execz .LBB163_26
; %bb.17:
	v_or_b32_e32 v14, 32, v34
	v_not_b32_e32 v17, v22
	v_sub_co_u32 v18, s1, v4, v34
	v_not_b32_e32 v16, v23
	v_sub_co_u32 v14, vcc_lo, v14, v4
	v_sub_co_ci_u32_e64 v15, null, 0, v5, vcc_lo
	v_subrev_co_ci_u32_e64 v19, null, 0, v5, s1
	v_add_co_u32 v14, vcc_lo, v14, v22
	v_add_co_ci_u32_e64 v15, null, v15, v23, vcc_lo
	v_mov_b32_e32 v25, 0
	v_mov_b32_e32 v20, 0
	;; [unrolled: 1-line block ×3, first 2 shown]
	v_cmp_gt_i64_e32 vcc_lo, v[14:15], v[6:7]
	v_mov_b32_e32 v21, 0
	v_mov_b32_e32 v26, v0
	v_cndmask_b32_e32 v15, v7, v15, vcc_lo
	v_cndmask_b32_e32 v14, v6, v14, vcc_lo
	v_add_co_u32 v17, vcc_lo, v18, v17
	v_add_co_ci_u32_e64 v16, null, v19, v16, vcc_lo
	v_mov_b32_e32 v18, 0
	v_add_co_u32 v28, vcc_lo, v17, v14
	v_add_co_ci_u32_e64 v29, null, v16, v15, vcc_lo
	v_mov_b32_e32 v16, 0
	v_and_b32_e32 v24, 0x60, v28
	v_mov_b32_e32 v14, 0
	v_mov_b32_e32 v19, 0
	;; [unrolled: 1-line block ×4, first 2 shown]
	v_cmp_ne_u64_e32 vcc_lo, 0x60, v[24:25]
	v_mov_b32_e32 v25, v13
	v_mov_b32_e32 v24, v12
	s_and_saveexec_b32 s7, vcc_lo
	s_cbranch_execz .LBB163_21
; %bb.18:
	v_lshrrev_b32_e32 v14, 5, v28
	v_lshlrev_b64 v[20:21], 3, v[0:1]
	v_mov_b32_e32 v25, v13
	v_mov_b32_e32 v16, 0
	;; [unrolled: 1-line block ×3, first 2 shown]
	v_add_nc_u32_e32 v26, 1, v14
	v_mov_b32_e32 v14, 0
	v_add_co_u32 v30, vcc_lo, s12, v20
	v_add_co_ci_u32_e64 v31, null, s13, v21, vcc_lo
	v_and_b32_e32 v26, 3, v26
	v_mov_b32_e32 v20, 0
	v_mov_b32_e32 v15, 0
	;; [unrolled: 1-line block ×4, first 2 shown]
	v_sub_co_u32 v32, s1, 0, v26
	v_mov_b32_e32 v27, v1
	v_mov_b32_e32 v19, 0
	v_sub_co_ci_u32_e64 v33, null, 0, 0, s1
	v_mov_b32_e32 v21, 0
	v_mov_b32_e32 v26, v0
	s_mov_b32 s8, 0
.LBB163_19:                             ; =>This Inner Loop Header: Depth=1
	global_load_dwordx2 v[51:52], v[30:31], off
	s_clause 0x3
	global_load_dwordx4 v[35:38], v[24:25], off offset:48
	global_load_dwordx4 v[39:42], v[24:25], off offset:32
	;; [unrolled: 1-line block ×3, first 2 shown]
	global_load_dwordx4 v[47:50], v[24:25], off
	v_add_co_u32 v30, s1, 0x100, v30
	v_add_co_ci_u32_e64 v31, null, 0, v31, s1
	s_waitcnt vmcnt(4)
	v_sub_co_u32 v51, vcc_lo, v51, v4
	v_sub_co_ci_u32_e64 v52, null, v52, v5, vcc_lo
	s_waitcnt vmcnt(0)
	v_cvt_f64_f32_e32 v[59:60], v47
	v_cvt_f64_f32_e32 v[61:62], v43
	;; [unrolled: 1-line block ×3, first 2 shown]
	v_lshlrev_b64 v[51:52], 5, v[51:52]
	v_cvt_f64_f32_e32 v[65:66], v35
	v_cvt_f64_f32_e32 v[47:48], v48
	;; [unrolled: 1-line block ×5, first 2 shown]
	v_add_co_u32 v55, vcc_lo, s2, v51
	v_add_co_ci_u32_e64 v56, null, s3, v52, vcc_lo
	v_add_co_u32 v24, vcc_lo, 0x800, v24
	v_add_co_ci_u32_e64 v25, null, 0, v25, vcc_lo
	s_clause 0x1
	global_load_dwordx4 v[51:54], v[55:56], off
	global_load_dwordx4 v[55:58], v[55:56], off offset:16
	v_add_co_u32 v32, vcc_lo, v32, 1
	v_add_co_ci_u32_e64 v33, null, 0, v33, vcc_lo
	v_add_co_u32 v26, vcc_lo, v26, 32
	v_add_co_ci_u32_e64 v27, null, 0, v27, vcc_lo
	v_cmp_eq_u64_e32 vcc_lo, 0, v[32:33]
	s_or_b32 s8, vcc_lo, s8
	s_waitcnt vmcnt(1)
	v_fma_f64 v[20:21], v[59:60], v[51:52], v[20:21]
	v_fma_f64 v[18:19], v[61:62], v[51:52], v[18:19]
	;; [unrolled: 1-line block ×4, first 2 shown]
	v_cvt_f64_f32_e32 v[51:52], v49
	v_cvt_f64_f32_e32 v[59:60], v45
	;; [unrolled: 1-line block ×6, first 2 shown]
	v_fma_f64 v[20:21], v[47:48], v[53:54], v[20:21]
	v_fma_f64 v[18:19], v[43:44], v[53:54], v[18:19]
	;; [unrolled: 1-line block ×4, first 2 shown]
	v_cvt_f64_f32_e32 v[35:36], v50
	v_cvt_f64_f32_e32 v[39:40], v46
	s_waitcnt vmcnt(0)
	v_fma_f64 v[20:21], v[51:52], v[55:56], v[20:21]
	v_fma_f64 v[18:19], v[59:60], v[55:56], v[18:19]
	;; [unrolled: 1-line block ×8, first 2 shown]
	s_andn2_b32 exec_lo, exec_lo, s8
	s_cbranch_execnz .LBB163_19
; %bb.20:
	s_or_b32 exec_lo, exec_lo, s8
.LBB163_21:
	s_or_b32 exec_lo, exec_lo, s7
	s_mov_b32 s7, exec_lo
	v_cmpx_lt_u64_e32 0x5f, v[28:29]
	s_cbranch_execz .LBB163_25
; %bb.22:
	v_lshlrev_b64 v[28:29], 3, v[26:27]
	s_mov_b32 s8, 0
	v_add_co_u32 v28, vcc_lo, s12, v28
	v_add_co_ci_u32_e64 v29, null, s13, v29, vcc_lo
	v_add_co_u32 v28, vcc_lo, 0x200, v28
	v_add_co_ci_u32_e64 v29, null, 0, v29, vcc_lo
.LBB163_23:                             ; =>This Inner Loop Header: Depth=1
	s_clause 0x3
	global_load_dwordx2 v[47:48], v[28:29], off offset:-512
	global_load_dwordx2 v[71:72], v[28:29], off offset:-256
	global_load_dwordx2 v[95:96], v[28:29], off
	global_load_dwordx2 v[119:120], v[28:29], off offset:256
	s_clause 0x3
	global_load_dwordx4 v[30:33], v[24:25], off
	global_load_dwordx4 v[35:38], v[24:25], off offset:16
	global_load_dwordx4 v[39:42], v[24:25], off offset:48
	;; [unrolled: 1-line block ×3, first 2 shown]
	s_waitcnt vmcnt(7)
	v_sub_co_u32 v47, vcc_lo, v47, v4
	v_sub_co_ci_u32_e64 v48, null, v48, v5, vcc_lo
	s_waitcnt vmcnt(3)
	v_cvt_f64_f32_e32 v[127:128], v30
	s_waitcnt vmcnt(2)
	v_cvt_f64_f32_e32 v[129:130], v35
	s_waitcnt vmcnt(1)
	v_cvt_f64_f32_e32 v[133:134], v39
	v_lshlrev_b64 v[47:48], 5, v[47:48]
	s_waitcnt vmcnt(0)
	v_cvt_f64_f32_e32 v[131:132], v43
	v_cvt_f64_f32_e32 v[30:31], v31
	;; [unrolled: 1-line block ×5, first 2 shown]
	v_add_co_u32 v51, vcc_lo, s2, v47
	v_add_co_ci_u32_e64 v52, null, s3, v48, vcc_lo
	v_add_co_u32 v79, vcc_lo, v24, 0x1000
	v_add_co_ci_u32_e64 v80, null, 0, v25, vcc_lo
	s_clause 0x1
	global_load_dwordx4 v[47:50], v[51:52], off
	global_load_dwordx4 v[51:54], v[51:52], off offset:16
	v_add_co_u32 v67, vcc_lo, 0x800, v24
	v_add_co_ci_u32_e64 v68, null, 0, v25, vcc_lo
	s_clause 0x3
	global_load_dwordx4 v[55:58], v[79:80], off offset:-2048
	global_load_dwordx4 v[59:62], v[67:68], off offset:16
	global_load_dwordx4 v[63:66], v[67:68], off offset:32
	;; [unrolled: 1-line block ×3, first 2 shown]
	v_sub_co_u32 v71, vcc_lo, v71, v4
	v_sub_co_ci_u32_e64 v72, null, v72, v5, vcc_lo
	v_lshlrev_b64 v[71:72], 5, v[71:72]
	v_add_co_u32 v75, vcc_lo, s2, v71
	v_add_co_ci_u32_e64 v76, null, s3, v72, vcc_lo
	s_clause 0x1
	global_load_dwordx4 v[71:74], v[75:76], off
	global_load_dwordx4 v[75:78], v[75:76], off offset:16
	v_add_co_u32 v91, vcc_lo, 0x1000, v24
	v_add_co_ci_u32_e64 v92, null, 0, v25, vcc_lo
	s_clause 0x3
	global_load_dwordx4 v[79:82], v[79:80], off
	global_load_dwordx4 v[83:86], v[91:92], off offset:16
	global_load_dwordx4 v[87:90], v[91:92], off offset:32
	;; [unrolled: 1-line block ×3, first 2 shown]
	v_sub_co_u32 v95, vcc_lo, v95, v4
	v_sub_co_ci_u32_e64 v96, null, v96, v5, vcc_lo
	v_lshlrev_b64 v[95:96], 5, v[95:96]
	v_add_co_u32 v99, vcc_lo, s2, v95
	v_add_co_ci_u32_e64 v100, null, s3, v96, vcc_lo
	s_clause 0x1
	global_load_dwordx4 v[95:98], v[99:100], off
	global_load_dwordx4 v[99:102], v[99:100], off offset:16
	v_add_co_u32 v115, vcc_lo, 0x1800, v24
	v_add_co_ci_u32_e64 v116, null, 0, v25, vcc_lo
	s_clause 0x3
	global_load_dwordx4 v[103:106], v[115:116], off
	global_load_dwordx4 v[107:110], v[115:116], off offset:16
	global_load_dwordx4 v[111:114], v[115:116], off offset:32
	;; [unrolled: 1-line block ×3, first 2 shown]
	v_sub_co_u32 v119, vcc_lo, v119, v4
	v_sub_co_ci_u32_e64 v120, null, v120, v5, vcc_lo
	v_add_co_u32 v24, s1, 0x2000, v24
	v_add_co_ci_u32_e64 v25, null, 0, v25, s1
	v_lshlrev_b64 v[119:120], 5, v[119:120]
	v_add_co_u32 v123, vcc_lo, s2, v119
	v_add_co_ci_u32_e64 v124, null, s3, v120, vcc_lo
	v_add_co_u32 v26, vcc_lo, 0x80, v26
	v_add_co_ci_u32_e64 v27, null, 0, v27, vcc_lo
	s_clause 0x1
	global_load_dwordx4 v[119:122], v[123:124], off
	global_load_dwordx4 v[123:126], v[123:124], off offset:16
	v_add_co_u32 v28, vcc_lo, 0x400, v28
	v_add_co_ci_u32_e64 v29, null, 0, v29, vcc_lo
	v_cmp_ge_i64_e32 vcc_lo, v[26:27], v[6:7]
	s_or_b32 s8, vcc_lo, s8
	s_waitcnt vmcnt(19)
	v_fma_f64 v[20:21], v[127:128], v[47:48], v[20:21]
	v_fma_f64 v[18:19], v[129:130], v[47:48], v[18:19]
	v_fma_f64 v[16:17], v[131:132], v[47:48], v[16:17]
	v_fma_f64 v[14:15], v[133:134], v[47:48], v[14:15]
	v_cvt_f64_f32_e32 v[47:48], v32
	v_cvt_f64_f32_e32 v[32:33], v33
	v_fma_f64 v[20:21], v[30:31], v[49:50], v[20:21]
	v_cvt_f64_f32_e32 v[30:31], v37
	v_fma_f64 v[18:19], v[35:36], v[49:50], v[18:19]
	;; [unrolled: 2-line block ×4, first 2 shown]
	v_cvt_f64_f32_e32 v[37:38], v38
	v_cvt_f64_f32_e32 v[39:40], v46
	v_cvt_f64_f32_e32 v[41:42], v42
	s_waitcnt vmcnt(14)
	v_cvt_f64_f32_e32 v[45:46], v67
	v_fma_f64 v[20:21], v[47:48], v[51:52], v[20:21]
	v_fma_f64 v[18:19], v[30:31], v[51:52], v[18:19]
	v_cvt_f64_f32_e32 v[30:31], v55
	v_fma_f64 v[16:17], v[35:36], v[51:52], v[16:17]
	v_cvt_f64_f32_e32 v[35:36], v59
	;; [unrolled: 2-line block ×7, first 2 shown]
	s_waitcnt vmcnt(13)
	v_fma_f64 v[20:21], v[30:31], v[71:72], v[20:21]
	v_cvt_f64_f32_e32 v[30:31], v57
	v_fma_f64 v[18:19], v[35:36], v[71:72], v[18:19]
	v_cvt_f64_f32_e32 v[35:36], v61
	;; [unrolled: 2-line block ×8, first 2 shown]
	s_waitcnt vmcnt(12)
	v_fma_f64 v[20:21], v[30:31], v[75:76], v[20:21]
	s_waitcnt vmcnt(11)
	v_cvt_f64_f32_e32 v[30:31], v79
	v_fma_f64 v[18:19], v[35:36], v[75:76], v[18:19]
	s_waitcnt vmcnt(10)
	v_cvt_f64_f32_e32 v[35:36], v83
	;; [unrolled: 3-line block ×4, first 2 shown]
	v_fma_f64 v[20:21], v[32:33], v[77:78], v[20:21]
	v_cvt_f64_f32_e32 v[32:33], v80
	v_fma_f64 v[18:19], v[37:38], v[77:78], v[18:19]
	v_cvt_f64_f32_e32 v[37:38], v84
	v_fma_f64 v[16:17], v[39:40], v[77:78], v[16:17]
	v_cvt_f64_f32_e32 v[39:40], v88
	v_fma_f64 v[14:15], v[41:42], v[77:78], v[14:15]
	v_cvt_f64_f32_e32 v[41:42], v92
	s_waitcnt vmcnt(7)
	v_fma_f64 v[20:21], v[30:31], v[95:96], v[20:21]
	v_cvt_f64_f32_e32 v[30:31], v81
	v_fma_f64 v[18:19], v[35:36], v[95:96], v[18:19]
	v_cvt_f64_f32_e32 v[35:36], v85
	;; [unrolled: 2-line block ×8, first 2 shown]
	s_waitcnt vmcnt(6)
	v_fma_f64 v[20:21], v[30:31], v[99:100], v[20:21]
	s_waitcnt vmcnt(5)
	v_cvt_f64_f32_e32 v[30:31], v103
	v_fma_f64 v[18:19], v[35:36], v[99:100], v[18:19]
	s_waitcnt vmcnt(4)
	v_cvt_f64_f32_e32 v[35:36], v107
	v_fma_f64 v[16:17], v[43:44], v[99:100], v[16:17]
	s_waitcnt vmcnt(3)
	v_cvt_f64_f32_e32 v[43:44], v111
	v_fma_f64 v[14:15], v[45:46], v[99:100], v[14:15]
	s_waitcnt vmcnt(2)
	v_cvt_f64_f32_e32 v[45:46], v115
	v_fma_f64 v[20:21], v[32:33], v[101:102], v[20:21]
	v_cvt_f64_f32_e32 v[32:33], v104
	v_fma_f64 v[18:19], v[37:38], v[101:102], v[18:19]
	v_cvt_f64_f32_e32 v[37:38], v108
	;; [unrolled: 2-line block ×4, first 2 shown]
	s_waitcnt vmcnt(1)
	v_fma_f64 v[20:21], v[30:31], v[119:120], v[20:21]
	v_cvt_f64_f32_e32 v[30:31], v105
	v_fma_f64 v[18:19], v[35:36], v[119:120], v[18:19]
	v_cvt_f64_f32_e32 v[35:36], v109
	;; [unrolled: 2-line block ×8, first 2 shown]
	s_waitcnt vmcnt(0)
	v_fma_f64 v[20:21], v[30:31], v[123:124], v[20:21]
	v_fma_f64 v[18:19], v[35:36], v[123:124], v[18:19]
	;; [unrolled: 1-line block ×8, first 2 shown]
	s_andn2_b32 exec_lo, exec_lo, s8
	s_cbranch_execnz .LBB163_23
; %bb.24:
	s_or_b32 exec_lo, exec_lo, s8
.LBB163_25:
	s_or_b32 exec_lo, exec_lo, s7
.LBB163_26:
	s_or_b32 exec_lo, exec_lo, s6
	s_cbranch_execz .LBB163_28
	s_branch .LBB163_39
.LBB163_27:
                                        ; implicit-def: $vgpr14_vgpr15
                                        ; implicit-def: $vgpr16_vgpr17
                                        ; implicit-def: $vgpr18_vgpr19
                                        ; implicit-def: $vgpr20_vgpr21
.LBB163_28:
	v_mov_b32_e32 v14, 0
	v_mov_b32_e32 v16, 0
	;; [unrolled: 1-line block ×8, first 2 shown]
	s_and_saveexec_b32 s1, s0
	s_cbranch_execz .LBB163_38
; %bb.29:
	v_or_b32_e32 v14, 32, v34
	v_not_b32_e32 v17, v22
	v_sub_co_u32 v18, s0, v4, v34
	v_not_b32_e32 v16, v23
	v_sub_co_u32 v14, vcc_lo, v14, v4
	v_sub_co_ci_u32_e64 v15, null, 0, v5, vcc_lo
	v_subrev_co_ci_u32_e64 v19, null, 0, v5, s0
	v_add_co_u32 v14, vcc_lo, v14, v22
	v_add_co_ci_u32_e64 v15, null, v15, v23, vcc_lo
	v_cmp_gt_i64_e32 vcc_lo, v[14:15], v[6:7]
	v_cndmask_b32_e32 v20, v7, v15, vcc_lo
	v_cndmask_b32_e32 v14, v6, v14, vcc_lo
	v_add_co_u32 v15, vcc_lo, v18, v17
	v_add_co_ci_u32_e64 v16, null, v19, v16, vcc_lo
	v_mov_b32_e32 v18, 0
	v_add_co_u32 v22, vcc_lo, v15, v14
	v_mov_b32_e32 v15, 0
	v_add_co_ci_u32_e64 v23, null, v16, v20, vcc_lo
	v_and_b32_e32 v14, 0x60, v22
	v_mov_b32_e32 v20, 0
	v_mov_b32_e32 v16, 0
	v_mov_b32_e32 v21, 0
	v_mov_b32_e32 v19, 0
	v_cmp_ne_u64_e32 vcc_lo, 0x60, v[14:15]
	v_mov_b32_e32 v14, 0
	v_mov_b32_e32 v17, 0
	;; [unrolled: 1-line block ×3, first 2 shown]
	s_and_saveexec_b32 s6, vcc_lo
	s_cbranch_execz .LBB163_33
; %bb.30:
	v_lshrrev_b32_e32 v14, 5, v22
	v_lshlrev_b64 v[24:25], 3, v[0:1]
	v_mov_b32_e32 v16, 0
	v_mov_b32_e32 v18, 0
	;; [unrolled: 1-line block ×3, first 2 shown]
	v_add_nc_u32_e32 v26, 1, v14
	v_mov_b32_e32 v14, 0
	v_add_co_u32 v24, vcc_lo, s12, v24
	v_mov_b32_e32 v15, 0
	v_and_b32_e32 v26, 3, v26
	v_mov_b32_e32 v17, 0
	v_mov_b32_e32 v19, 0
	;; [unrolled: 1-line block ×3, first 2 shown]
	v_add_co_ci_u32_e64 v25, null, s13, v25, vcc_lo
	v_sub_co_u32 v26, s0, 0, v26
	v_sub_co_ci_u32_e64 v27, null, 0, 0, s0
	s_mov_b32 s7, 0
.LBB163_31:                             ; =>This Inner Loop Header: Depth=1
	global_load_dwordx2 v[32:33], v[24:25], off
	s_clause 0x1
	global_load_dwordx4 v[28:31], v[12:13], off offset:16
	global_load_dwordx4 v[35:38], v[12:13], off
	v_add_co_u32 v24, s0, 0x100, v24
	v_add_co_ci_u32_e64 v25, null, 0, v25, s0
	s_waitcnt vmcnt(2)
	v_sub_co_u32 v32, vcc_lo, v32, v4
	v_sub_co_ci_u32_e64 v33, null, v33, v5, vcc_lo
	s_waitcnt vmcnt(0)
	v_cvt_f64_f32_e32 v[55:56], v37
	v_cvt_f64_f32_e32 v[37:38], v38
	;; [unrolled: 1-line block ×3, first 2 shown]
	v_lshlrev_b64 v[32:33], 5, v[32:33]
	v_cvt_f64_f32_e32 v[28:29], v29
	v_cvt_f64_f32_e32 v[59:60], v30
	;; [unrolled: 1-line block ×3, first 2 shown]
	v_add_co_u32 v32, vcc_lo, s2, v32
	v_add_co_ci_u32_e64 v33, null, s3, v33, vcc_lo
	s_clause 0x1
	global_load_dwordx4 v[39:42], v[32:33], off
	global_load_dwordx4 v[43:46], v[32:33], off offset:16
	s_clause 0x1
	global_load_dwordx4 v[47:50], v[12:13], off offset:32
	global_load_dwordx4 v[51:54], v[12:13], off offset:48
	v_cvt_f64_f32_e32 v[32:33], v35
	v_cvt_f64_f32_e32 v[35:36], v36
	v_add_co_u32 v12, vcc_lo, 0x800, v12
	v_add_co_ci_u32_e64 v13, null, 0, v13, vcc_lo
	v_add_co_u32 v26, vcc_lo, v26, 1
	v_add_co_ci_u32_e64 v27, null, 0, v27, vcc_lo
	v_add_co_u32 v0, vcc_lo, v0, 32
	v_add_co_ci_u32_e64 v1, null, 0, v1, vcc_lo
	v_cmp_eq_u64_e32 vcc_lo, 0, v[26:27]
	s_or_b32 s7, vcc_lo, s7
	s_waitcnt vmcnt(3)
	v_fma_f64 v[20:21], v[32:33], v[39:40], v[20:21]
	v_fma_f64 v[18:19], v[35:36], v[39:40], v[18:19]
	;; [unrolled: 1-line block ×4, first 2 shown]
	s_waitcnt vmcnt(1)
	v_cvt_f64_f32_e32 v[32:33], v47
	v_cvt_f64_f32_e32 v[35:36], v48
	;; [unrolled: 1-line block ×4, first 2 shown]
	s_waitcnt vmcnt(0)
	v_cvt_f64_f32_e32 v[47:48], v54
	v_fma_f64 v[20:21], v[57:58], v[41:42], v[20:21]
	v_fma_f64 v[18:19], v[28:29], v[41:42], v[18:19]
	;; [unrolled: 1-line block ×4, first 2 shown]
	v_cvt_f64_f32_e32 v[28:29], v51
	v_cvt_f64_f32_e32 v[30:31], v52
	;; [unrolled: 1-line block ×3, first 2 shown]
	v_fma_f64 v[20:21], v[32:33], v[43:44], v[20:21]
	v_fma_f64 v[18:19], v[35:36], v[43:44], v[18:19]
	;; [unrolled: 1-line block ×8, first 2 shown]
	s_andn2_b32 exec_lo, exec_lo, s7
	s_cbranch_execnz .LBB163_31
; %bb.32:
	s_or_b32 exec_lo, exec_lo, s7
.LBB163_33:
	s_or_b32 exec_lo, exec_lo, s6
	s_mov_b32 s6, exec_lo
	v_cmpx_lt_u64_e32 0x5f, v[22:23]
	s_cbranch_execz .LBB163_37
; %bb.34:
	v_lshlrev_b64 v[22:23], 3, v[0:1]
	s_mov_b32 s7, 0
	v_add_co_u32 v22, vcc_lo, s12, v22
	v_add_co_ci_u32_e64 v23, null, s13, v23, vcc_lo
	v_add_co_u32 v22, vcc_lo, 0x200, v22
	v_add_co_ci_u32_e64 v23, null, 0, v23, vcc_lo
.LBB163_35:                             ; =>This Inner Loop Header: Depth=1
	s_clause 0x2
	global_load_dwordx2 v[32:33], v[22:23], off offset:-512
	global_load_dwordx2 v[55:56], v[22:23], off offset:-256
	global_load_dwordx2 v[79:80], v[22:23], off
	s_clause 0x3
	global_load_dwordx4 v[24:27], v[12:13], off
	global_load_dwordx4 v[28:31], v[12:13], off offset:16
	global_load_dwordx4 v[35:38], v[12:13], off offset:32
	;; [unrolled: 1-line block ×3, first 2 shown]
	global_load_dwordx2 v[95:96], v[22:23], off offset:256
	s_waitcnt vmcnt(7)
	v_sub_co_u32 v32, vcc_lo, v32, v4
	v_sub_co_ci_u32_e64 v33, null, v33, v5, vcc_lo
	s_waitcnt vmcnt(4)
	v_cvt_f64_f32_e32 v[97:98], v24
	v_cvt_f64_f32_e32 v[101:102], v25
	;; [unrolled: 1-line block ×3, first 2 shown]
	v_lshlrev_b64 v[32:33], 5, v[32:33]
	v_cvt_f64_f32_e32 v[105:106], v27
	s_waitcnt vmcnt(3)
	v_cvt_f64_f32_e32 v[107:108], v28
	v_cvt_f64_f32_e32 v[109:110], v29
	;; [unrolled: 1-line block ×4, first 2 shown]
	v_add_co_u32 v32, vcc_lo, s2, v32
	v_add_co_ci_u32_e64 v33, null, s3, v33, vcc_lo
	s_waitcnt vmcnt(2)
	v_cvt_f64_f32_e32 v[115:116], v36
	v_cvt_f64_f32_e32 v[117:118], v37
	;; [unrolled: 1-line block ×3, first 2 shown]
	s_clause 0x1
	global_load_dwordx4 v[43:46], v[32:33], off
	global_load_dwordx4 v[47:50], v[32:33], off offset:16
	v_add_co_u32 v32, vcc_lo, v12, 0x1000
	v_add_co_ci_u32_e64 v33, null, 0, v13, vcc_lo
	v_add_co_u32 v71, vcc_lo, 0x800, v12
	v_add_co_ci_u32_e64 v72, null, 0, v13, vcc_lo
	global_load_dwordx4 v[51:54], v[32:33], off offset:-2048
	v_sub_co_u32 v55, vcc_lo, v55, v4
	v_sub_co_ci_u32_e64 v56, null, v56, v5, vcc_lo
	v_lshlrev_b64 v[55:56], 5, v[55:56]
	v_add_co_u32 v63, vcc_lo, s2, v55
	v_add_co_ci_u32_e64 v64, null, s3, v56, vcc_lo
	global_load_dwordx4 v[55:58], v[71:72], off offset:16
	s_clause 0x1
	global_load_dwordx4 v[59:62], v[63:64], off
	global_load_dwordx4 v[63:66], v[63:64], off offset:16
	s_clause 0x2
	global_load_dwordx4 v[67:70], v[71:72], off offset:32
	global_load_dwordx4 v[71:74], v[71:72], off offset:48
	global_load_dwordx4 v[75:78], v[32:33], off
	v_add_co_u32 v91, vcc_lo, 0x1000, v12
	v_add_co_ci_u32_e64 v92, null, 0, v13, vcc_lo
	v_sub_co_u32 v32, vcc_lo, v79, v4
	v_sub_co_ci_u32_e64 v33, null, v80, v5, vcc_lo
	v_lshlrev_b64 v[32:33], 5, v[32:33]
	v_add_co_u32 v32, vcc_lo, s2, v32
	v_add_co_ci_u32_e64 v33, null, s3, v33, vcc_lo
	global_load_dwordx4 v[79:82], v[91:92], off offset:16
	global_load_dwordx4 v[83:86], v[32:33], off
	s_clause 0x1
	global_load_dwordx4 v[87:90], v[91:92], off offset:32
	global_load_dwordx4 v[91:94], v[91:92], off offset:48
	;; [unrolled: 1-line block ×3, first 2 shown]
	v_add_co_u32 v99, vcc_lo, 0x1800, v12
	v_add_co_ci_u32_e64 v100, null, 0, v13, vcc_lo
	s_waitcnt vmcnt(14)
	v_sub_co_u32 v28, vcc_lo, v95, v4
	v_sub_co_ci_u32_e64 v29, null, v96, v5, vcc_lo
	v_cvt_f64_f32_e32 v[32:33], v35
	v_add_co_u32 v12, s0, 0x2000, v12
	v_lshlrev_b64 v[28:29], 5, v[28:29]
	v_add_co_ci_u32_e64 v13, null, 0, v13, s0
	v_add_co_u32 v121, vcc_lo, s2, v28
	v_add_co_ci_u32_e64 v122, null, s3, v29, vcc_lo
	global_load_dwordx4 v[28:31], v[99:100], off
	v_add_co_u32 v0, vcc_lo, 0x80, v0
	global_load_dwordx4 v[35:38], v[121:122], off
	v_add_co_ci_u32_e64 v1, null, 0, v1, vcc_lo
	v_add_co_u32 v22, vcc_lo, 0x400, v22
	v_add_co_ci_u32_e64 v23, null, 0, v23, vcc_lo
	v_cmp_ge_i64_e32 vcc_lo, v[0:1], v[6:7]
	s_or_b32 s7, vcc_lo, s7
	s_waitcnt vmcnt(15)
	v_fma_f64 v[20:21], v[97:98], v[43:44], v[20:21]
	v_fma_f64 v[95:96], v[101:102], v[43:44], v[18:19]
	;; [unrolled: 1-line block ×3, first 2 shown]
	global_load_dwordx4 v[16:19], v[99:100], off offset:16
	v_fma_f64 v[14:15], v[105:106], v[43:44], v[14:15]
	v_cvt_f64_f32_e32 v[105:106], v39
	v_fma_f64 v[20:21], v[107:108], v[45:46], v[20:21]
	v_fma_f64 v[101:102], v[109:110], v[45:46], v[95:96]
	;; [unrolled: 1-line block ×3, first 2 shown]
	global_load_dwordx4 v[95:98], v[99:100], off offset:32
	v_fma_f64 v[14:15], v[113:114], v[45:46], v[14:15]
	v_cvt_f64_f32_e32 v[107:108], v40
	v_cvt_f64_f32_e32 v[109:110], v41
	v_cvt_f64_f32_e32 v[111:112], v42
	global_load_dwordx4 v[39:42], v[99:100], off offset:48
	global_load_dwordx4 v[43:46], v[121:122], off offset:16
	s_waitcnt vmcnt(18)
	v_fma_f64 v[20:21], v[32:33], v[47:48], v[20:21]
	v_fma_f64 v[32:33], v[115:116], v[47:48], v[101:102]
	v_fma_f64 v[99:100], v[117:118], v[47:48], v[103:104]
	s_waitcnt vmcnt(17)
	v_cvt_f64_f32_e32 v[101:102], v53
	v_fma_f64 v[14:15], v[119:120], v[47:48], v[14:15]
	v_cvt_f64_f32_e32 v[47:48], v51
	v_cvt_f64_f32_e32 v[51:52], v52
	;; [unrolled: 1-line block ×3, first 2 shown]
	s_waitcnt vmcnt(16)
	v_cvt_f64_f32_e32 v[103:104], v57
	v_cvt_f64_f32_e32 v[57:58], v58
	v_fma_f64 v[20:21], v[105:106], v[49:50], v[20:21]
	v_fma_f64 v[32:33], v[107:108], v[49:50], v[32:33]
	;; [unrolled: 1-line block ×4, first 2 shown]
	v_cvt_f64_f32_e32 v[49:50], v55
	v_cvt_f64_f32_e32 v[55:56], v56
	s_waitcnt vmcnt(15)
	v_fma_f64 v[20:21], v[47:48], v[59:60], v[20:21]
	v_fma_f64 v[32:33], v[51:52], v[59:60], v[32:33]
	v_fma_f64 v[47:48], v[101:102], v[59:60], v[99:100]
	s_waitcnt vmcnt(13)
	v_cvt_f64_f32_e32 v[51:52], v67
	v_fma_f64 v[14:15], v[53:54], v[59:60], v[14:15]
	v_cvt_f64_f32_e32 v[53:54], v68
	v_cvt_f64_f32_e32 v[59:60], v69
	v_cvt_f64_f32_e32 v[67:68], v70
	v_fma_f64 v[20:21], v[49:50], v[61:62], v[20:21]
	v_fma_f64 v[32:33], v[55:56], v[61:62], v[32:33]
	v_fma_f64 v[47:48], v[103:104], v[61:62], v[47:48]
	s_waitcnt vmcnt(12)
	v_cvt_f64_f32_e32 v[49:50], v71
	v_fma_f64 v[14:15], v[57:58], v[61:62], v[14:15]
	v_cvt_f64_f32_e32 v[55:56], v72
	v_cvt_f64_f32_e32 v[57:58], v73
	v_cvt_f64_f32_e32 v[61:62], v74
	;; [unrolled: 9-line block ×4, first 2 shown]
	s_waitcnt vmcnt(9)
	v_fma_f64 v[20:21], v[51:52], v[83:84], v[20:21]
	v_fma_f64 v[32:33], v[53:54], v[83:84], v[32:33]
	;; [unrolled: 1-line block ×3, first 2 shown]
	s_waitcnt vmcnt(8)
	v_cvt_f64_f32_e32 v[51:52], v87
	v_fma_f64 v[14:15], v[63:64], v[83:84], v[14:15]
	v_cvt_f64_f32_e32 v[53:54], v88
	v_cvt_f64_f32_e32 v[59:60], v89
	;; [unrolled: 1-line block ×3, first 2 shown]
	v_fma_f64 v[20:21], v[49:50], v[85:86], v[20:21]
	v_fma_f64 v[32:33], v[55:56], v[85:86], v[32:33]
	;; [unrolled: 1-line block ×3, first 2 shown]
	s_waitcnt vmcnt(7)
	v_cvt_f64_f32_e32 v[49:50], v91
	v_fma_f64 v[14:15], v[61:62], v[85:86], v[14:15]
	v_cvt_f64_f32_e32 v[55:56], v92
	v_cvt_f64_f32_e32 v[57:58], v93
	;; [unrolled: 1-line block ×3, first 2 shown]
	s_waitcnt vmcnt(6)
	v_fma_f64 v[20:21], v[51:52], v[24:25], v[20:21]
	v_fma_f64 v[32:33], v[53:54], v[24:25], v[32:33]
	;; [unrolled: 1-line block ×3, first 2 shown]
	s_waitcnt vmcnt(5)
	v_cvt_f64_f32_e32 v[51:52], v30
	v_fma_f64 v[14:15], v[63:64], v[24:25], v[14:15]
	v_cvt_f64_f32_e32 v[24:25], v28
	v_cvt_f64_f32_e32 v[28:29], v29
	;; [unrolled: 1-line block ×3, first 2 shown]
	v_fma_f64 v[20:21], v[49:50], v[26:27], v[20:21]
	v_fma_f64 v[32:33], v[55:56], v[26:27], v[32:33]
	;; [unrolled: 1-line block ×4, first 2 shown]
	s_waitcnt vmcnt(4)
	v_fma_f64 v[20:21], v[24:25], v[35:36], v[20:21]
	v_fma_f64 v[24:25], v[28:29], v[35:36], v[32:33]
	v_fma_f64 v[28:29], v[51:52], v[35:36], v[47:48]
	v_fma_f64 v[14:15], v[30:31], v[35:36], v[14:15]
	s_waitcnt vmcnt(3)
	v_cvt_f64_f32_e32 v[26:27], v16
	v_cvt_f64_f32_e32 v[16:17], v17
	;; [unrolled: 1-line block ×4, first 2 shown]
	s_waitcnt vmcnt(2)
	v_cvt_f64_f32_e32 v[30:31], v95
	v_cvt_f64_f32_e32 v[32:33], v96
	;; [unrolled: 1-line block ×4, first 2 shown]
	v_fma_f64 v[20:21], v[26:27], v[37:38], v[20:21]
	v_fma_f64 v[16:17], v[16:17], v[37:38], v[24:25]
	;; [unrolled: 1-line block ×4, first 2 shown]
	s_waitcnt vmcnt(1)
	v_cvt_f64_f32_e32 v[18:19], v39
	v_cvt_f64_f32_e32 v[26:27], v40
	v_cvt_f64_f32_e32 v[28:29], v41
	v_cvt_f64_f32_e32 v[37:38], v42
	s_waitcnt vmcnt(0)
	v_fma_f64 v[20:21], v[30:31], v[43:44], v[20:21]
	v_fma_f64 v[16:17], v[32:33], v[43:44], v[16:17]
	;; [unrolled: 1-line block ×8, first 2 shown]
	s_andn2_b32 exec_lo, exec_lo, s7
	s_cbranch_execnz .LBB163_35
; %bb.36:
	s_or_b32 exec_lo, exec_lo, s7
.LBB163_37:
	s_or_b32 exec_lo, exec_lo, s6
.LBB163_38:
	s_or_b32 exec_lo, exec_lo, s1
.LBB163_39:
	v_mbcnt_lo_u32_b32 v24, -1, 0
	v_xor_b32_e32 v0, 16, v24
	v_cmp_gt_i32_e32 vcc_lo, 32, v0
	v_cndmask_b32_e32 v0, v24, v0, vcc_lo
	v_lshlrev_b32_e32 v13, 2, v0
	ds_bpermute_b32 v0, v13, v20
	ds_bpermute_b32 v1, v13, v21
	;; [unrolled: 1-line block ×8, first 2 shown]
	s_waitcnt lgkmcnt(6)
	v_add_f64 v[0:1], v[20:21], v[0:1]
	s_waitcnt lgkmcnt(4)
	v_add_f64 v[4:5], v[18:19], v[4:5]
	;; [unrolled: 2-line block ×3, first 2 shown]
	v_xor_b32_e32 v16, 8, v24
	s_waitcnt lgkmcnt(0)
	v_add_f64 v[12:13], v[14:15], v[12:13]
	v_cmp_gt_i32_e32 vcc_lo, 32, v16
	v_cndmask_b32_e32 v14, v24, v16, vcc_lo
	v_lshlrev_b32_e32 v21, 2, v14
	ds_bpermute_b32 v14, v21, v0
	ds_bpermute_b32 v15, v21, v1
	;; [unrolled: 1-line block ×8, first 2 shown]
	s_waitcnt lgkmcnt(6)
	v_add_f64 v[0:1], v[0:1], v[14:15]
	v_xor_b32_e32 v14, 4, v24
	s_waitcnt lgkmcnt(4)
	v_add_f64 v[4:5], v[4:5], v[16:17]
	s_waitcnt lgkmcnt(2)
	v_add_f64 v[6:7], v[6:7], v[18:19]
	s_waitcnt lgkmcnt(0)
	v_add_f64 v[12:13], v[12:13], v[20:21]
	v_cmp_gt_i32_e32 vcc_lo, 32, v14
	v_cndmask_b32_e32 v14, v24, v14, vcc_lo
	v_lshlrev_b32_e32 v21, 2, v14
	ds_bpermute_b32 v14, v21, v0
	ds_bpermute_b32 v15, v21, v1
	ds_bpermute_b32 v16, v21, v4
	ds_bpermute_b32 v17, v21, v5
	ds_bpermute_b32 v18, v21, v6
	ds_bpermute_b32 v19, v21, v7
	ds_bpermute_b32 v20, v21, v12
	ds_bpermute_b32 v21, v21, v13
	s_waitcnt lgkmcnt(6)
	v_add_f64 v[0:1], v[0:1], v[14:15]
	s_waitcnt lgkmcnt(4)
	v_add_f64 v[4:5], v[4:5], v[16:17]
	;; [unrolled: 2-line block ×3, first 2 shown]
	v_xor_b32_e32 v6, 2, v24
	s_waitcnt lgkmcnt(0)
	v_add_f64 v[16:17], v[12:13], v[20:21]
	v_cmp_gt_i32_e32 vcc_lo, 32, v6
	v_cndmask_b32_e32 v6, v24, v6, vcc_lo
	v_lshlrev_b32_e32 v12, 2, v6
	ds_bpermute_b32 v6, v12, v0
	ds_bpermute_b32 v7, v12, v1
	ds_bpermute_b32 v18, v12, v4
	ds_bpermute_b32 v19, v12, v5
	ds_bpermute_b32 v20, v12, v14
	ds_bpermute_b32 v21, v12, v15
	ds_bpermute_b32 v22, v12, v16
	ds_bpermute_b32 v23, v12, v17
	s_waitcnt lgkmcnt(6)
	v_add_f64 v[12:13], v[0:1], v[6:7]
	s_waitcnt lgkmcnt(4)
	v_add_f64 v[6:7], v[4:5], v[18:19]
	;; [unrolled: 2-line block ×3, first 2 shown]
	v_xor_b32_e32 v14, 1, v24
	s_waitcnt lgkmcnt(0)
	v_add_f64 v[4:5], v[16:17], v[22:23]
	v_cmp_gt_i32_e32 vcc_lo, 32, v14
	v_cndmask_b32_e32 v14, v24, v14, vcc_lo
	v_cmp_eq_u32_e32 vcc_lo, 31, v34
	v_lshlrev_b32_e32 v15, 2, v14
	ds_bpermute_b32 v20, v15, v12
	ds_bpermute_b32 v21, v15, v13
	;; [unrolled: 1-line block ×8, first 2 shown]
	s_and_b32 exec_lo, exec_lo, vcc_lo
	s_cbranch_execz .LBB163_10
; %bb.40:
	s_waitcnt lgkmcnt(6)
	v_add_f64 v[12:13], v[12:13], v[20:21]
	s_waitcnt lgkmcnt(4)
	v_add_f64 v[6:7], v[6:7], v[18:19]
	;; [unrolled: 2-line block ×4, first 2 shown]
	s_load_dwordx2 s[0:1], s[4:5], 0x58
	v_lshlrev_b64 v[10:11], 5, v[10:11]
	s_mov_b32 s2, exec_lo
	v_mul_f64 v[4:5], v[2:3], v[12:13]
	v_mul_f64 v[6:7], v[2:3], v[6:7]
	;; [unrolled: 1-line block ×4, first 2 shown]
	v_cmpx_eq_f64_e32 0, v[8:9]
	s_xor_b32 s2, exec_lo, s2
	s_cbranch_execz .LBB163_42
; %bb.41:
	s_waitcnt lgkmcnt(0)
	v_add_co_u32 v8, vcc_lo, s0, v10
	v_add_co_ci_u32_e64 v9, null, s1, v11, vcc_lo
                                        ; implicit-def: $vgpr10_vgpr11
	global_store_dwordx4 v[8:9], v[4:7], off
	global_store_dwordx4 v[8:9], v[0:3], off offset:16
                                        ; implicit-def: $vgpr8_vgpr9
                                        ; implicit-def: $vgpr4_vgpr5
                                        ; implicit-def: $vgpr0_vgpr1
.LBB163_42:
	s_andn2_saveexec_b32 s2, s2
	s_cbranch_execz .LBB163_10
; %bb.43:
	s_waitcnt lgkmcnt(0)
	v_add_co_u32 v18, vcc_lo, s0, v10
	v_add_co_ci_u32_e64 v19, null, s1, v11, vcc_lo
	s_clause 0x1
	global_load_dwordx4 v[10:13], v[18:19], off
	global_load_dwordx4 v[14:17], v[18:19], off offset:16
	s_waitcnt vmcnt(1)
	v_fma_f64 v[4:5], v[8:9], v[10:11], v[4:5]
	v_fma_f64 v[6:7], v[8:9], v[12:13], v[6:7]
	s_waitcnt vmcnt(0)
	v_fma_f64 v[0:1], v[8:9], v[14:15], v[0:1]
	v_fma_f64 v[2:3], v[8:9], v[16:17], v[2:3]
	global_store_dwordx4 v[18:19], v[4:7], off
	global_store_dwordx4 v[18:19], v[0:3], off offset:16
	s_endpgm
	.section	.rodata,"a",@progbits
	.p2align	6, 0x0
	.amdhsa_kernel _ZN9rocsparseL18bsrxmvn_4x4_kernelILj128ELj32EdllfddEEvT3_20rocsparse_direction_NS_24const_host_device_scalarIT1_EES1_PKS1_PKT2_SA_S7_PKT4_PKT5_S5_PT6_21rocsparse_index_base_b
		.amdhsa_group_segment_fixed_size 0
		.amdhsa_private_segment_fixed_size 0
		.amdhsa_kernarg_size 104
		.amdhsa_user_sgpr_count 6
		.amdhsa_user_sgpr_private_segment_buffer 1
		.amdhsa_user_sgpr_dispatch_ptr 0
		.amdhsa_user_sgpr_queue_ptr 0
		.amdhsa_user_sgpr_kernarg_segment_ptr 1
		.amdhsa_user_sgpr_dispatch_id 0
		.amdhsa_user_sgpr_flat_scratch_init 0
		.amdhsa_user_sgpr_private_segment_size 0
		.amdhsa_wavefront_size32 1
		.amdhsa_uses_dynamic_stack 0
		.amdhsa_system_sgpr_private_segment_wavefront_offset 0
		.amdhsa_system_sgpr_workgroup_id_x 1
		.amdhsa_system_sgpr_workgroup_id_y 0
		.amdhsa_system_sgpr_workgroup_id_z 0
		.amdhsa_system_sgpr_workgroup_info 0
		.amdhsa_system_vgpr_workitem_id 0
		.amdhsa_next_free_vgpr 135
		.amdhsa_next_free_sgpr 16
		.amdhsa_reserve_vcc 1
		.amdhsa_reserve_flat_scratch 0
		.amdhsa_float_round_mode_32 0
		.amdhsa_float_round_mode_16_64 0
		.amdhsa_float_denorm_mode_32 3
		.amdhsa_float_denorm_mode_16_64 3
		.amdhsa_dx10_clamp 1
		.amdhsa_ieee_mode 1
		.amdhsa_fp16_overflow 0
		.amdhsa_workgroup_processor_mode 1
		.amdhsa_memory_ordered 1
		.amdhsa_forward_progress 1
		.amdhsa_shared_vgpr_count 0
		.amdhsa_exception_fp_ieee_invalid_op 0
		.amdhsa_exception_fp_denorm_src 0
		.amdhsa_exception_fp_ieee_div_zero 0
		.amdhsa_exception_fp_ieee_overflow 0
		.amdhsa_exception_fp_ieee_underflow 0
		.amdhsa_exception_fp_ieee_inexact 0
		.amdhsa_exception_int_div_zero 0
	.end_amdhsa_kernel
	.section	.text._ZN9rocsparseL18bsrxmvn_4x4_kernelILj128ELj32EdllfddEEvT3_20rocsparse_direction_NS_24const_host_device_scalarIT1_EES1_PKS1_PKT2_SA_S7_PKT4_PKT5_S5_PT6_21rocsparse_index_base_b,"axG",@progbits,_ZN9rocsparseL18bsrxmvn_4x4_kernelILj128ELj32EdllfddEEvT3_20rocsparse_direction_NS_24const_host_device_scalarIT1_EES1_PKS1_PKT2_SA_S7_PKT4_PKT5_S5_PT6_21rocsparse_index_base_b,comdat
.Lfunc_end163:
	.size	_ZN9rocsparseL18bsrxmvn_4x4_kernelILj128ELj32EdllfddEEvT3_20rocsparse_direction_NS_24const_host_device_scalarIT1_EES1_PKS1_PKT2_SA_S7_PKT4_PKT5_S5_PT6_21rocsparse_index_base_b, .Lfunc_end163-_ZN9rocsparseL18bsrxmvn_4x4_kernelILj128ELj32EdllfddEEvT3_20rocsparse_direction_NS_24const_host_device_scalarIT1_EES1_PKS1_PKT2_SA_S7_PKT4_PKT5_S5_PT6_21rocsparse_index_base_b
                                        ; -- End function
	.set _ZN9rocsparseL18bsrxmvn_4x4_kernelILj128ELj32EdllfddEEvT3_20rocsparse_direction_NS_24const_host_device_scalarIT1_EES1_PKS1_PKT2_SA_S7_PKT4_PKT5_S5_PT6_21rocsparse_index_base_b.num_vgpr, 135
	.set _ZN9rocsparseL18bsrxmvn_4x4_kernelILj128ELj32EdllfddEEvT3_20rocsparse_direction_NS_24const_host_device_scalarIT1_EES1_PKS1_PKT2_SA_S7_PKT4_PKT5_S5_PT6_21rocsparse_index_base_b.num_agpr, 0
	.set _ZN9rocsparseL18bsrxmvn_4x4_kernelILj128ELj32EdllfddEEvT3_20rocsparse_direction_NS_24const_host_device_scalarIT1_EES1_PKS1_PKT2_SA_S7_PKT4_PKT5_S5_PT6_21rocsparse_index_base_b.numbered_sgpr, 16
	.set _ZN9rocsparseL18bsrxmvn_4x4_kernelILj128ELj32EdllfddEEvT3_20rocsparse_direction_NS_24const_host_device_scalarIT1_EES1_PKS1_PKT2_SA_S7_PKT4_PKT5_S5_PT6_21rocsparse_index_base_b.num_named_barrier, 0
	.set _ZN9rocsparseL18bsrxmvn_4x4_kernelILj128ELj32EdllfddEEvT3_20rocsparse_direction_NS_24const_host_device_scalarIT1_EES1_PKS1_PKT2_SA_S7_PKT4_PKT5_S5_PT6_21rocsparse_index_base_b.private_seg_size, 0
	.set _ZN9rocsparseL18bsrxmvn_4x4_kernelILj128ELj32EdllfddEEvT3_20rocsparse_direction_NS_24const_host_device_scalarIT1_EES1_PKS1_PKT2_SA_S7_PKT4_PKT5_S5_PT6_21rocsparse_index_base_b.uses_vcc, 1
	.set _ZN9rocsparseL18bsrxmvn_4x4_kernelILj128ELj32EdllfddEEvT3_20rocsparse_direction_NS_24const_host_device_scalarIT1_EES1_PKS1_PKT2_SA_S7_PKT4_PKT5_S5_PT6_21rocsparse_index_base_b.uses_flat_scratch, 0
	.set _ZN9rocsparseL18bsrxmvn_4x4_kernelILj128ELj32EdllfddEEvT3_20rocsparse_direction_NS_24const_host_device_scalarIT1_EES1_PKS1_PKT2_SA_S7_PKT4_PKT5_S5_PT6_21rocsparse_index_base_b.has_dyn_sized_stack, 0
	.set _ZN9rocsparseL18bsrxmvn_4x4_kernelILj128ELj32EdllfddEEvT3_20rocsparse_direction_NS_24const_host_device_scalarIT1_EES1_PKS1_PKT2_SA_S7_PKT4_PKT5_S5_PT6_21rocsparse_index_base_b.has_recursion, 0
	.set _ZN9rocsparseL18bsrxmvn_4x4_kernelILj128ELj32EdllfddEEvT3_20rocsparse_direction_NS_24const_host_device_scalarIT1_EES1_PKS1_PKT2_SA_S7_PKT4_PKT5_S5_PT6_21rocsparse_index_base_b.has_indirect_call, 0
	.section	.AMDGPU.csdata,"",@progbits
; Kernel info:
; codeLenInByte = 5896
; TotalNumSgprs: 18
; NumVgprs: 135
; ScratchSize: 0
; MemoryBound: 0
; FloatMode: 240
; IeeeMode: 1
; LDSByteSize: 0 bytes/workgroup (compile time only)
; SGPRBlocks: 0
; VGPRBlocks: 16
; NumSGPRsForWavesPerEU: 18
; NumVGPRsForWavesPerEU: 135
; Occupancy: 7
; WaveLimiterHint : 1
; COMPUTE_PGM_RSRC2:SCRATCH_EN: 0
; COMPUTE_PGM_RSRC2:USER_SGPR: 6
; COMPUTE_PGM_RSRC2:TRAP_HANDLER: 0
; COMPUTE_PGM_RSRC2:TGID_X_EN: 1
; COMPUTE_PGM_RSRC2:TGID_Y_EN: 0
; COMPUTE_PGM_RSRC2:TGID_Z_EN: 0
; COMPUTE_PGM_RSRC2:TIDIG_COMP_CNT: 0
	.section	.text._ZN9rocsparseL18bsrxmvn_4x4_kernelILj128ELj64EdllfddEEvT3_20rocsparse_direction_NS_24const_host_device_scalarIT1_EES1_PKS1_PKT2_SA_S7_PKT4_PKT5_S5_PT6_21rocsparse_index_base_b,"axG",@progbits,_ZN9rocsparseL18bsrxmvn_4x4_kernelILj128ELj64EdllfddEEvT3_20rocsparse_direction_NS_24const_host_device_scalarIT1_EES1_PKS1_PKT2_SA_S7_PKT4_PKT5_S5_PT6_21rocsparse_index_base_b,comdat
	.globl	_ZN9rocsparseL18bsrxmvn_4x4_kernelILj128ELj64EdllfddEEvT3_20rocsparse_direction_NS_24const_host_device_scalarIT1_EES1_PKS1_PKT2_SA_S7_PKT4_PKT5_S5_PT6_21rocsparse_index_base_b ; -- Begin function _ZN9rocsparseL18bsrxmvn_4x4_kernelILj128ELj64EdllfddEEvT3_20rocsparse_direction_NS_24const_host_device_scalarIT1_EES1_PKS1_PKT2_SA_S7_PKT4_PKT5_S5_PT6_21rocsparse_index_base_b
	.p2align	8
	.type	_ZN9rocsparseL18bsrxmvn_4x4_kernelILj128ELj64EdllfddEEvT3_20rocsparse_direction_NS_24const_host_device_scalarIT1_EES1_PKS1_PKT2_SA_S7_PKT4_PKT5_S5_PT6_21rocsparse_index_base_b,@function
_ZN9rocsparseL18bsrxmvn_4x4_kernelILj128ELj64EdllfddEEvT3_20rocsparse_direction_NS_24const_host_device_scalarIT1_EES1_PKS1_PKT2_SA_S7_PKT4_PKT5_S5_PT6_21rocsparse_index_base_b: ; @_ZN9rocsparseL18bsrxmvn_4x4_kernelILj128ELj64EdllfddEEvT3_20rocsparse_direction_NS_24const_host_device_scalarIT1_EES1_PKS1_PKT2_SA_S7_PKT4_PKT5_S5_PT6_21rocsparse_index_base_b
; %bb.0:
	s_clause 0x2
	s_load_dwordx2 s[8:9], s[4:5], 0x60
	s_load_dwordx4 s[0:3], s[4:5], 0x10
	s_load_dwordx2 s[10:11], s[4:5], 0x50
	s_waitcnt lgkmcnt(0)
	s_bitcmp1_b32 s9, 0
	v_mov_b32_e32 v3, s1
	v_mov_b32_e32 v2, s0
	s_cselect_b32 s7, -1, 0
	s_and_b32 vcc_lo, exec_lo, s7
	s_xor_b32 s7, s7, -1
	s_cbranch_vccnz .LBB164_2
; %bb.1:
	v_mov_b32_e32 v2, s1
	v_mov_b32_e32 v1, s0
	flat_load_dwordx2 v[2:3], v[1:2]
.LBB164_2:
	v_mov_b32_e32 v8, s10
	v_mov_b32_e32 v9, s11
	s_andn2_b32 vcc_lo, exec_lo, s7
	s_cbranch_vccnz .LBB164_4
; %bb.3:
	v_mov_b32_e32 v4, s10
	v_mov_b32_e32 v5, s11
	flat_load_dwordx2 v[8:9], v[4:5]
.LBB164_4:
	s_waitcnt vmcnt(0) lgkmcnt(0)
	v_cmp_neq_f64_e32 vcc_lo, 0, v[2:3]
	v_cmp_neq_f64_e64 s0, 1.0, v[8:9]
	s_or_b32 s0, vcc_lo, s0
	s_and_saveexec_b32 s1, s0
	s_cbranch_execz .LBB164_10
; %bb.5:
	s_load_dwordx2 s[0:1], s[4:5], 0x20
	v_lshrrev_b32_e32 v1, 6, v0
	v_mov_b32_e32 v7, 0
	v_lshl_or_b32 v6, s6, 1, v1
	s_waitcnt lgkmcnt(0)
	s_cmp_lg_u64 s[0:1], 0
	s_cbranch_scc0 .LBB164_11
; %bb.6:
	v_cmp_gt_i64_e32 vcc_lo, s[2:3], v[6:7]
	s_mov_b32 s3, 0
	s_mov_b32 s2, 0
                                        ; implicit-def: $vgpr10_vgpr11
                                        ; implicit-def: $vgpr4_vgpr5
	s_and_saveexec_b32 s6, vcc_lo
	s_xor_b32 s6, exec_lo, s6
	s_cbranch_execz .LBB164_8
; %bb.7:
	v_lshlrev_b64 v[4:5], 3, v[6:7]
	s_mov_b32 s9, 0
	s_mov_b32 s2, exec_lo
	v_add_co_u32 v4, vcc_lo, s0, v4
	v_add_co_ci_u32_e64 v5, null, s1, v5, vcc_lo
	global_load_dwordx2 v[4:5], v[4:5], off
	s_waitcnt vmcnt(0)
	v_sub_co_u32 v10, vcc_lo, v4, s8
	v_subrev_co_ci_u32_e64 v11, null, 0, v5, vcc_lo
	v_mov_b32_e32 v4, s8
	v_mov_b32_e32 v5, s9
.LBB164_8:
	s_or_b32 exec_lo, exec_lo, s6
	s_and_b32 vcc_lo, exec_lo, s3
	s_cbranch_vccnz .LBB164_12
.LBB164_9:
	s_and_b32 exec_lo, exec_lo, s2
	s_cbranch_execnz .LBB164_15
.LBB164_10:
	s_endpgm
.LBB164_11:
	s_mov_b32 s2, 0
                                        ; implicit-def: $vgpr10_vgpr11
                                        ; implicit-def: $vgpr4_vgpr5
	s_cbranch_execz .LBB164_9
.LBB164_12:
	s_load_dwordx2 s[0:1], s[4:5], 0x0
	s_waitcnt lgkmcnt(0)
	v_cmp_gt_i64_e32 vcc_lo, s[0:1], v[6:7]
	s_and_saveexec_b32 s0, vcc_lo
; %bb.13:
	s_mov_b32 s9, 0
	s_or_b32 s2, s2, exec_lo
; %bb.14:
	s_or_b32 exec_lo, exec_lo, s0
	v_mov_b32_e32 v4, s8
	v_mov_b32_e32 v11, v7
	;; [unrolled: 1-line block ×4, first 2 shown]
	s_and_b32 exec_lo, exec_lo, s2
	s_cbranch_execz .LBB164_10
.LBB164_15:
	s_load_dwordx8 s[8:15], s[4:5], 0x28
	v_lshlrev_b64 v[6:7], 3, v[10:11]
	v_and_b32_e32 v34, 63, v0
	s_clause 0x1
	s_load_dword s1, s[4:5], 0x8
	s_load_dwordx2 s[2:3], s[4:5], 0x48
	s_waitcnt lgkmcnt(0)
	v_add_co_u32 v12, vcc_lo, s8, v6
	v_add_co_ci_u32_e64 v13, null, s9, v7, vcc_lo
	v_add_co_u32 v1, vcc_lo, s10, v6
	v_add_co_ci_u32_e64 v6, null, s11, v7, vcc_lo
	v_add_co_u32 v14, vcc_lo, v12, 8
	global_load_dwordx2 v[22:23], v[12:13], off
	v_add_co_ci_u32_e64 v7, null, 0, v13, vcc_lo
	s_cmp_eq_u64 s[10:11], 0
	s_cselect_b32 vcc_lo, -1, 0
	s_cmp_eq_u32 s1, 1
	v_cndmask_b32_e32 v7, v6, v7, vcc_lo
	v_cndmask_b32_e32 v6, v1, v14, vcc_lo
	global_load_dwordx2 v[6:7], v[6:7], off
	s_waitcnt vmcnt(1)
	v_sub_co_u32 v0, vcc_lo, v22, v4
	v_sub_co_ci_u32_e64 v1, null, v23, v5, vcc_lo
	v_add_co_u32 v0, vcc_lo, v0, v34
	v_add_co_ci_u32_e64 v1, null, 0, v1, vcc_lo
	v_lshlrev_b64 v[12:13], 6, v[0:1]
	s_waitcnt vmcnt(0)
	v_sub_co_u32 v6, vcc_lo, v6, v4
	v_sub_co_ci_u32_e64 v7, null, v7, v5, vcc_lo
	v_add_co_u32 v12, vcc_lo, s14, v12
	v_cmp_lt_i64_e64 s0, v[0:1], v[6:7]
	v_add_co_ci_u32_e64 v13, null, s15, v13, vcc_lo
	s_cbranch_scc1 .LBB164_27
; %bb.16:
	v_mov_b32_e32 v14, 0
	v_mov_b32_e32 v16, 0
	;; [unrolled: 1-line block ×8, first 2 shown]
	s_and_saveexec_b32 s6, s0
	s_cbranch_execz .LBB164_26
; %bb.17:
	v_or_b32_e32 v14, 64, v34
	v_not_b32_e32 v17, v22
	v_sub_co_u32 v18, s1, v4, v34
	v_not_b32_e32 v16, v23
	v_sub_co_u32 v14, vcc_lo, v14, v4
	v_sub_co_ci_u32_e64 v15, null, 0, v5, vcc_lo
	v_subrev_co_ci_u32_e64 v19, null, 0, v5, s1
	v_add_co_u32 v14, vcc_lo, v14, v22
	v_add_co_ci_u32_e64 v15, null, v15, v23, vcc_lo
	v_mov_b32_e32 v25, 0
	v_mov_b32_e32 v20, 0
	;; [unrolled: 1-line block ×3, first 2 shown]
	v_cmp_gt_i64_e32 vcc_lo, v[14:15], v[6:7]
	v_mov_b32_e32 v21, 0
	v_mov_b32_e32 v26, v0
	v_cndmask_b32_e32 v15, v7, v15, vcc_lo
	v_cndmask_b32_e32 v14, v6, v14, vcc_lo
	v_add_co_u32 v17, vcc_lo, v18, v17
	v_add_co_ci_u32_e64 v16, null, v19, v16, vcc_lo
	v_mov_b32_e32 v18, 0
	v_add_co_u32 v28, vcc_lo, v17, v14
	v_add_co_ci_u32_e64 v29, null, v16, v15, vcc_lo
	v_mov_b32_e32 v16, 0
	v_and_b32_e32 v24, 0xc0, v28
	v_mov_b32_e32 v14, 0
	v_mov_b32_e32 v19, 0
	;; [unrolled: 1-line block ×4, first 2 shown]
	v_cmp_ne_u64_e32 vcc_lo, 0xc0, v[24:25]
	v_mov_b32_e32 v25, v13
	v_mov_b32_e32 v24, v12
	s_and_saveexec_b32 s7, vcc_lo
	s_cbranch_execz .LBB164_21
; %bb.18:
	v_lshrrev_b32_e32 v14, 6, v28
	v_lshlrev_b64 v[20:21], 3, v[0:1]
	v_mov_b32_e32 v25, v13
	v_mov_b32_e32 v16, 0
	;; [unrolled: 1-line block ×3, first 2 shown]
	v_add_nc_u32_e32 v26, 1, v14
	v_mov_b32_e32 v14, 0
	v_add_co_u32 v30, vcc_lo, s12, v20
	v_add_co_ci_u32_e64 v31, null, s13, v21, vcc_lo
	v_and_b32_e32 v26, 3, v26
	v_mov_b32_e32 v20, 0
	v_mov_b32_e32 v15, 0
	;; [unrolled: 1-line block ×4, first 2 shown]
	v_sub_co_u32 v32, s1, 0, v26
	v_mov_b32_e32 v27, v1
	v_mov_b32_e32 v19, 0
	v_sub_co_ci_u32_e64 v33, null, 0, 0, s1
	v_mov_b32_e32 v21, 0
	v_mov_b32_e32 v26, v0
	s_mov_b32 s8, 0
.LBB164_19:                             ; =>This Inner Loop Header: Depth=1
	global_load_dwordx2 v[51:52], v[30:31], off
	s_clause 0x3
	global_load_dwordx4 v[35:38], v[24:25], off offset:48
	global_load_dwordx4 v[39:42], v[24:25], off offset:32
	;; [unrolled: 1-line block ×3, first 2 shown]
	global_load_dwordx4 v[47:50], v[24:25], off
	v_add_co_u32 v30, s1, 0x200, v30
	v_add_co_ci_u32_e64 v31, null, 0, v31, s1
	s_waitcnt vmcnt(4)
	v_sub_co_u32 v51, vcc_lo, v51, v4
	v_sub_co_ci_u32_e64 v52, null, v52, v5, vcc_lo
	s_waitcnt vmcnt(0)
	v_cvt_f64_f32_e32 v[59:60], v47
	v_cvt_f64_f32_e32 v[61:62], v43
	;; [unrolled: 1-line block ×3, first 2 shown]
	v_lshlrev_b64 v[51:52], 5, v[51:52]
	v_cvt_f64_f32_e32 v[65:66], v35
	v_cvt_f64_f32_e32 v[47:48], v48
	;; [unrolled: 1-line block ×5, first 2 shown]
	v_add_co_u32 v55, vcc_lo, s2, v51
	v_add_co_ci_u32_e64 v56, null, s3, v52, vcc_lo
	v_add_co_u32 v24, vcc_lo, 0x1000, v24
	v_add_co_ci_u32_e64 v25, null, 0, v25, vcc_lo
	s_clause 0x1
	global_load_dwordx4 v[51:54], v[55:56], off
	global_load_dwordx4 v[55:58], v[55:56], off offset:16
	v_add_co_u32 v32, vcc_lo, v32, 1
	v_add_co_ci_u32_e64 v33, null, 0, v33, vcc_lo
	v_add_co_u32 v26, vcc_lo, v26, 64
	v_add_co_ci_u32_e64 v27, null, 0, v27, vcc_lo
	v_cmp_eq_u64_e32 vcc_lo, 0, v[32:33]
	s_or_b32 s8, vcc_lo, s8
	s_waitcnt vmcnt(1)
	v_fma_f64 v[20:21], v[59:60], v[51:52], v[20:21]
	v_fma_f64 v[18:19], v[61:62], v[51:52], v[18:19]
	;; [unrolled: 1-line block ×4, first 2 shown]
	v_cvt_f64_f32_e32 v[51:52], v49
	v_cvt_f64_f32_e32 v[59:60], v45
	v_cvt_f64_f32_e32 v[61:62], v41
	v_cvt_f64_f32_e32 v[63:64], v37
	v_cvt_f64_f32_e32 v[41:42], v42
	v_cvt_f64_f32_e32 v[37:38], v38
	v_fma_f64 v[20:21], v[47:48], v[53:54], v[20:21]
	v_fma_f64 v[18:19], v[43:44], v[53:54], v[18:19]
	;; [unrolled: 1-line block ×4, first 2 shown]
	v_cvt_f64_f32_e32 v[35:36], v50
	v_cvt_f64_f32_e32 v[39:40], v46
	s_waitcnt vmcnt(0)
	v_fma_f64 v[20:21], v[51:52], v[55:56], v[20:21]
	v_fma_f64 v[18:19], v[59:60], v[55:56], v[18:19]
	;; [unrolled: 1-line block ×8, first 2 shown]
	s_andn2_b32 exec_lo, exec_lo, s8
	s_cbranch_execnz .LBB164_19
; %bb.20:
	s_or_b32 exec_lo, exec_lo, s8
.LBB164_21:
	s_or_b32 exec_lo, exec_lo, s7
	s_mov_b32 s7, exec_lo
	v_cmpx_lt_u64_e32 0xbf, v[28:29]
	s_cbranch_execz .LBB164_25
; %bb.22:
	v_lshlrev_b64 v[28:29], 3, v[26:27]
	s_mov_b32 s8, 0
	v_add_co_u32 v28, vcc_lo, s12, v28
	v_add_co_ci_u32_e64 v29, null, s13, v29, vcc_lo
	v_add_co_u32 v28, vcc_lo, 0x400, v28
	v_add_co_ci_u32_e64 v29, null, 0, v29, vcc_lo
.LBB164_23:                             ; =>This Inner Loop Header: Depth=1
	s_clause 0x3
	global_load_dwordx2 v[47:48], v[28:29], off offset:-1024
	global_load_dwordx2 v[71:72], v[28:29], off offset:-512
	global_load_dwordx2 v[95:96], v[28:29], off
	global_load_dwordx2 v[119:120], v[28:29], off offset:512
	s_clause 0x3
	global_load_dwordx4 v[30:33], v[24:25], off
	global_load_dwordx4 v[35:38], v[24:25], off offset:16
	global_load_dwordx4 v[39:42], v[24:25], off offset:48
	;; [unrolled: 1-line block ×3, first 2 shown]
	s_waitcnt vmcnt(7)
	v_sub_co_u32 v47, vcc_lo, v47, v4
	v_sub_co_ci_u32_e64 v48, null, v48, v5, vcc_lo
	s_waitcnt vmcnt(3)
	v_cvt_f64_f32_e32 v[127:128], v30
	s_waitcnt vmcnt(2)
	v_cvt_f64_f32_e32 v[129:130], v35
	;; [unrolled: 2-line block ×3, first 2 shown]
	v_lshlrev_b64 v[47:48], 5, v[47:48]
	s_waitcnt vmcnt(0)
	v_cvt_f64_f32_e32 v[131:132], v43
	v_cvt_f64_f32_e32 v[30:31], v31
	;; [unrolled: 1-line block ×5, first 2 shown]
	v_add_co_u32 v51, vcc_lo, s2, v47
	v_add_co_ci_u32_e64 v52, null, s3, v48, vcc_lo
	v_add_co_u32 v67, vcc_lo, 0x1000, v24
	v_add_co_ci_u32_e64 v68, null, 0, v25, vcc_lo
	s_clause 0x1
	global_load_dwordx4 v[47:50], v[51:52], off
	global_load_dwordx4 v[51:54], v[51:52], off offset:16
	s_clause 0x3
	global_load_dwordx4 v[55:58], v[67:68], off
	global_load_dwordx4 v[59:62], v[67:68], off offset:16
	global_load_dwordx4 v[63:66], v[67:68], off offset:32
	;; [unrolled: 1-line block ×3, first 2 shown]
	v_sub_co_u32 v71, vcc_lo, v71, v4
	v_sub_co_ci_u32_e64 v72, null, v72, v5, vcc_lo
	v_lshlrev_b64 v[71:72], 5, v[71:72]
	v_add_co_u32 v75, vcc_lo, s2, v71
	v_add_co_ci_u32_e64 v76, null, s3, v72, vcc_lo
	s_clause 0x1
	global_load_dwordx4 v[71:74], v[75:76], off
	global_load_dwordx4 v[75:78], v[75:76], off offset:16
	v_add_co_u32 v91, vcc_lo, 0x2000, v24
	v_add_co_ci_u32_e64 v92, null, 0, v25, vcc_lo
	s_clause 0x3
	global_load_dwordx4 v[79:82], v[91:92], off
	global_load_dwordx4 v[83:86], v[91:92], off offset:16
	global_load_dwordx4 v[87:90], v[91:92], off offset:32
	;; [unrolled: 1-line block ×3, first 2 shown]
	v_sub_co_u32 v95, vcc_lo, v95, v4
	v_sub_co_ci_u32_e64 v96, null, v96, v5, vcc_lo
	v_lshlrev_b64 v[95:96], 5, v[95:96]
	v_add_co_u32 v99, vcc_lo, s2, v95
	v_add_co_ci_u32_e64 v100, null, s3, v96, vcc_lo
	s_clause 0x1
	global_load_dwordx4 v[95:98], v[99:100], off
	global_load_dwordx4 v[99:102], v[99:100], off offset:16
	v_add_co_u32 v115, vcc_lo, 0x3000, v24
	v_add_co_ci_u32_e64 v116, null, 0, v25, vcc_lo
	s_clause 0x3
	global_load_dwordx4 v[103:106], v[115:116], off
	global_load_dwordx4 v[107:110], v[115:116], off offset:16
	global_load_dwordx4 v[111:114], v[115:116], off offset:32
	;; [unrolled: 1-line block ×3, first 2 shown]
	v_sub_co_u32 v119, vcc_lo, v119, v4
	v_sub_co_ci_u32_e64 v120, null, v120, v5, vcc_lo
	v_add_co_u32 v24, s1, 0x4000, v24
	v_add_co_ci_u32_e64 v25, null, 0, v25, s1
	v_lshlrev_b64 v[119:120], 5, v[119:120]
	v_add_co_u32 v123, vcc_lo, s2, v119
	v_add_co_ci_u32_e64 v124, null, s3, v120, vcc_lo
	v_add_co_u32 v26, vcc_lo, 0x100, v26
	v_add_co_ci_u32_e64 v27, null, 0, v27, vcc_lo
	s_clause 0x1
	global_load_dwordx4 v[119:122], v[123:124], off
	global_load_dwordx4 v[123:126], v[123:124], off offset:16
	v_add_co_u32 v28, vcc_lo, 0x800, v28
	v_add_co_ci_u32_e64 v29, null, 0, v29, vcc_lo
	v_cmp_ge_i64_e32 vcc_lo, v[26:27], v[6:7]
	s_or_b32 s8, vcc_lo, s8
	s_waitcnt vmcnt(19)
	v_fma_f64 v[20:21], v[127:128], v[47:48], v[20:21]
	v_fma_f64 v[18:19], v[129:130], v[47:48], v[18:19]
	;; [unrolled: 1-line block ×4, first 2 shown]
	v_cvt_f64_f32_e32 v[47:48], v32
	v_cvt_f64_f32_e32 v[32:33], v33
	v_fma_f64 v[20:21], v[30:31], v[49:50], v[20:21]
	v_cvt_f64_f32_e32 v[30:31], v37
	v_fma_f64 v[18:19], v[35:36], v[49:50], v[18:19]
	;; [unrolled: 2-line block ×4, first 2 shown]
	v_cvt_f64_f32_e32 v[37:38], v38
	v_cvt_f64_f32_e32 v[39:40], v46
	;; [unrolled: 1-line block ×3, first 2 shown]
	s_waitcnt vmcnt(14)
	v_cvt_f64_f32_e32 v[45:46], v67
	v_fma_f64 v[20:21], v[47:48], v[51:52], v[20:21]
	v_fma_f64 v[18:19], v[30:31], v[51:52], v[18:19]
	v_cvt_f64_f32_e32 v[30:31], v55
	v_fma_f64 v[16:17], v[35:36], v[51:52], v[16:17]
	v_cvt_f64_f32_e32 v[35:36], v59
	;; [unrolled: 2-line block ×7, first 2 shown]
	s_waitcnt vmcnt(13)
	v_fma_f64 v[20:21], v[30:31], v[71:72], v[20:21]
	v_cvt_f64_f32_e32 v[30:31], v57
	v_fma_f64 v[18:19], v[35:36], v[71:72], v[18:19]
	v_cvt_f64_f32_e32 v[35:36], v61
	;; [unrolled: 2-line block ×8, first 2 shown]
	s_waitcnt vmcnt(12)
	v_fma_f64 v[20:21], v[30:31], v[75:76], v[20:21]
	s_waitcnt vmcnt(11)
	v_cvt_f64_f32_e32 v[30:31], v79
	v_fma_f64 v[18:19], v[35:36], v[75:76], v[18:19]
	s_waitcnt vmcnt(10)
	v_cvt_f64_f32_e32 v[35:36], v83
	;; [unrolled: 3-line block ×4, first 2 shown]
	v_fma_f64 v[20:21], v[32:33], v[77:78], v[20:21]
	v_cvt_f64_f32_e32 v[32:33], v80
	v_fma_f64 v[18:19], v[37:38], v[77:78], v[18:19]
	v_cvt_f64_f32_e32 v[37:38], v84
	;; [unrolled: 2-line block ×4, first 2 shown]
	s_waitcnt vmcnt(7)
	v_fma_f64 v[20:21], v[30:31], v[95:96], v[20:21]
	v_cvt_f64_f32_e32 v[30:31], v81
	v_fma_f64 v[18:19], v[35:36], v[95:96], v[18:19]
	v_cvt_f64_f32_e32 v[35:36], v85
	;; [unrolled: 2-line block ×8, first 2 shown]
	s_waitcnt vmcnt(6)
	v_fma_f64 v[20:21], v[30:31], v[99:100], v[20:21]
	s_waitcnt vmcnt(5)
	v_cvt_f64_f32_e32 v[30:31], v103
	v_fma_f64 v[18:19], v[35:36], v[99:100], v[18:19]
	s_waitcnt vmcnt(4)
	v_cvt_f64_f32_e32 v[35:36], v107
	;; [unrolled: 3-line block ×4, first 2 shown]
	v_fma_f64 v[20:21], v[32:33], v[101:102], v[20:21]
	v_cvt_f64_f32_e32 v[32:33], v104
	v_fma_f64 v[18:19], v[37:38], v[101:102], v[18:19]
	v_cvt_f64_f32_e32 v[37:38], v108
	;; [unrolled: 2-line block ×4, first 2 shown]
	s_waitcnt vmcnt(1)
	v_fma_f64 v[20:21], v[30:31], v[119:120], v[20:21]
	v_cvt_f64_f32_e32 v[30:31], v105
	v_fma_f64 v[18:19], v[35:36], v[119:120], v[18:19]
	v_cvt_f64_f32_e32 v[35:36], v109
	;; [unrolled: 2-line block ×8, first 2 shown]
	s_waitcnt vmcnt(0)
	v_fma_f64 v[20:21], v[30:31], v[123:124], v[20:21]
	v_fma_f64 v[18:19], v[35:36], v[123:124], v[18:19]
	;; [unrolled: 1-line block ×8, first 2 shown]
	s_andn2_b32 exec_lo, exec_lo, s8
	s_cbranch_execnz .LBB164_23
; %bb.24:
	s_or_b32 exec_lo, exec_lo, s8
.LBB164_25:
	s_or_b32 exec_lo, exec_lo, s7
.LBB164_26:
	s_or_b32 exec_lo, exec_lo, s6
	s_cbranch_execz .LBB164_28
	s_branch .LBB164_39
.LBB164_27:
                                        ; implicit-def: $vgpr14_vgpr15
                                        ; implicit-def: $vgpr16_vgpr17
                                        ; implicit-def: $vgpr18_vgpr19
                                        ; implicit-def: $vgpr20_vgpr21
.LBB164_28:
	v_mov_b32_e32 v14, 0
	v_mov_b32_e32 v16, 0
	;; [unrolled: 1-line block ×8, first 2 shown]
	s_and_saveexec_b32 s1, s0
	s_cbranch_execz .LBB164_38
; %bb.29:
	v_or_b32_e32 v14, 64, v34
	v_not_b32_e32 v17, v22
	v_sub_co_u32 v18, s0, v4, v34
	v_not_b32_e32 v16, v23
	v_sub_co_u32 v14, vcc_lo, v14, v4
	v_sub_co_ci_u32_e64 v15, null, 0, v5, vcc_lo
	v_subrev_co_ci_u32_e64 v19, null, 0, v5, s0
	v_add_co_u32 v14, vcc_lo, v14, v22
	v_add_co_ci_u32_e64 v15, null, v15, v23, vcc_lo
	v_cmp_gt_i64_e32 vcc_lo, v[14:15], v[6:7]
	v_cndmask_b32_e32 v20, v7, v15, vcc_lo
	v_cndmask_b32_e32 v14, v6, v14, vcc_lo
	v_add_co_u32 v15, vcc_lo, v18, v17
	v_add_co_ci_u32_e64 v16, null, v19, v16, vcc_lo
	v_mov_b32_e32 v18, 0
	v_add_co_u32 v22, vcc_lo, v15, v14
	v_mov_b32_e32 v15, 0
	v_add_co_ci_u32_e64 v23, null, v16, v20, vcc_lo
	v_and_b32_e32 v14, 0xc0, v22
	v_mov_b32_e32 v20, 0
	v_mov_b32_e32 v16, 0
	;; [unrolled: 1-line block ×4, first 2 shown]
	v_cmp_ne_u64_e32 vcc_lo, 0xc0, v[14:15]
	v_mov_b32_e32 v14, 0
	v_mov_b32_e32 v17, 0
	;; [unrolled: 1-line block ×3, first 2 shown]
	s_and_saveexec_b32 s6, vcc_lo
	s_cbranch_execz .LBB164_33
; %bb.30:
	v_lshrrev_b32_e32 v14, 6, v22
	v_lshlrev_b64 v[24:25], 3, v[0:1]
	v_mov_b32_e32 v16, 0
	v_mov_b32_e32 v18, 0
	;; [unrolled: 1-line block ×3, first 2 shown]
	v_add_nc_u32_e32 v26, 1, v14
	v_mov_b32_e32 v14, 0
	v_add_co_u32 v24, vcc_lo, s12, v24
	v_mov_b32_e32 v15, 0
	v_and_b32_e32 v26, 3, v26
	v_mov_b32_e32 v17, 0
	v_mov_b32_e32 v19, 0
	;; [unrolled: 1-line block ×3, first 2 shown]
	v_add_co_ci_u32_e64 v25, null, s13, v25, vcc_lo
	v_sub_co_u32 v26, s0, 0, v26
	v_sub_co_ci_u32_e64 v27, null, 0, 0, s0
	s_mov_b32 s7, 0
.LBB164_31:                             ; =>This Inner Loop Header: Depth=1
	global_load_dwordx2 v[32:33], v[24:25], off
	s_clause 0x1
	global_load_dwordx4 v[28:31], v[12:13], off offset:16
	global_load_dwordx4 v[35:38], v[12:13], off
	v_add_co_u32 v24, s0, 0x200, v24
	v_add_co_ci_u32_e64 v25, null, 0, v25, s0
	s_waitcnt vmcnt(2)
	v_sub_co_u32 v32, vcc_lo, v32, v4
	v_sub_co_ci_u32_e64 v33, null, v33, v5, vcc_lo
	s_waitcnt vmcnt(0)
	v_cvt_f64_f32_e32 v[55:56], v37
	v_cvt_f64_f32_e32 v[37:38], v38
	;; [unrolled: 1-line block ×3, first 2 shown]
	v_lshlrev_b64 v[32:33], 5, v[32:33]
	v_cvt_f64_f32_e32 v[28:29], v29
	v_cvt_f64_f32_e32 v[59:60], v30
	;; [unrolled: 1-line block ×3, first 2 shown]
	v_add_co_u32 v32, vcc_lo, s2, v32
	v_add_co_ci_u32_e64 v33, null, s3, v33, vcc_lo
	s_clause 0x1
	global_load_dwordx4 v[39:42], v[32:33], off
	global_load_dwordx4 v[43:46], v[32:33], off offset:16
	s_clause 0x1
	global_load_dwordx4 v[47:50], v[12:13], off offset:32
	global_load_dwordx4 v[51:54], v[12:13], off offset:48
	v_cvt_f64_f32_e32 v[32:33], v35
	v_cvt_f64_f32_e32 v[35:36], v36
	v_add_co_u32 v12, vcc_lo, 0x1000, v12
	v_add_co_ci_u32_e64 v13, null, 0, v13, vcc_lo
	v_add_co_u32 v26, vcc_lo, v26, 1
	v_add_co_ci_u32_e64 v27, null, 0, v27, vcc_lo
	;; [unrolled: 2-line block ×3, first 2 shown]
	v_cmp_eq_u64_e32 vcc_lo, 0, v[26:27]
	s_or_b32 s7, vcc_lo, s7
	s_waitcnt vmcnt(3)
	v_fma_f64 v[20:21], v[32:33], v[39:40], v[20:21]
	v_fma_f64 v[18:19], v[35:36], v[39:40], v[18:19]
	;; [unrolled: 1-line block ×4, first 2 shown]
	s_waitcnt vmcnt(1)
	v_cvt_f64_f32_e32 v[32:33], v47
	v_cvt_f64_f32_e32 v[35:36], v48
	;; [unrolled: 1-line block ×4, first 2 shown]
	s_waitcnt vmcnt(0)
	v_cvt_f64_f32_e32 v[47:48], v54
	v_fma_f64 v[20:21], v[57:58], v[41:42], v[20:21]
	v_fma_f64 v[18:19], v[28:29], v[41:42], v[18:19]
	;; [unrolled: 1-line block ×4, first 2 shown]
	v_cvt_f64_f32_e32 v[28:29], v51
	v_cvt_f64_f32_e32 v[30:31], v52
	;; [unrolled: 1-line block ×3, first 2 shown]
	v_fma_f64 v[20:21], v[32:33], v[43:44], v[20:21]
	v_fma_f64 v[18:19], v[35:36], v[43:44], v[18:19]
	;; [unrolled: 1-line block ×8, first 2 shown]
	s_andn2_b32 exec_lo, exec_lo, s7
	s_cbranch_execnz .LBB164_31
; %bb.32:
	s_or_b32 exec_lo, exec_lo, s7
.LBB164_33:
	s_or_b32 exec_lo, exec_lo, s6
	s_mov_b32 s6, exec_lo
	v_cmpx_lt_u64_e32 0xbf, v[22:23]
	s_cbranch_execz .LBB164_37
; %bb.34:
	v_lshlrev_b64 v[22:23], 3, v[0:1]
	s_mov_b32 s7, 0
	v_add_co_u32 v22, vcc_lo, s12, v22
	v_add_co_ci_u32_e64 v23, null, s13, v23, vcc_lo
	v_add_co_u32 v22, vcc_lo, 0x400, v22
	v_add_co_ci_u32_e64 v23, null, 0, v23, vcc_lo
.LBB164_35:                             ; =>This Inner Loop Header: Depth=1
	s_clause 0x2
	global_load_dwordx2 v[32:33], v[22:23], off offset:-1024
	global_load_dwordx2 v[55:56], v[22:23], off offset:-512
	global_load_dwordx2 v[79:80], v[22:23], off
	s_clause 0x3
	global_load_dwordx4 v[24:27], v[12:13], off
	global_load_dwordx4 v[28:31], v[12:13], off offset:16
	global_load_dwordx4 v[35:38], v[12:13], off offset:32
	;; [unrolled: 1-line block ×3, first 2 shown]
	global_load_dwordx2 v[95:96], v[22:23], off offset:512
	s_waitcnt vmcnt(7)
	v_sub_co_u32 v32, vcc_lo, v32, v4
	v_sub_co_ci_u32_e64 v33, null, v33, v5, vcc_lo
	s_waitcnt vmcnt(3)
	v_cvt_f64_f32_e32 v[107:108], v28
	v_cvt_f64_f32_e32 v[109:110], v29
	v_cvt_f64_f32_e32 v[101:102], v25
	v_lshlrev_b64 v[32:33], 5, v[32:33]
	v_cvt_f64_f32_e32 v[103:104], v26
	v_cvt_f64_f32_e32 v[105:106], v27
	;; [unrolled: 1-line block ×4, first 2 shown]
	s_waitcnt vmcnt(2)
	v_cvt_f64_f32_e32 v[115:116], v35
	v_add_co_u32 v32, vcc_lo, s2, v32
	v_add_co_ci_u32_e64 v33, null, s3, v33, vcc_lo
	v_cvt_f64_f32_e32 v[117:118], v36
	v_cvt_f64_f32_e32 v[119:120], v37
	;; [unrolled: 1-line block ×3, first 2 shown]
	s_clause 0x1
	global_load_dwordx4 v[43:46], v[32:33], off
	global_load_dwordx4 v[47:50], v[32:33], off offset:16
	v_add_co_u32 v32, vcc_lo, 0x1000, v12
	v_add_co_ci_u32_e64 v33, null, 0, v13, vcc_lo
	v_sub_co_u32 v55, vcc_lo, v55, v4
	v_sub_co_ci_u32_e64 v56, null, v56, v5, vcc_lo
	global_load_dwordx4 v[51:54], v[32:33], off
	v_lshlrev_b64 v[55:56], 5, v[55:56]
	v_add_co_u32 v71, vcc_lo, s2, v55
	v_add_co_ci_u32_e64 v72, null, s3, v56, vcc_lo
	global_load_dwordx4 v[55:58], v[32:33], off offset:16
	global_load_dwordx4 v[59:62], v[71:72], off
	s_clause 0x1
	global_load_dwordx4 v[63:66], v[32:33], off offset:32
	global_load_dwordx4 v[67:70], v[32:33], off offset:48
	;; [unrolled: 1-line block ×3, first 2 shown]
	v_add_co_u32 v32, vcc_lo, 0x2000, v12
	v_add_co_ci_u32_e64 v33, null, 0, v13, vcc_lo
	v_sub_co_u32 v79, vcc_lo, v79, v4
	v_sub_co_ci_u32_e64 v80, null, v80, v5, vcc_lo
	global_load_dwordx4 v[75:78], v[32:33], off
	v_lshlrev_b64 v[79:80], 5, v[79:80]
	v_add_co_u32 v97, vcc_lo, s2, v79
	v_add_co_ci_u32_e64 v98, null, s3, v80, vcc_lo
	global_load_dwordx4 v[79:82], v[32:33], off offset:16
	global_load_dwordx4 v[83:86], v[97:98], off
	global_load_dwordx4 v[87:90], v[32:33], off offset:32
	v_add_co_u32 v99, vcc_lo, 0x3000, v12
	v_add_co_ci_u32_e64 v100, null, 0, v13, vcc_lo
	s_waitcnt vmcnt(12)
	v_sub_co_u32 v28, vcc_lo, v95, v4
	v_sub_co_ci_u32_e64 v29, null, v96, v5, vcc_lo
	global_load_dwordx4 v[91:94], v[32:33], off offset:48
	v_add_co_u32 v12, s0, 0x4000, v12
	v_lshlrev_b64 v[28:29], 5, v[28:29]
	v_add_co_ci_u32_e64 v13, null, 0, v13, s0
	v_add_co_u32 v123, vcc_lo, s2, v28
	v_add_co_ci_u32_e64 v124, null, s3, v29, vcc_lo
	global_load_dwordx4 v[28:31], v[99:100], off
	v_cvt_f64_f32_e32 v[32:33], v24
	s_clause 0x1
	global_load_dwordx4 v[24:27], v[97:98], off offset:16
	global_load_dwordx4 v[35:38], v[123:124], off
	v_add_co_u32 v0, vcc_lo, 0x100, v0
	v_add_co_ci_u32_e64 v1, null, 0, v1, vcc_lo
	v_add_co_u32 v22, vcc_lo, 0x800, v22
	v_add_co_ci_u32_e64 v23, null, 0, v23, vcc_lo
	v_cmp_ge_i64_e32 vcc_lo, v[0:1], v[6:7]
	s_or_b32 s7, vcc_lo, s7
	s_waitcnt vmcnt(15)
	v_fma_f64 v[20:21], v[32:33], v[43:44], v[20:21]
	v_fma_f64 v[32:33], v[101:102], v[43:44], v[18:19]
	;; [unrolled: 1-line block ×3, first 2 shown]
	global_load_dwordx4 v[16:19], v[99:100], off offset:16
	v_fma_f64 v[14:15], v[105:106], v[43:44], v[14:15]
	v_cvt_f64_f32_e32 v[103:104], v39
	v_cvt_f64_f32_e32 v[105:106], v40
	v_fma_f64 v[20:21], v[107:108], v[45:46], v[20:21]
	v_fma_f64 v[32:33], v[109:110], v[45:46], v[32:33]
	;; [unrolled: 1-line block ×3, first 2 shown]
	global_load_dwordx4 v[95:98], v[99:100], off offset:32
	v_fma_f64 v[14:15], v[113:114], v[45:46], v[14:15]
	v_cvt_f64_f32_e32 v[107:108], v41
	v_cvt_f64_f32_e32 v[109:110], v42
	global_load_dwordx4 v[39:42], v[99:100], off offset:48
	global_load_dwordx4 v[43:46], v[123:124], off offset:16
	s_waitcnt vmcnt(18)
	v_fma_f64 v[20:21], v[115:116], v[47:48], v[20:21]
	v_fma_f64 v[32:33], v[117:118], v[47:48], v[32:33]
	v_fma_f64 v[99:100], v[119:120], v[47:48], v[101:102]
	s_waitcnt vmcnt(17)
	v_cvt_f64_f32_e32 v[101:102], v53
	v_fma_f64 v[14:15], v[121:122], v[47:48], v[14:15]
	v_cvt_f64_f32_e32 v[47:48], v51
	v_cvt_f64_f32_e32 v[51:52], v52
	v_cvt_f64_f32_e32 v[53:54], v54
	v_fma_f64 v[20:21], v[103:104], v[49:50], v[20:21]
	v_fma_f64 v[32:33], v[105:106], v[49:50], v[32:33]
	v_fma_f64 v[99:100], v[107:108], v[49:50], v[99:100]
	s_waitcnt vmcnt(16)
	v_cvt_f64_f32_e32 v[103:104], v57
	v_fma_f64 v[14:15], v[109:110], v[49:50], v[14:15]
	v_cvt_f64_f32_e32 v[49:50], v55
	v_cvt_f64_f32_e32 v[55:56], v56
	v_cvt_f64_f32_e32 v[57:58], v58
	s_waitcnt vmcnt(15)
	v_fma_f64 v[20:21], v[47:48], v[59:60], v[20:21]
	v_fma_f64 v[32:33], v[51:52], v[59:60], v[32:33]
	v_fma_f64 v[47:48], v[101:102], v[59:60], v[99:100]
	s_waitcnt vmcnt(14)
	v_cvt_f64_f32_e32 v[51:52], v63
	v_fma_f64 v[14:15], v[53:54], v[59:60], v[14:15]
	v_cvt_f64_f32_e32 v[53:54], v64
	v_cvt_f64_f32_e32 v[59:60], v65
	v_cvt_f64_f32_e32 v[63:64], v66
	v_fma_f64 v[20:21], v[49:50], v[61:62], v[20:21]
	v_fma_f64 v[32:33], v[55:56], v[61:62], v[32:33]
	v_fma_f64 v[47:48], v[103:104], v[61:62], v[47:48]
	s_waitcnt vmcnt(13)
	v_cvt_f64_f32_e32 v[49:50], v67
	v_fma_f64 v[14:15], v[57:58], v[61:62], v[14:15]
	v_cvt_f64_f32_e32 v[55:56], v68
	v_cvt_f64_f32_e32 v[57:58], v69
	v_cvt_f64_f32_e32 v[61:62], v70
	;; [unrolled: 19-line block ×4, first 2 shown]
	s_waitcnt vmcnt(5)
	v_fma_f64 v[20:21], v[51:52], v[24:25], v[20:21]
	v_fma_f64 v[32:33], v[53:54], v[24:25], v[32:33]
	;; [unrolled: 1-line block ×3, first 2 shown]
	v_cvt_f64_f32_e32 v[51:52], v30
	v_fma_f64 v[14:15], v[63:64], v[24:25], v[14:15]
	v_cvt_f64_f32_e32 v[24:25], v28
	v_cvt_f64_f32_e32 v[28:29], v29
	;; [unrolled: 1-line block ×3, first 2 shown]
	v_fma_f64 v[20:21], v[49:50], v[26:27], v[20:21]
	v_fma_f64 v[32:33], v[55:56], v[26:27], v[32:33]
	v_fma_f64 v[47:48], v[57:58], v[26:27], v[47:48]
	v_fma_f64 v[14:15], v[61:62], v[26:27], v[14:15]
	s_waitcnt vmcnt(4)
	v_fma_f64 v[20:21], v[24:25], v[35:36], v[20:21]
	v_fma_f64 v[24:25], v[28:29], v[35:36], v[32:33]
	v_fma_f64 v[28:29], v[51:52], v[35:36], v[47:48]
	v_fma_f64 v[14:15], v[30:31], v[35:36], v[14:15]
	s_waitcnt vmcnt(3)
	v_cvt_f64_f32_e32 v[26:27], v16
	v_cvt_f64_f32_e32 v[16:17], v17
	;; [unrolled: 1-line block ×4, first 2 shown]
	s_waitcnt vmcnt(2)
	v_cvt_f64_f32_e32 v[30:31], v95
	v_cvt_f64_f32_e32 v[32:33], v96
	;; [unrolled: 1-line block ×4, first 2 shown]
	v_fma_f64 v[20:21], v[26:27], v[37:38], v[20:21]
	v_fma_f64 v[16:17], v[16:17], v[37:38], v[24:25]
	;; [unrolled: 1-line block ×4, first 2 shown]
	s_waitcnt vmcnt(1)
	v_cvt_f64_f32_e32 v[18:19], v39
	v_cvt_f64_f32_e32 v[26:27], v40
	;; [unrolled: 1-line block ×4, first 2 shown]
	s_waitcnt vmcnt(0)
	v_fma_f64 v[20:21], v[30:31], v[43:44], v[20:21]
	v_fma_f64 v[16:17], v[32:33], v[43:44], v[16:17]
	;; [unrolled: 1-line block ×8, first 2 shown]
	s_andn2_b32 exec_lo, exec_lo, s7
	s_cbranch_execnz .LBB164_35
; %bb.36:
	s_or_b32 exec_lo, exec_lo, s7
.LBB164_37:
	s_or_b32 exec_lo, exec_lo, s6
.LBB164_38:
	s_or_b32 exec_lo, exec_lo, s1
.LBB164_39:
	v_mbcnt_lo_u32_b32 v24, -1, 0
	v_or_b32_e32 v0, 32, v24
	v_cmp_gt_i32_e32 vcc_lo, 32, v0
	v_cndmask_b32_e32 v0, v24, v0, vcc_lo
	v_lshlrev_b32_e32 v13, 2, v0
	ds_bpermute_b32 v0, v13, v20
	ds_bpermute_b32 v1, v13, v21
	;; [unrolled: 1-line block ×8, first 2 shown]
	s_waitcnt lgkmcnt(6)
	v_add_f64 v[0:1], v[20:21], v[0:1]
	s_waitcnt lgkmcnt(4)
	v_add_f64 v[4:5], v[18:19], v[4:5]
	;; [unrolled: 2-line block ×3, first 2 shown]
	v_xor_b32_e32 v16, 16, v24
	s_waitcnt lgkmcnt(0)
	v_add_f64 v[12:13], v[14:15], v[12:13]
	v_cmp_gt_i32_e32 vcc_lo, 32, v16
	v_cndmask_b32_e32 v14, v24, v16, vcc_lo
	v_lshlrev_b32_e32 v21, 2, v14
	ds_bpermute_b32 v14, v21, v0
	ds_bpermute_b32 v15, v21, v1
	;; [unrolled: 1-line block ×8, first 2 shown]
	s_waitcnt lgkmcnt(6)
	v_add_f64 v[0:1], v[0:1], v[14:15]
	v_xor_b32_e32 v14, 8, v24
	s_waitcnt lgkmcnt(4)
	v_add_f64 v[4:5], v[4:5], v[16:17]
	s_waitcnt lgkmcnt(2)
	v_add_f64 v[6:7], v[6:7], v[18:19]
	;; [unrolled: 2-line block ×3, first 2 shown]
	v_cmp_gt_i32_e32 vcc_lo, 32, v14
	v_cndmask_b32_e32 v14, v24, v14, vcc_lo
	v_lshlrev_b32_e32 v21, 2, v14
	ds_bpermute_b32 v14, v21, v0
	ds_bpermute_b32 v15, v21, v1
	;; [unrolled: 1-line block ×8, first 2 shown]
	s_waitcnt lgkmcnt(6)
	v_add_f64 v[0:1], v[0:1], v[14:15]
	v_xor_b32_e32 v14, 4, v24
	s_waitcnt lgkmcnt(4)
	v_add_f64 v[4:5], v[4:5], v[16:17]
	s_waitcnt lgkmcnt(2)
	v_add_f64 v[6:7], v[6:7], v[18:19]
	;; [unrolled: 2-line block ×3, first 2 shown]
	v_cmp_gt_i32_e32 vcc_lo, 32, v14
	v_cndmask_b32_e32 v14, v24, v14, vcc_lo
	v_lshlrev_b32_e32 v21, 2, v14
	ds_bpermute_b32 v14, v21, v0
	ds_bpermute_b32 v15, v21, v1
	ds_bpermute_b32 v16, v21, v4
	ds_bpermute_b32 v17, v21, v5
	ds_bpermute_b32 v18, v21, v6
	ds_bpermute_b32 v19, v21, v7
	ds_bpermute_b32 v20, v21, v12
	ds_bpermute_b32 v21, v21, v13
	s_waitcnt lgkmcnt(6)
	v_add_f64 v[0:1], v[0:1], v[14:15]
	s_waitcnt lgkmcnt(4)
	v_add_f64 v[4:5], v[4:5], v[16:17]
	;; [unrolled: 2-line block ×3, first 2 shown]
	v_xor_b32_e32 v6, 2, v24
	s_waitcnt lgkmcnt(0)
	v_add_f64 v[16:17], v[12:13], v[20:21]
	v_cmp_gt_i32_e32 vcc_lo, 32, v6
	v_cndmask_b32_e32 v6, v24, v6, vcc_lo
	v_lshlrev_b32_e32 v12, 2, v6
	ds_bpermute_b32 v6, v12, v0
	ds_bpermute_b32 v7, v12, v1
	ds_bpermute_b32 v18, v12, v4
	ds_bpermute_b32 v19, v12, v5
	ds_bpermute_b32 v20, v12, v14
	ds_bpermute_b32 v21, v12, v15
	ds_bpermute_b32 v22, v12, v16
	ds_bpermute_b32 v23, v12, v17
	s_waitcnt lgkmcnt(6)
	v_add_f64 v[12:13], v[0:1], v[6:7]
	s_waitcnt lgkmcnt(4)
	v_add_f64 v[6:7], v[4:5], v[18:19]
	;; [unrolled: 2-line block ×3, first 2 shown]
	v_xor_b32_e32 v14, 1, v24
	s_waitcnt lgkmcnt(0)
	v_add_f64 v[4:5], v[16:17], v[22:23]
	v_cmp_gt_i32_e32 vcc_lo, 32, v14
	v_cndmask_b32_e32 v14, v24, v14, vcc_lo
	v_cmp_eq_u32_e32 vcc_lo, 63, v34
	v_lshlrev_b32_e32 v15, 2, v14
	ds_bpermute_b32 v20, v15, v12
	ds_bpermute_b32 v21, v15, v13
	;; [unrolled: 1-line block ×8, first 2 shown]
	s_and_b32 exec_lo, exec_lo, vcc_lo
	s_cbranch_execz .LBB164_10
; %bb.40:
	s_waitcnt lgkmcnt(6)
	v_add_f64 v[12:13], v[12:13], v[20:21]
	s_waitcnt lgkmcnt(4)
	v_add_f64 v[6:7], v[6:7], v[18:19]
	;; [unrolled: 2-line block ×4, first 2 shown]
	s_load_dwordx2 s[0:1], s[4:5], 0x58
	v_lshlrev_b64 v[10:11], 5, v[10:11]
	s_mov_b32 s2, exec_lo
	v_mul_f64 v[4:5], v[2:3], v[12:13]
	v_mul_f64 v[6:7], v[2:3], v[6:7]
	;; [unrolled: 1-line block ×4, first 2 shown]
	v_cmpx_eq_f64_e32 0, v[8:9]
	s_xor_b32 s2, exec_lo, s2
	s_cbranch_execz .LBB164_42
; %bb.41:
	s_waitcnt lgkmcnt(0)
	v_add_co_u32 v8, vcc_lo, s0, v10
	v_add_co_ci_u32_e64 v9, null, s1, v11, vcc_lo
                                        ; implicit-def: $vgpr10_vgpr11
	global_store_dwordx4 v[8:9], v[4:7], off
	global_store_dwordx4 v[8:9], v[0:3], off offset:16
                                        ; implicit-def: $vgpr8_vgpr9
                                        ; implicit-def: $vgpr4_vgpr5
                                        ; implicit-def: $vgpr0_vgpr1
.LBB164_42:
	s_andn2_saveexec_b32 s2, s2
	s_cbranch_execz .LBB164_10
; %bb.43:
	s_waitcnt lgkmcnt(0)
	v_add_co_u32 v18, vcc_lo, s0, v10
	v_add_co_ci_u32_e64 v19, null, s1, v11, vcc_lo
	s_clause 0x1
	global_load_dwordx4 v[10:13], v[18:19], off
	global_load_dwordx4 v[14:17], v[18:19], off offset:16
	s_waitcnt vmcnt(1)
	v_fma_f64 v[4:5], v[8:9], v[10:11], v[4:5]
	v_fma_f64 v[6:7], v[8:9], v[12:13], v[6:7]
	s_waitcnt vmcnt(0)
	v_fma_f64 v[0:1], v[8:9], v[14:15], v[0:1]
	v_fma_f64 v[2:3], v[8:9], v[16:17], v[2:3]
	global_store_dwordx4 v[18:19], v[4:7], off
	global_store_dwordx4 v[18:19], v[0:3], off offset:16
	s_endpgm
	.section	.rodata,"a",@progbits
	.p2align	6, 0x0
	.amdhsa_kernel _ZN9rocsparseL18bsrxmvn_4x4_kernelILj128ELj64EdllfddEEvT3_20rocsparse_direction_NS_24const_host_device_scalarIT1_EES1_PKS1_PKT2_SA_S7_PKT4_PKT5_S5_PT6_21rocsparse_index_base_b
		.amdhsa_group_segment_fixed_size 0
		.amdhsa_private_segment_fixed_size 0
		.amdhsa_kernarg_size 104
		.amdhsa_user_sgpr_count 6
		.amdhsa_user_sgpr_private_segment_buffer 1
		.amdhsa_user_sgpr_dispatch_ptr 0
		.amdhsa_user_sgpr_queue_ptr 0
		.amdhsa_user_sgpr_kernarg_segment_ptr 1
		.amdhsa_user_sgpr_dispatch_id 0
		.amdhsa_user_sgpr_flat_scratch_init 0
		.amdhsa_user_sgpr_private_segment_size 0
		.amdhsa_wavefront_size32 1
		.amdhsa_uses_dynamic_stack 0
		.amdhsa_system_sgpr_private_segment_wavefront_offset 0
		.amdhsa_system_sgpr_workgroup_id_x 1
		.amdhsa_system_sgpr_workgroup_id_y 0
		.amdhsa_system_sgpr_workgroup_id_z 0
		.amdhsa_system_sgpr_workgroup_info 0
		.amdhsa_system_vgpr_workitem_id 0
		.amdhsa_next_free_vgpr 135
		.amdhsa_next_free_sgpr 16
		.amdhsa_reserve_vcc 1
		.amdhsa_reserve_flat_scratch 0
		.amdhsa_float_round_mode_32 0
		.amdhsa_float_round_mode_16_64 0
		.amdhsa_float_denorm_mode_32 3
		.amdhsa_float_denorm_mode_16_64 3
		.amdhsa_dx10_clamp 1
		.amdhsa_ieee_mode 1
		.amdhsa_fp16_overflow 0
		.amdhsa_workgroup_processor_mode 1
		.amdhsa_memory_ordered 1
		.amdhsa_forward_progress 1
		.amdhsa_shared_vgpr_count 0
		.amdhsa_exception_fp_ieee_invalid_op 0
		.amdhsa_exception_fp_denorm_src 0
		.amdhsa_exception_fp_ieee_div_zero 0
		.amdhsa_exception_fp_ieee_overflow 0
		.amdhsa_exception_fp_ieee_underflow 0
		.amdhsa_exception_fp_ieee_inexact 0
		.amdhsa_exception_int_div_zero 0
	.end_amdhsa_kernel
	.section	.text._ZN9rocsparseL18bsrxmvn_4x4_kernelILj128ELj64EdllfddEEvT3_20rocsparse_direction_NS_24const_host_device_scalarIT1_EES1_PKS1_PKT2_SA_S7_PKT4_PKT5_S5_PT6_21rocsparse_index_base_b,"axG",@progbits,_ZN9rocsparseL18bsrxmvn_4x4_kernelILj128ELj64EdllfddEEvT3_20rocsparse_direction_NS_24const_host_device_scalarIT1_EES1_PKS1_PKT2_SA_S7_PKT4_PKT5_S5_PT6_21rocsparse_index_base_b,comdat
.Lfunc_end164:
	.size	_ZN9rocsparseL18bsrxmvn_4x4_kernelILj128ELj64EdllfddEEvT3_20rocsparse_direction_NS_24const_host_device_scalarIT1_EES1_PKS1_PKT2_SA_S7_PKT4_PKT5_S5_PT6_21rocsparse_index_base_b, .Lfunc_end164-_ZN9rocsparseL18bsrxmvn_4x4_kernelILj128ELj64EdllfddEEvT3_20rocsparse_direction_NS_24const_host_device_scalarIT1_EES1_PKS1_PKT2_SA_S7_PKT4_PKT5_S5_PT6_21rocsparse_index_base_b
                                        ; -- End function
	.set _ZN9rocsparseL18bsrxmvn_4x4_kernelILj128ELj64EdllfddEEvT3_20rocsparse_direction_NS_24const_host_device_scalarIT1_EES1_PKS1_PKT2_SA_S7_PKT4_PKT5_S5_PT6_21rocsparse_index_base_b.num_vgpr, 135
	.set _ZN9rocsparseL18bsrxmvn_4x4_kernelILj128ELj64EdllfddEEvT3_20rocsparse_direction_NS_24const_host_device_scalarIT1_EES1_PKS1_PKT2_SA_S7_PKT4_PKT5_S5_PT6_21rocsparse_index_base_b.num_agpr, 0
	.set _ZN9rocsparseL18bsrxmvn_4x4_kernelILj128ELj64EdllfddEEvT3_20rocsparse_direction_NS_24const_host_device_scalarIT1_EES1_PKS1_PKT2_SA_S7_PKT4_PKT5_S5_PT6_21rocsparse_index_base_b.numbered_sgpr, 16
	.set _ZN9rocsparseL18bsrxmvn_4x4_kernelILj128ELj64EdllfddEEvT3_20rocsparse_direction_NS_24const_host_device_scalarIT1_EES1_PKS1_PKT2_SA_S7_PKT4_PKT5_S5_PT6_21rocsparse_index_base_b.num_named_barrier, 0
	.set _ZN9rocsparseL18bsrxmvn_4x4_kernelILj128ELj64EdllfddEEvT3_20rocsparse_direction_NS_24const_host_device_scalarIT1_EES1_PKS1_PKT2_SA_S7_PKT4_PKT5_S5_PT6_21rocsparse_index_base_b.private_seg_size, 0
	.set _ZN9rocsparseL18bsrxmvn_4x4_kernelILj128ELj64EdllfddEEvT3_20rocsparse_direction_NS_24const_host_device_scalarIT1_EES1_PKS1_PKT2_SA_S7_PKT4_PKT5_S5_PT6_21rocsparse_index_base_b.uses_vcc, 1
	.set _ZN9rocsparseL18bsrxmvn_4x4_kernelILj128ELj64EdllfddEEvT3_20rocsparse_direction_NS_24const_host_device_scalarIT1_EES1_PKS1_PKT2_SA_S7_PKT4_PKT5_S5_PT6_21rocsparse_index_base_b.uses_flat_scratch, 0
	.set _ZN9rocsparseL18bsrxmvn_4x4_kernelILj128ELj64EdllfddEEvT3_20rocsparse_direction_NS_24const_host_device_scalarIT1_EES1_PKS1_PKT2_SA_S7_PKT4_PKT5_S5_PT6_21rocsparse_index_base_b.has_dyn_sized_stack, 0
	.set _ZN9rocsparseL18bsrxmvn_4x4_kernelILj128ELj64EdllfddEEvT3_20rocsparse_direction_NS_24const_host_device_scalarIT1_EES1_PKS1_PKT2_SA_S7_PKT4_PKT5_S5_PT6_21rocsparse_index_base_b.has_recursion, 0
	.set _ZN9rocsparseL18bsrxmvn_4x4_kernelILj128ELj64EdllfddEEvT3_20rocsparse_direction_NS_24const_host_device_scalarIT1_EES1_PKS1_PKT2_SA_S7_PKT4_PKT5_S5_PT6_21rocsparse_index_base_b.has_indirect_call, 0
	.section	.AMDGPU.csdata,"",@progbits
; Kernel info:
; codeLenInByte = 5976
; TotalNumSgprs: 18
; NumVgprs: 135
; ScratchSize: 0
; MemoryBound: 0
; FloatMode: 240
; IeeeMode: 1
; LDSByteSize: 0 bytes/workgroup (compile time only)
; SGPRBlocks: 0
; VGPRBlocks: 16
; NumSGPRsForWavesPerEU: 18
; NumVGPRsForWavesPerEU: 135
; Occupancy: 7
; WaveLimiterHint : 1
; COMPUTE_PGM_RSRC2:SCRATCH_EN: 0
; COMPUTE_PGM_RSRC2:USER_SGPR: 6
; COMPUTE_PGM_RSRC2:TRAP_HANDLER: 0
; COMPUTE_PGM_RSRC2:TGID_X_EN: 1
; COMPUTE_PGM_RSRC2:TGID_Y_EN: 0
; COMPUTE_PGM_RSRC2:TGID_Z_EN: 0
; COMPUTE_PGM_RSRC2:TIDIG_COMP_CNT: 0
	.section	.text._ZN9rocsparseL18bsrxmvn_4x4_kernelILj128ELj4E21rocsparse_complex_numIdEiiS1_IfES2_S2_EEvT3_20rocsparse_direction_NS_24const_host_device_scalarIT1_EES4_PKS4_PKT2_SD_SA_PKT4_PKT5_S8_PT6_21rocsparse_index_base_b,"axG",@progbits,_ZN9rocsparseL18bsrxmvn_4x4_kernelILj128ELj4E21rocsparse_complex_numIdEiiS1_IfES2_S2_EEvT3_20rocsparse_direction_NS_24const_host_device_scalarIT1_EES4_PKS4_PKT2_SD_SA_PKT4_PKT5_S8_PT6_21rocsparse_index_base_b,comdat
	.globl	_ZN9rocsparseL18bsrxmvn_4x4_kernelILj128ELj4E21rocsparse_complex_numIdEiiS1_IfES2_S2_EEvT3_20rocsparse_direction_NS_24const_host_device_scalarIT1_EES4_PKS4_PKT2_SD_SA_PKT4_PKT5_S8_PT6_21rocsparse_index_base_b ; -- Begin function _ZN9rocsparseL18bsrxmvn_4x4_kernelILj128ELj4E21rocsparse_complex_numIdEiiS1_IfES2_S2_EEvT3_20rocsparse_direction_NS_24const_host_device_scalarIT1_EES4_PKS4_PKT2_SD_SA_PKT4_PKT5_S8_PT6_21rocsparse_index_base_b
	.p2align	8
	.type	_ZN9rocsparseL18bsrxmvn_4x4_kernelILj128ELj4E21rocsparse_complex_numIdEiiS1_IfES2_S2_EEvT3_20rocsparse_direction_NS_24const_host_device_scalarIT1_EES4_PKS4_PKT2_SD_SA_PKT4_PKT5_S8_PT6_21rocsparse_index_base_b,@function
_ZN9rocsparseL18bsrxmvn_4x4_kernelILj128ELj4E21rocsparse_complex_numIdEiiS1_IfES2_S2_EEvT3_20rocsparse_direction_NS_24const_host_device_scalarIT1_EES4_PKS4_PKT2_SD_SA_PKT4_PKT5_S8_PT6_21rocsparse_index_base_b: ; @_ZN9rocsparseL18bsrxmvn_4x4_kernelILj128ELj4E21rocsparse_complex_numIdEiiS1_IfES2_S2_EEvT3_20rocsparse_direction_NS_24const_host_device_scalarIT1_EES4_PKS4_PKT2_SD_SA_PKT4_PKT5_S8_PT6_21rocsparse_index_base_b
; %bb.0:
	s_clause 0x1
	s_load_dwordx2 s[2:3], s[4:5], 0x68
	s_load_dwordx2 s[0:1], s[4:5], 0x8
	s_add_u32 s7, s4, 8
	s_addc_u32 s10, s5, 0
	s_add_u32 s11, s4, 0x50
	s_addc_u32 s12, s5, 0
	s_load_dwordx2 s[8:9], s[4:5], 0x50
	s_waitcnt lgkmcnt(0)
	s_bitcmp1_b32 s3, 0
	s_cselect_b32 s0, s7, s0
	s_cselect_b32 s1, s10, s1
	v_mov_b32_e32 v1, s0
	v_mov_b32_e32 v2, s1
	s_cselect_b32 s0, s11, s8
	s_cselect_b32 s1, s12, s9
	flat_load_dwordx4 v[5:8], v[1:2]
	v_mov_b32_e32 v1, s0
	v_mov_b32_e32 v2, s1
	flat_load_dwordx4 v[1:4], v[1:2]
	s_waitcnt vmcnt(1) lgkmcnt(1)
	v_cmp_eq_f64_e32 vcc_lo, 0, v[5:6]
	v_cmp_eq_f64_e64 s0, 0, v[7:8]
	s_and_b32 s3, vcc_lo, s0
	s_mov_b32 s0, -1
	s_and_saveexec_b32 s1, s3
	s_cbranch_execz .LBB165_2
; %bb.1:
	s_waitcnt vmcnt(0) lgkmcnt(0)
	v_cmp_neq_f64_e32 vcc_lo, 1.0, v[1:2]
	v_cmp_neq_f64_e64 s0, 0, v[3:4]
	s_or_b32 s0, vcc_lo, s0
	s_orn2_b32 s0, s0, exec_lo
.LBB165_2:
	s_or_b32 exec_lo, exec_lo, s1
	s_and_saveexec_b32 s1, s0
	s_cbranch_execz .LBB165_8
; %bb.3:
	s_clause 0x1
	s_load_dwordx2 s[8:9], s[4:5], 0x20
	s_load_dwordx2 s[0:1], s[4:5], 0x0
	v_lshrrev_b32_e32 v9, 2, v0
	v_lshl_or_b32 v21, s6, 5, v9
	s_waitcnt lgkmcnt(0)
	s_cmp_lg_u64 s[8:9], 0
	s_cbranch_scc0 .LBB165_9
; %bb.4:
	s_load_dword s3, s[4:5], 0x18
	s_mov_b32 s6, 0
                                        ; implicit-def: $vgpr9
	s_waitcnt lgkmcnt(0)
	v_cmp_gt_i32_e32 vcc_lo, s3, v21
	s_mov_b32 s3, 0
	s_and_saveexec_b32 s7, vcc_lo
	s_xor_b32 s7, exec_lo, s7
	s_cbranch_execz .LBB165_6
; %bb.5:
	v_ashrrev_i32_e32 v22, 31, v21
	s_mov_b32 s3, exec_lo
	v_lshlrev_b64 v[9:10], 2, v[21:22]
	v_add_co_u32 v9, vcc_lo, s8, v9
	v_add_co_ci_u32_e64 v10, null, s9, v10, vcc_lo
	global_load_dword v9, v[9:10], off
	s_waitcnt vmcnt(0)
	v_subrev_nc_u32_e32 v9, s2, v9
.LBB165_6:
	s_or_b32 exec_lo, exec_lo, s7
	s_and_b32 vcc_lo, exec_lo, s6
	s_cbranch_vccz .LBB165_10
.LBB165_7:
	v_cmp_gt_i32_e32 vcc_lo, s0, v21
	s_andn2_b32 s0, s3, exec_lo
	s_and_b32 s3, vcc_lo, exec_lo
	s_or_b32 s3, s0, s3
	s_and_b32 exec_lo, exec_lo, s3
	s_cbranch_execnz .LBB165_11
.LBB165_8:
	s_endpgm
.LBB165_9:
	s_mov_b32 s3, 0
                                        ; implicit-def: $vgpr9
	s_cbranch_execnz .LBB165_7
.LBB165_10:
	v_mov_b32_e32 v21, v9
	s_and_b32 exec_lo, exec_lo, s3
	s_cbranch_execz .LBB165_8
.LBB165_11:
	s_load_dwordx8 s[8:15], s[4:5], 0x28
	v_ashrrev_i32_e32 v22, 31, v21
	v_and_b32_e32 v0, 3, v0
	s_load_dwordx2 s[6:7], s[4:5], 0x48
	v_lshlrev_b64 v[9:10], 2, v[21:22]
	s_waitcnt lgkmcnt(0)
	v_add_co_u32 v11, vcc_lo, s8, v9
	v_add_co_ci_u32_e64 v12, null, s9, v10, vcc_lo
	v_add_co_u32 v9, vcc_lo, s10, v9
	v_add_co_ci_u32_e64 v10, null, s11, v10, vcc_lo
	global_load_dword v47, v[11:12], off
	v_add_co_u32 v11, vcc_lo, v11, 4
	v_add_co_ci_u32_e64 v12, null, 0, v12, vcc_lo
	s_cmp_eq_u64 s[10:11], 0
	s_cselect_b32 vcc_lo, -1, 0
	s_cmp_eq_u32 s1, 1
	v_cndmask_b32_e32 v10, v10, v12, vcc_lo
	v_cndmask_b32_e32 v9, v9, v11, vcc_lo
	global_load_dword v11, v[9:10], off
	s_waitcnt vmcnt(1)
	v_subrev_nc_u32_e32 v9, s2, v47
	v_add_nc_u32_e32 v22, v9, v0
	v_ashrrev_i32_e32 v23, 31, v22
	s_waitcnt vmcnt(0)
	v_subrev_nc_u32_e32 v46, s2, v11
	v_lshlrev_b64 v[9:10], 7, v[22:23]
	v_cmp_lt_i32_e64 s0, v22, v46
	v_add_co_u32 v24, vcc_lo, s14, v9
	v_add_co_ci_u32_e64 v25, null, s15, v10, vcc_lo
	s_cbranch_scc1 .LBB165_23
; %bb.12:
	v_mov_b32_e32 v36, 0
	v_mov_b32_e32 v40, 0
	;; [unrolled: 1-line block ×16, first 2 shown]
	s_and_saveexec_b32 s3, s0
	s_cbranch_execz .LBB165_22
; %bb.13:
	v_add_nc_u32_e32 v9, v47, v0
	v_not_b32_e32 v10, v47
	v_mov_b32_e32 v26, 0
	v_mov_b32_e32 v28, 0
	;; [unrolled: 1-line block ×3, first 2 shown]
	v_subrev_nc_u32_e32 v9, s2, v9
	v_mov_b32_e32 v30, 0
	v_mov_b32_e32 v38, 0
	v_mov_b32_e32 v34, 0
	v_mov_b32_e32 v40, 0
	v_add_nc_u32_e32 v9, 4, v9
	v_mov_b32_e32 v36, 0
	v_mov_b32_e32 v45, v25
	;; [unrolled: 1-line block ×4, first 2 shown]
	v_max_i32_e32 v9, v9, v46
	v_mov_b32_e32 v33, 0
	v_mov_b32_e32 v31, 0
	;; [unrolled: 1-line block ×4, first 2 shown]
	v_add3_u32 v9, s2, v9, v10
	v_mov_b32_e32 v41, 0
	v_mov_b32_e32 v37, 0
	;; [unrolled: 1-line block ×4, first 2 shown]
	v_sub_nc_u32_e32 v9, v9, v0
	s_mov_b32 s1, exec_lo
	v_and_b32_e32 v10, 12, v9
	v_cmpx_ne_u32_e32 12, v10
	s_cbranch_execz .LBB165_17
; %bb.14:
	v_lshrrev_b32_e32 v10, 2, v9
	v_mov_b32_e32 v36, 0
	v_mov_b32_e32 v40, 0
	;; [unrolled: 1-line block ×4, first 2 shown]
	v_add_nc_u32_e32 v10, 1, v10
	v_mov_b32_e32 v30, 0
	v_mov_b32_e32 v32, 0
	;; [unrolled: 1-line block ×4, first 2 shown]
	v_and_b32_e32 v10, 3, v10
	v_mov_b32_e32 v45, v25
	v_mov_b32_e32 v37, 0
	;; [unrolled: 1-line block ×10, first 2 shown]
	v_sub_nc_u32_e32 v10, 0, v10
	v_mov_b32_e32 v44, v24
	s_mov_b32 s8, 0
.LBB165_15:                             ; =>This Inner Loop Header: Depth=1
	v_ashrrev_i32_e32 v43, 31, v42
	v_add_co_u32 v10, s9, v10, 1
	s_or_b32 s8, s9, s8
	v_lshlrev_b64 v[11:12], 2, v[42:43]
	v_add_nc_u32_e32 v42, 4, v42
	v_add_co_u32 v11, vcc_lo, s12, v11
	v_add_co_ci_u32_e64 v12, null, s13, v12, vcc_lo
	global_load_dword v19, v[11:12], off
	s_clause 0x4
	global_load_dwordx4 v[11:14], v[44:45], off offset:32
	global_load_dwordx4 v[15:18], v[44:45], off offset:16
	global_load_dwordx4 v[48:51], v[44:45], off
	global_load_dwordx4 v[52:55], v[44:45], off offset:96
	global_load_dwordx4 v[56:59], v[44:45], off offset:64
	s_waitcnt vmcnt(5)
	v_subrev_nc_u32_e32 v19, s2, v19
	s_waitcnt vmcnt(4)
	v_cvt_f64_f32_e32 v[88:89], v11
	v_cvt_f64_f32_e32 v[11:12], v12
	;; [unrolled: 1-line block ×3, first 2 shown]
	s_waitcnt vmcnt(1)
	v_cvt_f64_f32_e32 v[92:93], v52
	v_lshlrev_b32_e32 v19, 2, v19
	s_waitcnt vmcnt(0)
	v_cvt_f64_f32_e32 v[90:91], v56
	v_cvt_f64_f32_e32 v[56:57], v57
	;; [unrolled: 1-line block ×4, first 2 shown]
	v_ashrrev_i32_e32 v20, 31, v19
	v_cvt_f64_f32_e32 v[96:97], v58
	v_cvt_f64_f32_e32 v[58:59], v59
	;; [unrolled: 1-line block ×4, first 2 shown]
	v_lshlrev_b64 v[19:20], 4, v[19:20]
	v_add_co_u32 v19, vcc_lo, s6, v19
	v_add_co_ci_u32_e64 v20, null, s7, v20, vcc_lo
	s_clause 0x1
	global_load_dwordx4 v[60:63], v[19:20], off
	global_load_dwordx4 v[64:67], v[19:20], off offset:16
	s_clause 0x2
	global_load_dwordx4 v[68:71], v[44:45], off offset:48
	global_load_dwordx4 v[72:75], v[44:45], off offset:80
	;; [unrolled: 1-line block ×3, first 2 shown]
	s_clause 0x1
	global_load_dwordx4 v[80:83], v[19:20], off offset:32
	global_load_dwordx4 v[84:87], v[19:20], off offset:48
	v_cvt_f64_f32_e32 v[19:20], v48
	v_cvt_f64_f32_e32 v[48:49], v49
	v_add_co_u32 v44, vcc_lo, 0x200, v44
	v_add_co_ci_u32_e64 v45, null, 0, v45, vcc_lo
	s_waitcnt vmcnt(6)
	v_fma_f64 v[40:41], v[19:20], v[60:61], v[40:41]
	v_fma_f64 v[36:37], v[48:49], v[60:61], v[36:37]
	;; [unrolled: 1-line block ×8, first 2 shown]
	v_cvt_f64_f32_e32 v[60:61], v50
	v_cvt_f64_f32_e32 v[50:51], v51
	v_fma_f64 v[40:41], -v[48:49], v[62:63], v[40:41]
	v_fma_f64 v[19:20], v[19:20], v[62:63], v[36:37]
	v_fma_f64 v[11:12], -v[11:12], v[62:63], v[38:39]
	v_fma_f64 v[34:35], v[88:89], v[62:63], v[34:35]
	;; [unrolled: 2-line block ×4, first 2 shown]
	v_cvt_f64_f32_e32 v[38:39], v15
	v_cvt_f64_f32_e32 v[15:16], v16
	s_waitcnt vmcnt(4)
	v_cvt_f64_f32_e32 v[48:49], v69
	s_waitcnt vmcnt(3)
	v_cvt_f64_f32_e32 v[52:53], v72
	v_cvt_f64_f32_e32 v[56:57], v73
	s_waitcnt vmcnt(2)
	v_cvt_f64_f32_e32 v[62:63], v76
	v_fma_f64 v[36:37], v[60:61], v[64:65], v[40:41]
	v_fma_f64 v[19:20], v[50:51], v[64:65], v[19:20]
	;; [unrolled: 1-line block ×8, first 2 shown]
	v_cvt_f64_f32_e32 v[40:41], v68
	v_cvt_f64_f32_e32 v[64:65], v77
	;; [unrolled: 1-line block ×3, first 2 shown]
	v_fma_f64 v[36:37], -v[50:51], v[66:67], v[36:37]
	v_fma_f64 v[19:20], v[60:61], v[66:67], v[19:20]
	v_fma_f64 v[11:12], -v[13:14], v[66:67], v[11:12]
	v_fma_f64 v[13:14], v[94:95], v[66:67], v[34:35]
	;; [unrolled: 2-line block ×4, first 2 shown]
	v_cvt_f64_f32_e32 v[50:51], v70
	v_cvt_f64_f32_e32 v[54:55], v71
	;; [unrolled: 1-line block ×5, first 2 shown]
	s_waitcnt vmcnt(1)
	v_fma_f64 v[34:35], v[38:39], v[80:81], v[36:37]
	v_fma_f64 v[19:20], v[15:16], v[80:81], v[19:20]
	;; [unrolled: 1-line block ×8, first 2 shown]
	v_cvt_f64_f32_e32 v[36:37], v17
	v_cvt_f64_f32_e32 v[17:18], v18
	v_fma_f64 v[15:16], -v[15:16], v[82:83], v[34:35]
	v_fma_f64 v[19:20], v[38:39], v[82:83], v[19:20]
	v_fma_f64 v[11:12], -v[48:49], v[82:83], v[11:12]
	v_fma_f64 v[13:14], v[40:41], v[82:83], v[13:14]
	;; [unrolled: 2-line block ×4, first 2 shown]
	s_waitcnt vmcnt(0)
	v_fma_f64 v[15:16], v[36:37], v[84:85], v[15:16]
	v_fma_f64 v[19:20], v[17:18], v[84:85], v[19:20]
	;; [unrolled: 1-line block ×8, first 2 shown]
	v_fma_f64 v[40:41], -v[17:18], v[86:87], v[15:16]
	v_fma_f64 v[36:37], v[36:37], v[86:87], v[19:20]
	v_fma_f64 v[38:39], -v[54:55], v[86:87], v[11:12]
	v_fma_f64 v[34:35], v[50:51], v[86:87], v[13:14]
	;; [unrolled: 2-line block ×4, first 2 shown]
	s_andn2_b32 exec_lo, exec_lo, s8
	s_cbranch_execnz .LBB165_15
; %bb.16:
	s_or_b32 exec_lo, exec_lo, s8
.LBB165_17:
	s_or_b32 exec_lo, exec_lo, s1
	s_mov_b32 s8, exec_lo
	v_cmpx_lt_u32_e32 11, v9
	s_cbranch_execz .LBB165_21
; %bb.18:
	s_mov_b32 s9, 0
.LBB165_19:                             ; =>This Inner Loop Header: Depth=1
	v_ashrrev_i32_e32 v43, 31, v42
	v_lshlrev_b64 v[9:10], 2, v[42:43]
	v_add_nc_u32_e32 v42, 16, v42
	v_add_co_u32 v9, vcc_lo, s12, v9
	v_add_co_ci_u32_e64 v10, null, s13, v10, vcc_lo
	s_clause 0x1
	global_load_dword v11, v[9:10], off
	global_load_dword v12, v[9:10], off offset:16
	s_clause 0x3
	global_load_dwordx4 v[48:51], v[44:45], off
	global_load_dwordx4 v[52:55], v[44:45], off offset:32
	global_load_dwordx4 v[56:59], v[44:45], off offset:64
	global_load_dwordx4 v[60:63], v[44:45], off offset:96
	s_clause 0x1
	global_load_dword v23, v[9:10], off offset:32
	global_load_dword v43, v[9:10], off offset:48
	s_waitcnt vmcnt(7)
	v_subrev_nc_u32_e32 v9, s2, v11
	s_waitcnt vmcnt(5)
	v_cvt_f64_f32_e32 v[174:175], v48
	v_cvt_f64_f32_e32 v[176:177], v49
	s_waitcnt vmcnt(4)
	v_cvt_f64_f32_e32 v[182:183], v52
	v_lshlrev_b32_e32 v9, 2, v9
	v_cvt_f64_f32_e32 v[52:53], v53
	s_waitcnt vmcnt(3)
	v_cvt_f64_f32_e32 v[186:187], v56
	v_cvt_f64_f32_e32 v[56:57], v57
	s_waitcnt vmcnt(2)
	v_cvt_f64_f32_e32 v[190:191], v60
	v_ashrrev_i32_e32 v10, 31, v9
	v_cvt_f64_f32_e32 v[60:61], v61
	v_cvt_f64_f32_e32 v[178:179], v50
	;; [unrolled: 1-line block ×3, first 2 shown]
	s_waitcnt vmcnt(1)
	v_subrev_nc_u32_e32 v23, s2, v23
	v_lshlrev_b64 v[9:10], 4, v[9:10]
	v_cvt_f64_f32_e32 v[184:185], v54
	v_cvt_f64_f32_e32 v[54:55], v55
	;; [unrolled: 1-line block ×3, first 2 shown]
	v_lshlrev_b32_e32 v194, 2, v23
	v_cvt_f64_f32_e32 v[58:59], v59
	v_add_co_u32 v9, vcc_lo, s6, v9
	v_add_co_ci_u32_e64 v10, null, s7, v10, vcc_lo
	v_ashrrev_i32_e32 v195, 31, v194
	v_cvt_f64_f32_e32 v[192:193], v62
	v_cvt_f64_f32_e32 v[62:63], v63
	s_clause 0x1
	global_load_dwordx4 v[64:67], v[9:10], off
	global_load_dwordx4 v[68:71], v[9:10], off offset:16
	s_clause 0x3
	global_load_dwordx4 v[72:75], v[44:45], off offset:16
	global_load_dwordx4 v[76:79], v[44:45], off offset:48
	;; [unrolled: 1-line block ×7, first 2 shown]
	s_clause 0x2
	global_load_dwordx4 v[100:103], v[44:45], off offset:544
	global_load_dwordx4 v[104:107], v[44:45], off offset:576
	;; [unrolled: 1-line block ×3, first 2 shown]
	v_subrev_nc_u32_e32 v9, s2, v12
	s_waitcnt vmcnt(12)
	v_subrev_nc_u32_e32 v23, s2, v43
	v_lshlrev_b32_e32 v9, 2, v9
	v_ashrrev_i32_e32 v10, 31, v9
	v_lshlrev_b64 v[9:10], 4, v[9:10]
	v_add_co_u32 v172, vcc_lo, s6, v9
	v_add_co_ci_u32_e64 v173, null, s7, v10, vcc_lo
	s_clause 0x1
	global_load_dwordx4 v[112:115], v[172:173], off
	global_load_dwordx4 v[116:119], v[172:173], off offset:16
	s_clause 0x3
	global_load_dwordx4 v[120:123], v[44:45], off offset:528
	global_load_dwordx4 v[124:127], v[44:45], off offset:560
	;; [unrolled: 1-line block ×5, first 2 shown]
	s_clause 0xa
	global_load_dwordx4 v[140:143], v[44:45], off offset:1056
	global_load_dwordx4 v[144:147], v[44:45], off offset:1072
	;; [unrolled: 1-line block ×12, first 2 shown]
	s_waitcnt vmcnt(30)
	v_fma_f64 v[40:41], v[174:175], v[64:65], v[40:41]
	v_fma_f64 v[36:37], v[176:177], v[64:65], v[36:37]
	;; [unrolled: 1-line block ×8, first 2 shown]
	v_lshlrev_b64 v[64:65], 4, v[194:195]
	v_add_co_u32 v64, vcc_lo, s6, v64
	v_add_co_ci_u32_e64 v65, null, s7, v65, vcc_lo
	v_fma_f64 v[40:41], -v[176:177], v[66:67], v[40:41]
	v_fma_f64 v[36:37], v[174:175], v[66:67], v[36:37]
	v_fma_f64 v[38:39], -v[52:53], v[66:67], v[38:39]
	v_fma_f64 v[34:35], v[182:183], v[66:67], v[34:35]
	;; [unrolled: 2-line block ×4, first 2 shown]
	global_load_dwordx4 v[26:29], v[64:65], off
	s_waitcnt vmcnt(28)
	v_cvt_f64_f32_e32 v[176:177], v76
	v_cvt_f64_f32_e32 v[76:77], v77
	s_waitcnt vmcnt(27)
	v_cvt_f64_f32_e32 v[182:183], v80
	v_cvt_f64_f32_e32 v[80:81], v81
	;; [unrolled: 3-line block ×3, first 2 shown]
	v_fma_f64 v[40:41], v[178:179], v[68:69], v[40:41]
	v_fma_f64 v[60:61], v[180:181], v[68:69], v[36:37]
	;; [unrolled: 1-line block ×8, first 2 shown]
	v_cvt_f64_f32_e32 v[68:69], v72
	v_cvt_f64_f32_e32 v[72:73], v73
	s_clause 0x1
	global_load_dwordx4 v[30:33], v[44:45], off offset:1632
	global_load_dwordx4 v[34:37], v[44:45], off offset:1600
	v_fma_f64 v[180:181], -v[180:181], v[70:71], v[40:41]
	v_fma_f64 v[60:61], v[178:179], v[70:71], v[60:61]
	v_fma_f64 v[54:55], -v[54:55], v[70:71], v[38:39]
	v_fma_f64 v[66:67], v[184:185], v[70:71], v[66:67]
	;; [unrolled: 2-line block ×4, first 2 shown]
	global_load_dwordx4 v[38:41], v[64:65], off offset:16
	v_cvt_f64_f32_e32 v[62:63], v74
	v_cvt_f64_f32_e32 v[70:71], v75
	;; [unrolled: 1-line block ×6, first 2 shown]
	s_waitcnt vmcnt(27)
	v_cvt_f64_f32_e32 v[184:185], v94
	v_cvt_f64_f32_e32 v[94:95], v95
	v_fma_f64 v[74:75], v[68:69], v[88:89], v[180:181]
	v_fma_f64 v[60:61], v[72:73], v[88:89], v[60:61]
	;; [unrolled: 1-line block ×8, first 2 shown]
	v_cvt_f64_f32_e32 v[88:89], v78
	v_cvt_f64_f32_e32 v[78:79], v79
	;; [unrolled: 1-line block ×4, first 2 shown]
	v_fma_f64 v[72:73], -v[72:73], v[90:91], v[74:75]
	v_fma_f64 v[60:61], v[68:69], v[90:91], v[60:61]
	v_fma_f64 v[68:69], -v[76:77], v[90:91], v[54:55]
	v_fma_f64 v[66:67], v[176:177], v[90:91], v[66:67]
	v_fma_f64 v[58:59], -v[80:81], v[90:91], v[58:59]
	v_fma_f64 v[74:75], v[182:183], v[90:91], v[172:173]
	v_fma_f64 v[76:77], -v[84:85], v[90:91], v[52:53]
	v_fma_f64 v[56:57], v[186:187], v[90:91], v[56:57]
	global_load_dwordx4 v[52:55], v[64:65], off offset:32
	s_waitcnt vmcnt(26)
	v_cvt_f64_f32_e32 v[80:81], v100
	v_cvt_f64_f32_e32 v[84:85], v101
	;; [unrolled: 1-line block ×3, first 2 shown]
	s_waitcnt vmcnt(25)
	v_cvt_f64_f32_e32 v[100:101], v104
	s_waitcnt vmcnt(24)
	v_cvt_f64_f32_e32 v[172:173], v108
	v_cvt_f64_f32_e32 v[108:109], v109
	;; [unrolled: 1-line block ×4, first 2 shown]
	v_fma_f64 v[72:73], v[62:63], v[96:97], v[72:73]
	v_fma_f64 v[60:61], v[70:71], v[96:97], v[60:61]
	;; [unrolled: 1-line block ×8, first 2 shown]
	v_cvt_f64_f32_e32 v[96:97], v103
	v_cvt_f64_f32_e32 v[102:103], v105
	;; [unrolled: 1-line block ×4, first 2 shown]
	v_fma_f64 v[70:71], -v[70:71], v[98:99], v[72:73]
	v_fma_f64 v[60:61], v[62:63], v[98:99], v[60:61]
	v_fma_f64 v[62:63], -v[78:79], v[98:99], v[68:69]
	v_fma_f64 v[66:67], v[88:89], v[98:99], v[66:67]
	;; [unrolled: 2-line block ×4, first 2 shown]
	global_load_dwordx4 v[56:59], v[64:65], off offset:48
	v_lshlrev_b32_e32 v78, 2, v23
	s_waitcnt vmcnt(21)
	v_cvt_f64_f32_e32 v[88:89], v125
	s_waitcnt vmcnt(20)
	v_cvt_f64_f32_e32 v[98:99], v129
	v_ashrrev_i32_e32 v79, 31, v78
	v_fma_f64 v[64:65], v[180:181], v[112:113], v[70:71]
	v_fma_f64 v[60:61], v[92:93], v[112:113], v[60:61]
	;; [unrolled: 1-line block ×8, first 2 shown]
	v_lshlrev_b64 v[76:77], 4, v[78:79]
	v_add_co_u32 v86, vcc_lo, s6, v76
	v_add_co_ci_u32_e64 v87, null, s7, v77, vcc_lo
	v_cmp_ge_i32_e32 vcc_lo, v42, v46
	v_fma_f64 v[64:65], -v[92:93], v[114:115], v[64:65]
	v_fma_f64 v[78:79], v[180:181], v[114:115], v[60:61]
	v_fma_f64 v[82:83], -v[84:85], v[114:115], v[62:63]
	v_fma_f64 v[66:67], v[80:81], v[114:115], v[66:67]
	v_fma_f64 v[68:69], -v[102:103], v[114:115], v[68:69]
	v_fma_f64 v[70:71], v[100:101], v[114:115], v[70:71]
	v_fma_f64 v[72:73], -v[108:109], v[114:115], v[72:73]
	v_fma_f64 v[74:75], v[172:173], v[114:115], v[74:75]
	global_load_dwordx4 v[60:63], v[86:87], off
	v_cvt_f64_f32_e32 v[80:81], v120
	v_cvt_f64_f32_e32 v[84:85], v124
	v_cvt_f64_f32_e32 v[92:93], v128
	s_waitcnt vmcnt(20)
	v_cvt_f64_f32_e32 v[100:101], v132
	v_cvt_f64_f32_e32 v[102:103], v133
	;; [unrolled: 1-line block ×5, first 2 shown]
	s_or_b32 s9, vcc_lo, s9
	v_fma_f64 v[64:65], v[184:185], v[116:117], v[64:65]
	v_fma_f64 v[76:77], v[94:95], v[116:117], v[78:79]
	;; [unrolled: 1-line block ×8, first 2 shown]
	v_cvt_f64_f32_e32 v[82:83], v121
	v_cvt_f64_f32_e32 v[116:117], v123
	;; [unrolled: 1-line block ×4, first 2 shown]
	s_waitcnt vmcnt(11)
	v_cvt_f64_f32_e32 v[130:131], v169
	v_fma_f64 v[94:95], -v[94:95], v[118:119], v[64:65]
	v_fma_f64 v[76:77], v[184:185], v[118:119], v[76:77]
	v_fma_f64 v[78:79], -v[96:97], v[118:119], v[78:79]
	v_fma_f64 v[90:91], v[90:91], v[118:119], v[66:67]
	v_fma_f64 v[96:97], -v[106:107], v[118:119], v[68:69]
	v_fma_f64 v[104:105], v[104:105], v[118:119], v[70:71]
	v_fma_f64 v[106:107], -v[110:111], v[118:119], v[72:73]
	v_fma_f64 v[108:109], v[176:177], v[118:119], v[74:75]
	global_load_dwordx4 v[64:67], v[86:87], off offset:16
	s_clause 0x1
	global_load_dwordx4 v[68:71], v[44:45], off offset:1552
	global_load_dwordx4 v[72:75], v[44:45], off offset:1616
	v_cvt_f64_f32_e32 v[118:119], v126
	v_cvt_f64_f32_e32 v[126:127], v134
	v_fma_f64 v[94:95], v[80:81], v[136:137], v[94:95]
	v_fma_f64 v[110:111], v[82:83], v[136:137], v[76:77]
	;; [unrolled: 1-line block ×8, first 2 shown]
	global_load_dwordx4 v[76:79], v[44:45], off offset:1648
	v_add_co_u32 v44, s1, 0x800, v44
	v_add_co_ci_u32_e64 v45, null, 0, v45, s1
	v_fma_f64 v[94:95], -v[82:83], v[138:139], v[94:95]
	v_fma_f64 v[110:111], v[80:81], v[138:139], v[110:111]
	v_fma_f64 v[88:89], -v[88:89], v[138:139], v[112:113]
	v_fma_f64 v[84:85], v[84:85], v[138:139], v[90:91]
	;; [unrolled: 2-line block ×4, first 2 shown]
	global_load_dwordx4 v[80:83], v[86:87], off offset:32
	v_cvt_f64_f32_e32 v[102:103], v149
	v_cvt_f64_f32_e32 v[104:105], v140
	;; [unrolled: 1-line block ×5, first 2 shown]
	s_waitcnt vmcnt(12)
	v_fma_f64 v[94:95], v[114:115], v[48:49], v[94:95]
	v_fma_f64 v[100:101], v[116:117], v[48:49], v[110:111]
	;; [unrolled: 1-line block ×8, first 2 shown]
	v_cvt_f64_f32_e32 v[98:99], v148
	v_cvt_f64_f32_e32 v[110:111], v157
	v_fma_f64 v[94:95], -v[116:117], v[50:51], v[94:95]
	v_fma_f64 v[100:101], v[114:115], v[50:51], v[100:101]
	v_fma_f64 v[88:89], -v[120:121], v[50:51], v[88:89]
	v_fma_f64 v[84:85], v[118:119], v[50:51], v[84:85]
	;; [unrolled: 2-line block ×4, first 2 shown]
	global_load_dwordx4 v[48:51], v[86:87], off offset:48
	v_cvt_f64_f32_e32 v[116:117], v142
	v_cvt_f64_f32_e32 v[118:119], v143
	;; [unrolled: 1-line block ×6, first 2 shown]
	s_waitcnt vmcnt(12)
	v_fma_f64 v[86:87], v[98:99], v[26:27], v[94:95]
	v_fma_f64 v[94:95], v[102:103], v[26:27], v[100:101]
	;; [unrolled: 1-line block ×8, first 2 shown]
	v_cvt_f64_f32_e32 v[100:101], v150
	v_cvt_f64_f32_e32 v[114:115], v151
	v_fma_f64 v[86:87], -v[102:103], v[28:29], v[86:87]
	v_fma_f64 v[94:95], v[98:99], v[28:29], v[94:95]
	v_fma_f64 v[88:89], -v[106:107], v[28:29], v[88:89]
	v_fma_f64 v[84:85], v[104:105], v[28:29], v[84:85]
	v_fma_f64 v[90:91], -v[110:111], v[28:29], v[90:91]
	v_fma_f64 v[92:93], v[108:109], v[28:29], v[92:93]
	v_fma_f64 v[96:97], -v[130:131], v[28:29], v[96:97]
	v_fma_f64 v[26:27], v[112:113], v[28:29], v[26:27]
	v_cvt_f64_f32_e32 v[98:99], v144
	v_cvt_f64_f32_e32 v[102:103], v145
	;; [unrolled: 1-line block ×7, first 2 shown]
	s_waitcnt vmcnt(9)
	v_fma_f64 v[28:29], v[100:101], v[38:39], v[86:87]
	v_fma_f64 v[86:87], v[114:115], v[38:39], v[94:95]
	;; [unrolled: 1-line block ×8, first 2 shown]
	v_cvt_f64_f32_e32 v[38:39], v152
	v_cvt_f64_f32_e32 v[96:97], v153
	v_fma_f64 v[28:29], -v[114:115], v[40:41], v[28:29]
	v_fma_f64 v[86:87], v[100:101], v[40:41], v[86:87]
	v_fma_f64 v[88:89], -v[118:119], v[40:41], v[88:89]
	v_fma_f64 v[84:85], v[116:117], v[40:41], v[84:85]
	;; [unrolled: 2-line block ×4, first 2 shown]
	v_cvt_f64_f32_e32 v[100:101], v146
	v_cvt_f64_f32_e32 v[114:115], v162
	;; [unrolled: 1-line block ×5, first 2 shown]
	s_waitcnt vmcnt(8)
	v_fma_f64 v[28:29], v[38:39], v[52:53], v[28:29]
	v_fma_f64 v[40:41], v[96:97], v[52:53], v[86:87]
	v_fma_f64 v[86:87], v[98:99], v[52:53], v[88:89]
	v_fma_f64 v[84:85], v[102:103], v[52:53], v[84:85]
	v_fma_f64 v[88:89], v[104:105], v[52:53], v[90:91]
	v_fma_f64 v[90:91], v[106:107], v[52:53], v[92:93]
	v_fma_f64 v[92:93], v[108:109], v[52:53], v[94:95]
	v_fma_f64 v[26:27], v[110:111], v[52:53], v[26:27]
	v_cvt_f64_f32_e32 v[52:53], v154
	v_cvt_f64_f32_e32 v[94:95], v155
	v_fma_f64 v[28:29], -v[96:97], v[54:55], v[28:29]
	v_fma_f64 v[38:39], v[38:39], v[54:55], v[40:41]
	v_fma_f64 v[40:41], -v[102:103], v[54:55], v[86:87]
	v_fma_f64 v[84:85], v[98:99], v[54:55], v[84:85]
	;; [unrolled: 2-line block ×4, first 2 shown]
	v_cvt_f64_f32_e32 v[92:93], v34
	v_cvt_f64_f32_e32 v[34:35], v35
	;; [unrolled: 1-line block ×4, first 2 shown]
	s_waitcnt vmcnt(7)
	v_fma_f64 v[28:29], v[52:53], v[56:57], v[28:29]
	v_fma_f64 v[38:39], v[94:95], v[56:57], v[38:39]
	;; [unrolled: 1-line block ×8, first 2 shown]
	v_cvt_f64_f32_e32 v[56:57], v17
	v_cvt_f64_f32_e32 v[17:18], v18
	;; [unrolled: 1-line block ×4, first 2 shown]
	v_fma_f64 v[28:29], -v[94:95], v[58:59], v[28:29]
	v_fma_f64 v[38:39], v[52:53], v[58:59], v[38:39]
	v_fma_f64 v[40:41], -v[112:113], v[58:59], v[40:41]
	v_fma_f64 v[52:53], v[100:101], v[58:59], v[54:55]
	;; [unrolled: 2-line block ×4, first 2 shown]
	v_cvt_f64_f32_e32 v[88:89], v36
	v_cvt_f64_f32_e32 v[36:37], v37
	;; [unrolled: 1-line block ×4, first 2 shown]
	s_waitcnt vmcnt(6)
	v_fma_f64 v[28:29], v[56:57], v[60:61], v[28:29]
	v_fma_f64 v[38:39], v[17:18], v[60:61], v[38:39]
	;; [unrolled: 1-line block ×8, first 2 shown]
	v_cvt_f64_f32_e32 v[60:61], v19
	v_cvt_f64_f32_e32 v[19:20], v20
	;; [unrolled: 1-line block ×4, first 2 shown]
	v_fma_f64 v[17:18], -v[17:18], v[62:63], v[28:29]
	v_fma_f64 v[28:29], v[56:57], v[62:63], v[38:39]
	v_fma_f64 v[13:14], -v[13:14], v[62:63], v[40:41]
	v_fma_f64 v[38:39], v[90:91], v[62:63], v[52:53]
	;; [unrolled: 2-line block ×4, first 2 shown]
	v_cvt_f64_f32_e32 v[56:57], v9
	v_cvt_f64_f32_e32 v[9:10], v10
	s_waitcnt vmcnt(4)
	v_cvt_f64_f32_e32 v[52:53], v68
	v_cvt_f64_f32_e32 v[54:55], v69
	s_waitcnt vmcnt(3)
	v_cvt_f64_f32_e32 v[58:59], v72
	v_fma_f64 v[17:18], v[60:61], v[64:65], v[17:18]
	v_fma_f64 v[28:29], v[19:20], v[64:65], v[28:29]
	v_fma_f64 v[13:14], v[86:87], v[64:65], v[13:14]
	v_fma_f64 v[38:39], v[15:16], v[64:65], v[38:39]
	v_fma_f64 v[34:35], v[88:89], v[64:65], v[34:35]
	v_fma_f64 v[40:41], v[36:37], v[64:65], v[40:41]
	v_fma_f64 v[30:31], v[94:95], v[64:65], v[30:31]
	v_fma_f64 v[26:27], v[32:33], v[64:65], v[26:27]
	v_cvt_f64_f32_e32 v[62:63], v73
	s_waitcnt vmcnt(2)
	v_cvt_f64_f32_e32 v[64:65], v76
	v_cvt_f64_f32_e32 v[68:69], v77
	v_fma_f64 v[17:18], -v[19:20], v[66:67], v[17:18]
	v_fma_f64 v[19:20], v[60:61], v[66:67], v[28:29]
	v_fma_f64 v[13:14], -v[15:16], v[66:67], v[13:14]
	v_fma_f64 v[15:16], v[86:87], v[66:67], v[38:39]
	;; [unrolled: 2-line block ×4, first 2 shown]
	v_cvt_f64_f32_e32 v[36:37], v71
	v_cvt_f64_f32_e32 v[60:61], v11
	;; [unrolled: 1-line block ×5, first 2 shown]
	s_waitcnt vmcnt(1)
	v_fma_f64 v[17:18], v[52:53], v[80:81], v[17:18]
	v_fma_f64 v[19:20], v[54:55], v[80:81], v[19:20]
	;; [unrolled: 1-line block ×8, first 2 shown]
	v_cvt_f64_f32_e32 v[34:35], v70
	v_cvt_f64_f32_e32 v[70:71], v75
	;; [unrolled: 1-line block ×3, first 2 shown]
	v_fma_f64 v[17:18], -v[54:55], v[82:83], v[17:18]
	v_fma_f64 v[19:20], v[52:53], v[82:83], v[19:20]
	v_fma_f64 v[9:10], -v[9:10], v[82:83], v[13:14]
	v_fma_f64 v[13:14], v[56:57], v[82:83], v[15:16]
	;; [unrolled: 2-line block ×4, first 2 shown]
	s_waitcnt vmcnt(0)
	v_fma_f64 v[17:18], v[34:35], v[48:49], v[17:18]
	v_fma_f64 v[19:20], v[36:37], v[48:49], v[19:20]
	;; [unrolled: 1-line block ×8, first 2 shown]
	v_fma_f64 v[40:41], -v[36:37], v[50:51], v[17:18]
	v_fma_f64 v[36:37], v[34:35], v[50:51], v[19:20]
	v_fma_f64 v[38:39], -v[11:12], v[50:51], v[9:10]
	v_fma_f64 v[34:35], v[60:61], v[50:51], v[13:14]
	;; [unrolled: 2-line block ×4, first 2 shown]
	s_andn2_b32 exec_lo, exec_lo, s9
	s_cbranch_execnz .LBB165_19
; %bb.20:
	s_or_b32 exec_lo, exec_lo, s9
.LBB165_21:
	s_or_b32 exec_lo, exec_lo, s8
.LBB165_22:
	s_or_b32 exec_lo, exec_lo, s3
	s_cbranch_execz .LBB165_24
	s_branch .LBB165_35
.LBB165_23:
                                        ; implicit-def: $vgpr36_vgpr37
                                        ; implicit-def: $vgpr40_vgpr41
                                        ; implicit-def: $vgpr34_vgpr35
                                        ; implicit-def: $vgpr38_vgpr39
                                        ; implicit-def: $vgpr30_vgpr31
                                        ; implicit-def: $vgpr32_vgpr33
                                        ; implicit-def: $vgpr28_vgpr29
                                        ; implicit-def: $vgpr26_vgpr27
.LBB165_24:
	v_mov_b32_e32 v36, 0
	v_mov_b32_e32 v40, 0
	;; [unrolled: 1-line block ×16, first 2 shown]
	s_and_saveexec_b32 s1, s0
	s_cbranch_execz .LBB165_34
; %bb.25:
	v_add_nc_u32_e32 v9, v47, v0
	v_not_b32_e32 v10, v47
	v_mov_b32_e32 v26, 0
	v_mov_b32_e32 v28, 0
	;; [unrolled: 1-line block ×3, first 2 shown]
	v_subrev_nc_u32_e32 v9, s2, v9
	v_mov_b32_e32 v30, 0
	v_mov_b32_e32 v38, 0
	;; [unrolled: 1-line block ×4, first 2 shown]
	v_add_nc_u32_e32 v9, 4, v9
	v_mov_b32_e32 v36, 0
	v_mov_b32_e32 v27, 0
	;; [unrolled: 1-line block ×4, first 2 shown]
	v_max_i32_e32 v9, v9, v46
	v_mov_b32_e32 v31, 0
	v_mov_b32_e32 v39, 0
	;; [unrolled: 1-line block ×4, first 2 shown]
	v_add3_u32 v9, s2, v9, v10
	v_mov_b32_e32 v37, 0
	s_mov_b32 s0, exec_lo
	v_sub_nc_u32_e32 v9, v9, v0
	v_and_b32_e32 v10, 12, v9
	v_cmpx_ne_u32_e32 12, v10
	s_cbranch_execz .LBB165_29
; %bb.26:
	v_lshrrev_b32_e32 v10, 2, v9
	v_mov_b32_e32 v36, 0
	v_mov_b32_e32 v40, 0
	;; [unrolled: 1-line block ×4, first 2 shown]
	v_add_nc_u32_e32 v10, 1, v10
	v_mov_b32_e32 v30, 0
	v_mov_b32_e32 v32, 0
	;; [unrolled: 1-line block ×4, first 2 shown]
	v_and_b32_e32 v10, 3, v10
	v_mov_b32_e32 v37, 0
	v_mov_b32_e32 v41, 0
	;; [unrolled: 1-line block ×8, first 2 shown]
	v_sub_nc_u32_e32 v10, 0, v10
	s_mov_b32 s3, 0
.LBB165_27:                             ; =>This Inner Loop Header: Depth=1
	v_ashrrev_i32_e32 v23, 31, v22
	v_add_co_u32 v10, s8, v10, 1
	s_or_b32 s3, s8, s3
	v_lshlrev_b64 v[11:12], 2, v[22:23]
	v_add_nc_u32_e32 v22, 4, v22
	v_add_co_u32 v11, vcc_lo, s12, v11
	v_add_co_ci_u32_e64 v12, null, s13, v12, vcc_lo
	global_load_dword v19, v[11:12], off
	s_clause 0x1
	global_load_dwordx4 v[11:14], v[24:25], off offset:16
	global_load_dwordx4 v[15:18], v[24:25], off
	s_waitcnt vmcnt(2)
	v_subrev_nc_u32_e32 v19, s2, v19
	s_waitcnt vmcnt(1)
	v_cvt_f64_f32_e32 v[85:86], v11
	s_waitcnt vmcnt(0)
	v_cvt_f64_f32_e32 v[83:84], v17
	v_cvt_f64_f32_e32 v[17:18], v18
	;; [unrolled: 1-line block ×3, first 2 shown]
	v_lshlrev_b32_e32 v19, 2, v19
	v_cvt_f64_f32_e32 v[87:88], v13
	v_cvt_f64_f32_e32 v[13:14], v14
	v_ashrrev_i32_e32 v20, 31, v19
	v_lshlrev_b64 v[19:20], 4, v[19:20]
	v_add_co_u32 v19, vcc_lo, s6, v19
	v_add_co_ci_u32_e64 v20, null, s7, v20, vcc_lo
	s_clause 0x1
	global_load_dwordx4 v[42:45], v[19:20], off
	global_load_dwordx4 v[47:50], v[19:20], off offset:16
	s_clause 0x3
	global_load_dwordx4 v[51:54], v[24:25], off offset:32
	global_load_dwordx4 v[55:58], v[24:25], off offset:48
	;; [unrolled: 1-line block ×4, first 2 shown]
	s_clause 0x1
	global_load_dwordx4 v[67:70], v[19:20], off offset:32
	global_load_dwordx4 v[71:74], v[19:20], off offset:48
	s_clause 0x1
	global_load_dwordx4 v[75:78], v[24:25], off offset:96
	global_load_dwordx4 v[79:82], v[24:25], off offset:112
	v_cvt_f64_f32_e32 v[19:20], v15
	v_cvt_f64_f32_e32 v[15:16], v16
	v_add_co_u32 v24, vcc_lo, 0x200, v24
	v_add_co_ci_u32_e64 v25, null, 0, v25, vcc_lo
	s_waitcnt vmcnt(9)
	v_fma_f64 v[40:41], v[19:20], v[42:43], v[40:41]
	v_fma_f64 v[36:37], v[15:16], v[42:43], v[36:37]
	;; [unrolled: 1-line block ×8, first 2 shown]
	s_waitcnt vmcnt(7)
	v_cvt_f64_f32_e32 v[42:43], v51
	v_cvt_f64_f32_e32 v[51:52], v52
	;; [unrolled: 1-line block ×4, first 2 shown]
	s_waitcnt vmcnt(6)
	v_cvt_f64_f32_e32 v[91:92], v55
	v_cvt_f64_f32_e32 v[55:56], v56
	;; [unrolled: 1-line block ×4, first 2 shown]
	v_fma_f64 v[15:16], -v[15:16], v[44:45], v[40:41]
	v_fma_f64 v[19:20], v[19:20], v[44:45], v[36:37]
	v_fma_f64 v[17:18], -v[17:18], v[44:45], v[38:39]
	v_fma_f64 v[34:35], v[83:84], v[44:45], v[34:35]
	;; [unrolled: 2-line block ×4, first 2 shown]
	s_waitcnt vmcnt(5)
	v_cvt_f64_f32_e32 v[32:33], v59
	v_cvt_f64_f32_e32 v[36:37], v61
	;; [unrolled: 1-line block ×3, first 2 shown]
	s_waitcnt vmcnt(4)
	v_cvt_f64_f32_e32 v[40:41], v63
	v_cvt_f64_f32_e32 v[44:45], v64
	s_waitcnt vmcnt(0)
	v_cvt_f64_f32_e32 v[61:62], v81
	v_cvt_f64_f32_e32 v[63:64], v82
	v_fma_f64 v[15:16], v[42:43], v[47:48], v[15:16]
	v_fma_f64 v[19:20], v[51:52], v[47:48], v[19:20]
	;; [unrolled: 1-line block ×8, first 2 shown]
	v_cvt_f64_f32_e32 v[34:35], v60
	v_cvt_f64_f32_e32 v[47:48], v65
	;; [unrolled: 1-line block ×3, first 2 shown]
	v_fma_f64 v[15:16], -v[51:52], v[49:50], v[15:16]
	v_fma_f64 v[19:20], v[42:43], v[49:50], v[19:20]
	v_fma_f64 v[17:18], -v[53:54], v[49:50], v[17:18]
	v_fma_f64 v[28:29], v[89:90], v[49:50], v[28:29]
	;; [unrolled: 2-line block ×4, first 2 shown]
	v_cvt_f64_f32_e32 v[42:43], v75
	v_cvt_f64_f32_e32 v[49:50], v76
	;; [unrolled: 1-line block ×6, first 2 shown]
	v_fma_f64 v[15:16], v[32:33], v[67:68], v[15:16]
	v_fma_f64 v[19:20], v[34:35], v[67:68], v[19:20]
	v_fma_f64 v[17:18], v[36:37], v[67:68], v[17:18]
	v_fma_f64 v[28:29], v[38:39], v[67:68], v[28:29]
	v_fma_f64 v[11:12], v[40:41], v[67:68], v[11:12]
	v_fma_f64 v[30:31], v[44:45], v[67:68], v[30:31]
	v_fma_f64 v[13:14], v[47:48], v[67:68], v[13:14]
	v_fma_f64 v[26:27], v[59:60], v[67:68], v[26:27]
	v_fma_f64 v[15:16], -v[34:35], v[69:70], v[15:16]
	v_fma_f64 v[19:20], v[32:33], v[69:70], v[19:20]
	v_fma_f64 v[17:18], -v[38:39], v[69:70], v[17:18]
	v_fma_f64 v[28:29], v[36:37], v[69:70], v[28:29]
	;; [unrolled: 2-line block ×4, first 2 shown]
	v_fma_f64 v[15:16], v[42:43], v[71:72], v[15:16]
	v_fma_f64 v[19:20], v[49:50], v[71:72], v[19:20]
	;; [unrolled: 1-line block ×8, first 2 shown]
	v_fma_f64 v[40:41], -v[49:50], v[73:74], v[15:16]
	v_fma_f64 v[36:37], v[42:43], v[73:74], v[19:20]
	v_fma_f64 v[38:39], -v[53:54], v[73:74], v[17:18]
	v_fma_f64 v[34:35], v[51:52], v[73:74], v[28:29]
	;; [unrolled: 2-line block ×4, first 2 shown]
	s_andn2_b32 exec_lo, exec_lo, s3
	s_cbranch_execnz .LBB165_27
; %bb.28:
	s_or_b32 exec_lo, exec_lo, s3
.LBB165_29:
	s_or_b32 exec_lo, exec_lo, s0
	s_mov_b32 s3, exec_lo
	v_cmpx_lt_u32_e32 11, v9
	s_cbranch_execz .LBB165_33
; %bb.30:
	s_mov_b32 s8, 0
.LBB165_31:                             ; =>This Inner Loop Header: Depth=1
	v_ashrrev_i32_e32 v23, 31, v22
	v_lshlrev_b64 v[9:10], 2, v[22:23]
	v_add_nc_u32_e32 v22, 16, v22
	v_add_co_u32 v47, vcc_lo, s12, v9
	v_add_co_ci_u32_e64 v48, null, s13, v10, vcc_lo
	s_clause 0x1
	global_load_dword v23, v[47:48], off
	global_load_dword v89, v[47:48], off offset:16
	s_clause 0x3
	global_load_dwordx4 v[9:12], v[24:25], off
	global_load_dwordx4 v[13:16], v[24:25], off offset:16
	global_load_dwordx4 v[17:20], v[24:25], off offset:32
	;; [unrolled: 1-line block ×3, first 2 shown]
	s_clause 0x1
	global_load_dword v169, v[47:48], off offset:32
	global_load_dword v170, v[47:48], off offset:48
	s_waitcnt vmcnt(7)
	v_subrev_nc_u32_e32 v23, s2, v23
	s_waitcnt vmcnt(5)
	v_cvt_f64_f32_e32 v[143:144], v10
	v_cvt_f64_f32_e32 v[141:142], v9
	;; [unrolled: 1-line block ×3, first 2 shown]
	v_lshlrev_b32_e32 v47, 2, v23
	v_subrev_nc_u32_e32 v23, s2, v89
	v_cvt_f64_f32_e32 v[147:148], v12
	s_waitcnt vmcnt(3)
	v_cvt_f64_f32_e32 v[157:158], v17
	v_cvt_f64_f32_e32 v[159:160], v18
	v_ashrrev_i32_e32 v48, 31, v47
	v_lshlrev_b32_e32 v89, 2, v23
	v_cvt_f64_f32_e32 v[149:150], v13
	v_cvt_f64_f32_e32 v[151:152], v14
	;; [unrolled: 1-line block ×3, first 2 shown]
	v_lshlrev_b64 v[47:48], 4, v[47:48]
	v_ashrrev_i32_e32 v90, 31, v89
	v_cvt_f64_f32_e32 v[155:156], v16
	v_cvt_f64_f32_e32 v[161:162], v19
	;; [unrolled: 1-line block ×3, first 2 shown]
	s_waitcnt vmcnt(1)
	v_subrev_nc_u32_e32 v23, s2, v169
	v_add_co_u32 v87, vcc_lo, s6, v47
	v_add_co_ci_u32_e64 v88, null, s7, v48, vcc_lo
	v_lshlrev_b64 v[90:91], 4, v[89:90]
	v_cvt_f64_f32_e32 v[165:166], v42
	v_cvt_f64_f32_e32 v[42:43], v43
	s_clause 0x1
	global_load_dwordx4 v[47:50], v[87:88], off
	global_load_dwordx4 v[51:54], v[87:88], off offset:16
	s_clause 0x2
	global_load_dwordx4 v[55:58], v[24:25], off offset:64
	global_load_dwordx4 v[59:62], v[24:25], off offset:80
	;; [unrolled: 1-line block ×4, first 2 shown]
	s_clause 0x3
	global_load_dwordx4 v[71:74], v[24:25], off offset:112
	global_load_dwordx4 v[75:78], v[24:25], off offset:512
	;; [unrolled: 1-line block ×4, first 2 shown]
	v_cvt_f64_f32_e32 v[167:168], v44
	v_cvt_f64_f32_e32 v[44:45], v45
	v_add_co_u32 v139, vcc_lo, s6, v90
	global_load_dwordx4 v[87:90], v[87:88], off offset:48
	v_add_co_ci_u32_e64 v140, null, s7, v91, vcc_lo
	global_load_dwordx4 v[91:94], v[139:140], off
	s_clause 0x2
	global_load_dwordx4 v[95:98], v[24:25], off offset:560
	global_load_dwordx4 v[99:102], v[24:25], off offset:576
	global_load_dwordx4 v[103:106], v[24:25], off offset:592
	global_load_dwordx4 v[107:110], v[139:140], off offset:16
	s_clause 0x6
	global_load_dwordx4 v[111:114], v[24:25], off offset:608
	global_load_dwordx4 v[115:118], v[24:25], off offset:624
	;; [unrolled: 1-line block ×8, first 2 shown]
	s_waitcnt vmcnt(23)
	v_fma_f64 v[17:18], v[143:144], v[47:48], v[36:37]
	v_fma_f64 v[13:14], v[141:142], v[47:48], v[40:41]
	;; [unrolled: 1-line block ×9, first 2 shown]
	v_lshlrev_b32_e32 v47, 2, v23
	v_fma_f64 v[36:37], -v[143:144], v[49:50], v[13:14]
	v_fma_f64 v[34:35], v[145:146], v[49:50], v[34:35]
	v_fma_f64 v[32:33], -v[151:152], v[49:50], v[32:33]
	v_fma_f64 v[30:31], v[149:150], v[49:50], v[30:31]
	v_ashrrev_i32_e32 v48, 31, v47
	v_fma_f64 v[143:144], -v[155:156], v[49:50], v[26:27]
	s_waitcnt vmcnt(21)
	v_cvt_f64_f32_e32 v[141:142], v55
	v_cvt_f64_f32_e32 v[55:56], v56
	s_waitcnt vmcnt(20)
	v_cvt_f64_f32_e32 v[149:150], v61
	v_lshlrev_b64 v[47:48], 4, v[47:48]
	v_cvt_f64_f32_e32 v[61:62], v62
	global_load_dwordx4 v[13:16], v[24:25], off offset:1104
	s_waitcnt vmcnt(20)
	v_cvt_f64_f32_e32 v[155:156], v65
	v_cvt_f64_f32_e32 v[65:66], v66
	v_subrev_nc_u32_e32 v23, s2, v170
	v_fma_f64 v[40:41], v[159:160], v[51:52], v[40:41]
	v_fma_f64 v[38:39], -v[147:148], v[49:50], v[17:18]
	global_load_dwordx4 v[17:20], v[139:140], off offset:48
	v_fma_f64 v[49:50], v[153:154], v[49:50], v[28:29]
	v_add_co_u32 v139, vcc_lo, s6, v47
	v_add_co_ci_u32_e64 v140, null, s7, v48, vcc_lo
	v_fma_f64 v[36:37], v[157:158], v[51:52], v[36:37]
	v_fma_f64 v[34:35], v[163:164], v[51:52], v[34:35]
	;; [unrolled: 1-line block ×3, first 2 shown]
	global_load_dwordx4 v[26:29], v[139:140], off
	v_fma_f64 v[145:146], v[42:43], v[51:52], v[30:31]
	v_fma_f64 v[143:144], v[167:168], v[51:52], v[143:144]
	v_cvt_f64_f32_e32 v[147:148], v59
	v_cvt_f64_f32_e32 v[59:60], v60
	v_cvt_f64_f32_e32 v[153:154], v63
	v_cvt_f64_f32_e32 v[63:64], v64
	global_load_dwordx4 v[30:33], v[24:25], off offset:1120
	v_fma_f64 v[40:41], v[157:158], v[53:54], v[40:41]
	v_fma_f64 v[38:39], v[161:162], v[51:52], v[38:39]
	v_fma_f64 v[49:50], v[44:45], v[51:52], v[49:50]
	v_cvt_f64_f32_e32 v[51:52], v57
	v_cvt_f64_f32_e32 v[57:58], v58
	v_fma_f64 v[151:152], -v[159:160], v[53:54], v[36:37]
	v_fma_f64 v[157:158], v[161:162], v[53:54], v[34:35]
	v_fma_f64 v[42:43], -v[42:43], v[53:54], v[47:48]
	global_load_dwordx4 v[34:37], v[139:140], off offset:16
	v_fma_f64 v[47:48], v[165:166], v[53:54], v[145:146]
	v_fma_f64 v[44:45], -v[44:45], v[53:54], v[143:144]
	s_waitcnt vmcnt(22)
	v_cvt_f64_f32_e32 v[143:144], v71
	s_waitcnt vmcnt(21)
	v_cvt_f64_f32_e32 v[159:160], v75
	v_cvt_f64_f32_e32 v[75:76], v76
	;; [unrolled: 1-line block ×4, first 2 shown]
	v_fma_f64 v[145:146], v[55:56], v[67:68], v[40:41]
	v_fma_f64 v[38:39], -v[163:164], v[53:54], v[38:39]
	s_waitcnt vmcnt(20)
	v_cvt_f64_f32_e32 v[163:164], v79
	v_fma_f64 v[49:50], v[167:168], v[53:54], v[49:50]
	v_cvt_f64_f32_e32 v[79:80], v80
	v_fma_f64 v[53:54], v[141:142], v[67:68], v[151:152]
	v_fma_f64 v[157:158], v[57:58], v[67:68], v[157:158]
	v_fma_f64 v[42:43], v[147:148], v[67:68], v[42:43]
	v_fma_f64 v[47:48], v[59:60], v[67:68], v[47:48]
	v_fma_f64 v[44:45], v[149:150], v[67:68], v[44:45]
	v_fma_f64 v[151:152], v[51:52], v[67:68], v[38:39]
	global_load_dwordx4 v[38:41], v[24:25], off offset:1136
	v_fma_f64 v[49:50], v[61:62], v[67:68], v[49:50]
	v_cvt_f64_f32_e32 v[67:68], v72
	v_cvt_f64_f32_e32 v[71:72], v73
	v_cvt_f64_f32_e32 v[73:74], v74
	v_fma_f64 v[53:54], -v[55:56], v[69:70], v[53:54]
	v_fma_f64 v[55:56], v[141:142], v[69:70], v[145:146]
	v_fma_f64 v[51:52], v[51:52], v[69:70], v[157:158]
	v_fma_f64 v[59:60], -v[59:60], v[69:70], v[42:43]
	v_fma_f64 v[47:48], v[147:148], v[69:70], v[47:48]
	v_fma_f64 v[61:62], -v[61:62], v[69:70], v[44:45]
	global_load_dwordx4 v[42:45], v[139:140], off offset:32
	s_waitcnt vmcnt(21)
	v_cvt_f64_f32_e32 v[147:148], v83
	v_cvt_f64_f32_e32 v[83:84], v84
	s_waitcnt vmcnt(18)
	v_cvt_f64_f32_e32 v[157:158], v97
	v_cvt_f64_f32_e32 v[97:98], v98
	v_fma_f64 v[57:58], -v[57:58], v[69:70], v[151:152]
	v_cvt_f64_f32_e32 v[151:152], v95
	v_fma_f64 v[49:50], v[149:150], v[69:70], v[49:50]
	v_cvt_f64_f32_e32 v[69:70], v81
	v_cvt_f64_f32_e32 v[81:82], v82
	;; [unrolled: 1-line block ×4, first 2 shown]
	v_fma_f64 v[53:54], v[153:154], v[87:88], v[53:54]
	v_fma_f64 v[55:56], v[63:64], v[87:88], v[55:56]
	;; [unrolled: 1-line block ×6, first 2 shown]
	v_cvt_f64_f32_e32 v[95:96], v96
	v_fma_f64 v[57:58], v[155:156], v[87:88], v[57:58]
	v_fma_f64 v[87:88], v[73:74], v[87:88], v[49:50]
	global_load_dwordx4 v[47:50], v[24:25], off offset:1536
	v_fma_f64 v[63:64], -v[63:64], v[89:90], v[53:54]
	v_fma_f64 v[153:154], v[153:154], v[89:90], v[55:56]
	v_fma_f64 v[141:142], v[155:156], v[89:90], v[141:142]
	v_fma_f64 v[59:60], -v[67:68], v[89:90], v[59:60]
	v_fma_f64 v[67:68], v[143:144], v[89:90], v[145:146]
	v_fma_f64 v[61:62], -v[73:74], v[89:90], v[61:62]
	global_load_dwordx4 v[51:54], v[24:25], off offset:1552
	v_lshlrev_b32_e32 v73, 2, v23
	v_ashrrev_i32_e32 v74, 31, v73
	v_fma_f64 v[65:66], -v[65:66], v[89:90], v[57:58]
	global_load_dwordx4 v[55:58], v[139:140], off offset:48
	v_fma_f64 v[71:72], v[71:72], v[89:90], v[87:88]
	v_lshlrev_b64 v[73:74], 4, v[73:74]
	s_waitcnt vmcnt(19)
	v_cvt_f64_f32_e32 v[139:140], v103
	v_cvt_f64_f32_e32 v[103:104], v104
	v_fma_f64 v[63:64], v[159:160], v[91:92], v[63:64]
	v_fma_f64 v[87:88], v[75:76], v[91:92], v[153:154]
	;; [unrolled: 1-line block ×6, first 2 shown]
	v_cvt_f64_f32_e32 v[141:142], v105
	v_cvt_f64_f32_e32 v[105:106], v106
	v_fma_f64 v[65:66], v[161:162], v[91:92], v[65:66]
	v_fma_f64 v[71:72], v[81:82], v[91:92], v[71:72]
	v_add_co_u32 v91, vcc_lo, s6, v73
	v_add_co_ci_u32_e64 v92, null, s7, v74, vcc_lo
	v_fma_f64 v[75:76], -v[75:76], v[93:94], v[63:64]
	v_fma_f64 v[87:88], v[159:160], v[93:94], v[87:88]
	v_fma_f64 v[89:90], v[161:162], v[93:94], v[89:90]
	v_fma_f64 v[79:80], -v[79:80], v[93:94], v[59:60]
	v_fma_f64 v[67:68], v[163:164], v[93:94], v[67:68]
	v_fma_f64 v[81:82], -v[81:82], v[93:94], v[61:62]
	v_cmp_ge_i32_e32 vcc_lo, v22, v46
	s_or_b32 s8, vcc_lo, s8
	v_fma_f64 v[77:78], -v[77:78], v[93:94], v[65:66]
	global_load_dwordx4 v[59:62], v[91:92], off
	global_load_dwordx4 v[63:66], v[24:25], off offset:1568
	v_fma_f64 v[69:70], v[69:70], v[93:94], v[71:72]
	v_cvt_f64_f32_e32 v[93:94], v99
	v_cvt_f64_f32_e32 v[99:100], v100
	s_waitcnt vmcnt(20)
	v_fma_f64 v[71:72], v[147:148], v[107:108], v[75:76]
	v_fma_f64 v[73:74], v[83:84], v[107:108], v[87:88]
	;; [unrolled: 1-line block ×8, first 2 shown]
	global_load_dwordx4 v[67:70], v[24:25], off offset:1584
	v_cvt_f64_f32_e32 v[107:108], v101
	v_cvt_f64_f32_e32 v[101:102], v102
	v_fma_f64 v[83:84], -v[83:84], v[109:110], v[71:72]
	v_fma_f64 v[143:144], v[147:148], v[109:110], v[73:74]
	s_waitcnt vmcnt(20)
	v_cvt_f64_f32_e32 v[147:148], v113
	v_fma_f64 v[79:80], -v[95:96], v[109:110], v[79:80]
	v_fma_f64 v[87:88], v[151:152], v[109:110], v[87:88]
	v_fma_f64 v[81:82], -v[97:98], v[109:110], v[81:82]
	v_cvt_f64_f32_e32 v[113:114], v114
	s_waitcnt vmcnt(19)
	v_cvt_f64_f32_e32 v[151:152], v117
	v_cvt_f64_f32_e32 v[117:118], v118
	v_fma_f64 v[85:86], -v[85:86], v[109:110], v[75:76]
	v_fma_f64 v[145:146], v[149:150], v[109:110], v[77:78]
	v_fma_f64 v[89:90], v[157:158], v[109:110], v[89:90]
	global_load_dwordx4 v[71:74], v[91:92], off offset:16
	global_load_dwordx4 v[75:78], v[24:25], off offset:1600
	v_cvt_f64_f32_e32 v[149:150], v115
	v_cvt_f64_f32_e32 v[115:116], v116
	s_waitcnt vmcnt(15)
	v_fma_f64 v[83:84], v[93:94], v[9:10], v[83:84]
	v_fma_f64 v[95:96], v[99:100], v[9:10], v[143:144]
	;; [unrolled: 1-line block ×5, first 2 shown]
	global_load_dwordx4 v[79:82], v[24:25], off offset:1616
	v_fma_f64 v[85:86], v[107:108], v[9:10], v[85:86]
	v_fma_f64 v[97:98], v[101:102], v[9:10], v[145:146]
	;; [unrolled: 1-line block ×3, first 2 shown]
	v_cvt_f64_f32_e32 v[145:146], v111
	v_cvt_f64_f32_e32 v[111:112], v112
	v_fma_f64 v[99:100], -v[99:100], v[11:12], v[83:84]
	v_fma_f64 v[93:94], v[93:94], v[11:12], v[95:96]
	v_fma_f64 v[105:106], -v[105:106], v[11:12], v[143:144]
	v_cvt_f64_f32_e32 v[143:144], v125
	v_cvt_f64_f32_e32 v[125:126], v126
	v_fma_f64 v[95:96], -v[101:102], v[11:12], v[85:86]
	v_fma_f64 v[97:98], v[107:108], v[11:12], v[97:98]
	v_fma_f64 v[101:102], -v[103:104], v[11:12], v[109:110]
	v_fma_f64 v[103:104], v[139:140], v[11:12], v[87:88]
	v_fma_f64 v[107:108], v[141:142], v[11:12], v[9:10]
	s_clause 0x1
	global_load_dwordx4 v[9:12], v[91:92], off offset:32
	global_load_dwordx4 v[83:86], v[91:92], off offset:48
	global_load_dwordx4 v[87:90], v[24:25], off offset:1632
	v_cvt_f64_f32_e32 v[139:140], v121
	v_cvt_f64_f32_e32 v[121:122], v122
	;; [unrolled: 1-line block ×4, first 2 shown]
	s_waitcnt vmcnt(17)
	v_fma_f64 v[99:100], v[145:146], v[17:18], v[99:100]
	v_fma_f64 v[109:110], v[111:112], v[17:18], v[93:94]
	;; [unrolled: 1-line block ×8, first 2 shown]
	global_load_dwordx4 v[91:94], v[24:25], off offset:1648
	v_cvt_f64_f32_e32 v[107:108], v119
	v_cvt_f64_f32_e32 v[119:120], v120
	v_add_co_u32 v24, s0, 0x800, v24
	v_add_co_ci_u32_e64 v25, null, 0, v25, s0
	v_fma_f64 v[99:100], -v[111:112], v[19:20], v[99:100]
	v_fma_f64 v[109:110], v[145:146], v[19:20], v[109:110]
	v_fma_f64 v[95:96], -v[113:114], v[19:20], v[95:96]
	v_fma_f64 v[97:98], v[147:148], v[19:20], v[97:98]
	;; [unrolled: 2-line block ×4, first 2 shown]
	v_cvt_f64_f32_e32 v[111:112], v129
	v_cvt_f64_f32_e32 v[113:114], v130
	;; [unrolled: 1-line block ×5, first 2 shown]
	s_waitcnt vmcnt(17)
	v_fma_f64 v[19:20], v[107:108], v[26:27], v[99:100]
	v_fma_f64 v[99:100], v[119:120], v[26:27], v[109:110]
	;; [unrolled: 1-line block ×8, first 2 shown]
	v_cvt_f64_f32_e32 v[26:27], v127
	v_cvt_f64_f32_e32 v[109:110], v128
	;; [unrolled: 1-line block ×3, first 2 shown]
	v_fma_f64 v[19:20], -v[119:120], v[28:29], v[19:20]
	v_fma_f64 v[99:100], v[107:108], v[28:29], v[99:100]
	v_fma_f64 v[95:96], -v[121:122], v[28:29], v[95:96]
	v_fma_f64 v[97:98], v[139:140], v[28:29], v[97:98]
	;; [unrolled: 2-line block ×4, first 2 shown]
	v_cvt_f64_f32_e32 v[107:108], v137
	v_cvt_f64_f32_e32 v[119:120], v138
	;; [unrolled: 1-line block ×6, first 2 shown]
	s_waitcnt vmcnt(15)
	v_fma_f64 v[19:20], v[26:27], v[34:35], v[19:20]
	v_fma_f64 v[28:29], v[109:110], v[34:35], v[99:100]
	;; [unrolled: 1-line block ×8, first 2 shown]
	v_cvt_f64_f32_e32 v[34:35], v135
	v_cvt_f64_f32_e32 v[105:106], v136
	v_fma_f64 v[19:20], -v[109:110], v[36:37], v[19:20]
	v_fma_f64 v[26:27], v[26:27], v[36:37], v[28:29]
	v_fma_f64 v[28:29], -v[113:114], v[36:37], v[95:96]
	v_fma_f64 v[95:96], v[111:112], v[36:37], v[97:98]
	;; [unrolled: 2-line block ×4, first 2 shown]
	s_waitcnt vmcnt(14)
	v_cvt_f64_f32_e32 v[103:104], v38
	v_cvt_f64_f32_e32 v[38:39], v39
	;; [unrolled: 1-line block ×4, first 2 shown]
	s_waitcnt vmcnt(13)
	v_fma_f64 v[19:20], v[34:35], v[42:43], v[19:20]
	v_fma_f64 v[26:27], v[105:106], v[42:43], v[26:27]
	;; [unrolled: 1-line block ×8, first 2 shown]
	v_cvt_f64_f32_e32 v[42:43], v30
	v_cvt_f64_f32_e32 v[30:31], v31
	;; [unrolled: 1-line block ×4, first 2 shown]
	v_fma_f64 v[19:20], -v[105:106], v[44:45], v[19:20]
	v_fma_f64 v[26:27], v[34:35], v[44:45], v[26:27]
	v_fma_f64 v[28:29], -v[119:120], v[44:45], v[28:29]
	v_fma_f64 v[34:35], v[107:108], v[44:45], v[36:37]
	;; [unrolled: 2-line block ×4, first 2 shown]
	s_waitcnt vmcnt(12)
	v_cvt_f64_f32_e32 v[44:45], v47
	v_cvt_f64_f32_e32 v[47:48], v48
	s_waitcnt vmcnt(11)
	v_cvt_f64_f32_e32 v[95:96], v51
	v_cvt_f64_f32_e32 v[51:52], v52
	;; [unrolled: 1-line block ×4, first 2 shown]
	s_waitcnt vmcnt(10)
	v_fma_f64 v[19:20], v[42:43], v[55:56], v[19:20]
	v_fma_f64 v[26:27], v[30:31], v[55:56], v[26:27]
	;; [unrolled: 1-line block ×8, first 2 shown]
	v_cvt_f64_f32_e32 v[55:56], v49
	v_cvt_f64_f32_e32 v[49:50], v50
	v_fma_f64 v[19:20], -v[30:31], v[57:58], v[19:20]
	v_fma_f64 v[26:27], v[42:43], v[57:58], v[26:27]
	v_fma_f64 v[28:29], -v[32:33], v[57:58], v[28:29]
	v_fma_f64 v[30:31], v[101:102], v[57:58], v[34:35]
	;; [unrolled: 2-line block ×4, first 2 shown]
	s_waitcnt vmcnt(8)
	v_cvt_f64_f32_e32 v[34:35], v63
	v_cvt_f64_f32_e32 v[36:37], v64
	;; [unrolled: 1-line block ×4, first 2 shown]
	s_waitcnt vmcnt(7)
	v_cvt_f64_f32_e32 v[42:43], v67
	v_cvt_f64_f32_e32 v[57:58], v68
	;; [unrolled: 1-line block ×3, first 2 shown]
	v_fma_f64 v[19:20], v[44:45], v[59:60], v[19:20]
	v_fma_f64 v[26:27], v[47:48], v[59:60], v[26:27]
	;; [unrolled: 1-line block ×8, first 2 shown]
	v_cvt_f64_f32_e32 v[59:60], v69
	s_waitcnt vmcnt(4)
	v_cvt_f64_f32_e32 v[65:66], v82
	v_fma_f64 v[19:20], -v[47:48], v[61:62], v[19:20]
	v_fma_f64 v[26:27], v[44:45], v[61:62], v[26:27]
	v_fma_f64 v[28:29], -v[49:50], v[61:62], v[28:29]
	v_fma_f64 v[30:31], v[55:56], v[61:62], v[30:31]
	;; [unrolled: 2-line block ×4, first 2 shown]
	v_cvt_f64_f32_e32 v[44:45], v75
	v_cvt_f64_f32_e32 v[47:48], v76
	;; [unrolled: 1-line block ×7, first 2 shown]
	v_fma_f64 v[19:20], v[34:35], v[71:72], v[19:20]
	v_fma_f64 v[26:27], v[36:37], v[71:72], v[26:27]
	;; [unrolled: 1-line block ×8, first 2 shown]
	v_fma_f64 v[19:20], -v[36:37], v[73:74], v[19:20]
	v_fma_f64 v[26:27], v[34:35], v[73:74], v[26:27]
	v_fma_f64 v[28:29], -v[40:41], v[73:74], v[28:29]
	v_fma_f64 v[30:31], v[38:39], v[73:74], v[30:31]
	;; [unrolled: 2-line block ×4, first 2 shown]
	s_waitcnt vmcnt(1)
	v_cvt_f64_f32_e32 v[34:35], v88
	v_cvt_f64_f32_e32 v[42:43], v89
	;; [unrolled: 1-line block ×3, first 2 shown]
	v_fma_f64 v[19:20], v[44:45], v[9:10], v[19:20]
	v_fma_f64 v[26:27], v[47:48], v[9:10], v[26:27]
	;; [unrolled: 1-line block ×8, first 2 shown]
	v_cvt_f64_f32_e32 v[17:18], v87
	s_waitcnt vmcnt(0)
	v_cvt_f64_f32_e32 v[57:58], v91
	v_cvt_f64_f32_e32 v[59:60], v92
	;; [unrolled: 1-line block ×4, first 2 shown]
	v_fma_f64 v[19:20], -v[47:48], v[11:12], v[19:20]
	v_fma_f64 v[26:27], v[44:45], v[11:12], v[26:27]
	v_fma_f64 v[28:29], -v[51:52], v[11:12], v[28:29]
	v_fma_f64 v[30:31], v[49:50], v[11:12], v[30:31]
	;; [unrolled: 2-line block ×4, first 2 shown]
	v_fma_f64 v[11:12], v[17:18], v[83:84], v[19:20]
	v_fma_f64 v[19:20], v[34:35], v[83:84], v[26:27]
	;; [unrolled: 1-line block ×8, first 2 shown]
	v_fma_f64 v[40:41], -v[34:35], v[85:86], v[11:12]
	v_fma_f64 v[36:37], v[17:18], v[85:86], v[19:20]
	v_fma_f64 v[38:39], -v[38:39], v[85:86], v[26:27]
	v_fma_f64 v[34:35], v[42:43], v[85:86], v[28:29]
	;; [unrolled: 2-line block ×4, first 2 shown]
	s_andn2_b32 exec_lo, exec_lo, s8
	s_cbranch_execnz .LBB165_31
; %bb.32:
	s_or_b32 exec_lo, exec_lo, s8
.LBB165_33:
	s_or_b32 exec_lo, exec_lo, s3
.LBB165_34:
	s_or_b32 exec_lo, exec_lo, s1
.LBB165_35:
	v_mbcnt_lo_u32_b32 v44, -1, 0
	v_xor_b32_e32 v9, 2, v44
	v_cmp_gt_i32_e32 vcc_lo, 32, v9
	v_cndmask_b32_e32 v9, v44, v9, vcc_lo
	v_lshlrev_b32_e32 v24, 2, v9
	ds_bpermute_b32 v9, v24, v40
	ds_bpermute_b32 v10, v24, v41
	ds_bpermute_b32 v11, v24, v36
	ds_bpermute_b32 v12, v24, v37
	ds_bpermute_b32 v13, v24, v38
	ds_bpermute_b32 v14, v24, v39
	ds_bpermute_b32 v15, v24, v34
	ds_bpermute_b32 v16, v24, v35
	ds_bpermute_b32 v17, v24, v32
	ds_bpermute_b32 v18, v24, v33
	ds_bpermute_b32 v19, v24, v30
	ds_bpermute_b32 v20, v24, v31
	ds_bpermute_b32 v22, v24, v26
	ds_bpermute_b32 v23, v24, v27
	ds_bpermute_b32 v42, v24, v28
	ds_bpermute_b32 v43, v24, v29
	s_waitcnt lgkmcnt(14)
	v_add_f64 v[9:10], v[40:41], v[9:10]
	s_waitcnt lgkmcnt(12)
	v_add_f64 v[36:37], v[36:37], v[11:12]
	s_waitcnt lgkmcnt(10)
	v_add_f64 v[11:12], v[38:39], v[13:14]
	v_xor_b32_e32 v38, 1, v44
	s_waitcnt lgkmcnt(8)
	v_add_f64 v[24:25], v[34:35], v[15:16]
	s_waitcnt lgkmcnt(6)
	v_add_f64 v[13:14], v[32:33], v[17:18]
	;; [unrolled: 2-line block ×3, first 2 shown]
	v_cmp_gt_i32_e32 vcc_lo, 32, v38
	s_waitcnt lgkmcnt(2)
	v_add_f64 v[15:16], v[26:27], v[22:23]
	s_waitcnt lgkmcnt(0)
	v_add_f64 v[19:20], v[28:29], v[42:43]
	v_cndmask_b32_e32 v30, v44, v38, vcc_lo
	v_cmp_eq_u32_e32 vcc_lo, 3, v0
	v_lshlrev_b32_e32 v33, 2, v30
	ds_bpermute_b32 v22, v33, v9
	ds_bpermute_b32 v23, v33, v10
	;; [unrolled: 1-line block ×16, first 2 shown]
	s_and_b32 exec_lo, exec_lo, vcc_lo
	s_cbranch_execz .LBB165_8
; %bb.36:
	s_waitcnt lgkmcnt(12)
	v_add_f64 v[36:37], v[36:37], v[40:41]
	s_waitcnt lgkmcnt(8)
	v_add_f64 v[24:25], v[24:25], v[38:39]
	;; [unrolled: 2-line block ×4, first 2 shown]
	v_add_f64 v[9:10], v[9:10], v[22:23]
	v_add_f64 v[11:12], v[11:12], v[26:27]
	;; [unrolled: 1-line block ×4, first 2 shown]
	v_cmp_eq_f64_e32 vcc_lo, 0, v[1:2]
	v_cmp_eq_f64_e64 s0, 0, v[3:4]
	s_load_dwordx2 s[2:3], s[4:5], 0x60
	v_lshlrev_b32_e32 v21, 2, v21
	v_mul_f64 v[13:14], v[36:37], -v[7:8]
	v_mul_f64 v[15:16], v[5:6], v[36:37]
	v_mul_f64 v[28:29], v[24:25], -v[7:8]
	v_mul_f64 v[24:25], v[5:6], v[24:25]
	;; [unrolled: 2-line block ×4, first 2 shown]
	s_and_b32 s0, vcc_lo, s0
	v_fma_f64 v[17:18], v[5:6], v[9:10], v[13:14]
	v_fma_f64 v[19:20], v[7:8], v[9:10], v[15:16]
	;; [unrolled: 1-line block ×8, first 2 shown]
	s_and_saveexec_b32 s1, s0
	s_xor_b32 s0, exec_lo, s1
	s_cbranch_execz .LBB165_38
; %bb.37:
	v_ashrrev_i32_e32 v22, 31, v21
	v_lshlrev_b64 v[0:1], 4, v[21:22]
                                        ; implicit-def: $vgpr21
	s_waitcnt lgkmcnt(0)
	v_add_co_u32 v0, vcc_lo, s2, v0
	v_add_co_ci_u32_e64 v1, null, s3, v1, vcc_lo
	global_store_dwordx4 v[0:1], v[17:20], off
	global_store_dwordx4 v[0:1], v[13:16], off offset:16
	global_store_dwordx4 v[0:1], v[9:12], off offset:32
	;; [unrolled: 1-line block ×3, first 2 shown]
                                        ; implicit-def: $vgpr3_vgpr4
                                        ; implicit-def: $vgpr17_vgpr18
                                        ; implicit-def: $vgpr13_vgpr14
                                        ; implicit-def: $vgpr9_vgpr10
                                        ; implicit-def: $vgpr5_vgpr6
.LBB165_38:
	s_andn2_saveexec_b32 s0, s0
	s_cbranch_execz .LBB165_8
; %bb.39:
	v_ashrrev_i32_e32 v22, 31, v21
	v_lshlrev_b64 v[21:22], 4, v[21:22]
	s_waitcnt lgkmcnt(0)
	v_add_co_u32 v37, vcc_lo, s2, v21
	v_add_co_ci_u32_e64 v38, null, s3, v22, vcc_lo
	s_clause 0x3
	global_load_dwordx4 v[21:24], v[37:38], off
	global_load_dwordx4 v[25:28], v[37:38], off offset:16
	global_load_dwordx4 v[29:32], v[37:38], off offset:32
	;; [unrolled: 1-line block ×3, first 2 shown]
	s_waitcnt vmcnt(3)
	v_fma_f64 v[17:18], v[1:2], v[21:22], v[17:18]
	v_fma_f64 v[19:20], v[3:4], v[21:22], v[19:20]
	s_waitcnt vmcnt(2)
	v_fma_f64 v[13:14], v[1:2], v[25:26], v[13:14]
	v_fma_f64 v[15:16], v[3:4], v[25:26], v[15:16]
	;; [unrolled: 3-line block ×4, first 2 shown]
	v_fma_f64 v[5:6], -v[3:4], v[23:24], v[17:18]
	v_fma_f64 v[7:8], v[1:2], v[23:24], v[19:20]
	v_fma_f64 v[9:10], -v[3:4], v[27:28], v[13:14]
	v_fma_f64 v[11:12], v[1:2], v[27:28], v[15:16]
	;; [unrolled: 2-line block ×4, first 2 shown]
	global_store_dwordx4 v[37:38], v[5:8], off
	global_store_dwordx4 v[37:38], v[9:12], off offset:16
	global_store_dwordx4 v[37:38], v[13:16], off offset:32
	;; [unrolled: 1-line block ×3, first 2 shown]
	s_endpgm
	.section	.rodata,"a",@progbits
	.p2align	6, 0x0
	.amdhsa_kernel _ZN9rocsparseL18bsrxmvn_4x4_kernelILj128ELj4E21rocsparse_complex_numIdEiiS1_IfES2_S2_EEvT3_20rocsparse_direction_NS_24const_host_device_scalarIT1_EES4_PKS4_PKT2_SD_SA_PKT4_PKT5_S8_PT6_21rocsparse_index_base_b
		.amdhsa_group_segment_fixed_size 0
		.amdhsa_private_segment_fixed_size 0
		.amdhsa_kernarg_size 112
		.amdhsa_user_sgpr_count 6
		.amdhsa_user_sgpr_private_segment_buffer 1
		.amdhsa_user_sgpr_dispatch_ptr 0
		.amdhsa_user_sgpr_queue_ptr 0
		.amdhsa_user_sgpr_kernarg_segment_ptr 1
		.amdhsa_user_sgpr_dispatch_id 0
		.amdhsa_user_sgpr_flat_scratch_init 0
		.amdhsa_user_sgpr_private_segment_size 0
		.amdhsa_wavefront_size32 1
		.amdhsa_uses_dynamic_stack 0
		.amdhsa_system_sgpr_private_segment_wavefront_offset 0
		.amdhsa_system_sgpr_workgroup_id_x 1
		.amdhsa_system_sgpr_workgroup_id_y 0
		.amdhsa_system_sgpr_workgroup_id_z 0
		.amdhsa_system_sgpr_workgroup_info 0
		.amdhsa_system_vgpr_workitem_id 0
		.amdhsa_next_free_vgpr 196
		.amdhsa_next_free_sgpr 16
		.amdhsa_reserve_vcc 1
		.amdhsa_reserve_flat_scratch 0
		.amdhsa_float_round_mode_32 0
		.amdhsa_float_round_mode_16_64 0
		.amdhsa_float_denorm_mode_32 3
		.amdhsa_float_denorm_mode_16_64 3
		.amdhsa_dx10_clamp 1
		.amdhsa_ieee_mode 1
		.amdhsa_fp16_overflow 0
		.amdhsa_workgroup_processor_mode 1
		.amdhsa_memory_ordered 1
		.amdhsa_forward_progress 1
		.amdhsa_shared_vgpr_count 0
		.amdhsa_exception_fp_ieee_invalid_op 0
		.amdhsa_exception_fp_denorm_src 0
		.amdhsa_exception_fp_ieee_div_zero 0
		.amdhsa_exception_fp_ieee_overflow 0
		.amdhsa_exception_fp_ieee_underflow 0
		.amdhsa_exception_fp_ieee_inexact 0
		.amdhsa_exception_int_div_zero 0
	.end_amdhsa_kernel
	.section	.text._ZN9rocsparseL18bsrxmvn_4x4_kernelILj128ELj4E21rocsparse_complex_numIdEiiS1_IfES2_S2_EEvT3_20rocsparse_direction_NS_24const_host_device_scalarIT1_EES4_PKS4_PKT2_SD_SA_PKT4_PKT5_S8_PT6_21rocsparse_index_base_b,"axG",@progbits,_ZN9rocsparseL18bsrxmvn_4x4_kernelILj128ELj4E21rocsparse_complex_numIdEiiS1_IfES2_S2_EEvT3_20rocsparse_direction_NS_24const_host_device_scalarIT1_EES4_PKS4_PKT2_SD_SA_PKT4_PKT5_S8_PT6_21rocsparse_index_base_b,comdat
.Lfunc_end165:
	.size	_ZN9rocsparseL18bsrxmvn_4x4_kernelILj128ELj4E21rocsparse_complex_numIdEiiS1_IfES2_S2_EEvT3_20rocsparse_direction_NS_24const_host_device_scalarIT1_EES4_PKS4_PKT2_SD_SA_PKT4_PKT5_S8_PT6_21rocsparse_index_base_b, .Lfunc_end165-_ZN9rocsparseL18bsrxmvn_4x4_kernelILj128ELj4E21rocsparse_complex_numIdEiiS1_IfES2_S2_EEvT3_20rocsparse_direction_NS_24const_host_device_scalarIT1_EES4_PKS4_PKT2_SD_SA_PKT4_PKT5_S8_PT6_21rocsparse_index_base_b
                                        ; -- End function
	.set _ZN9rocsparseL18bsrxmvn_4x4_kernelILj128ELj4E21rocsparse_complex_numIdEiiS1_IfES2_S2_EEvT3_20rocsparse_direction_NS_24const_host_device_scalarIT1_EES4_PKS4_PKT2_SD_SA_PKT4_PKT5_S8_PT6_21rocsparse_index_base_b.num_vgpr, 196
	.set _ZN9rocsparseL18bsrxmvn_4x4_kernelILj128ELj4E21rocsparse_complex_numIdEiiS1_IfES2_S2_EEvT3_20rocsparse_direction_NS_24const_host_device_scalarIT1_EES4_PKS4_PKT2_SD_SA_PKT4_PKT5_S8_PT6_21rocsparse_index_base_b.num_agpr, 0
	.set _ZN9rocsparseL18bsrxmvn_4x4_kernelILj128ELj4E21rocsparse_complex_numIdEiiS1_IfES2_S2_EEvT3_20rocsparse_direction_NS_24const_host_device_scalarIT1_EES4_PKS4_PKT2_SD_SA_PKT4_PKT5_S8_PT6_21rocsparse_index_base_b.numbered_sgpr, 16
	.set _ZN9rocsparseL18bsrxmvn_4x4_kernelILj128ELj4E21rocsparse_complex_numIdEiiS1_IfES2_S2_EEvT3_20rocsparse_direction_NS_24const_host_device_scalarIT1_EES4_PKS4_PKT2_SD_SA_PKT4_PKT5_S8_PT6_21rocsparse_index_base_b.num_named_barrier, 0
	.set _ZN9rocsparseL18bsrxmvn_4x4_kernelILj128ELj4E21rocsparse_complex_numIdEiiS1_IfES2_S2_EEvT3_20rocsparse_direction_NS_24const_host_device_scalarIT1_EES4_PKS4_PKT2_SD_SA_PKT4_PKT5_S8_PT6_21rocsparse_index_base_b.private_seg_size, 0
	.set _ZN9rocsparseL18bsrxmvn_4x4_kernelILj128ELj4E21rocsparse_complex_numIdEiiS1_IfES2_S2_EEvT3_20rocsparse_direction_NS_24const_host_device_scalarIT1_EES4_PKS4_PKT2_SD_SA_PKT4_PKT5_S8_PT6_21rocsparse_index_base_b.uses_vcc, 1
	.set _ZN9rocsparseL18bsrxmvn_4x4_kernelILj128ELj4E21rocsparse_complex_numIdEiiS1_IfES2_S2_EEvT3_20rocsparse_direction_NS_24const_host_device_scalarIT1_EES4_PKS4_PKT2_SD_SA_PKT4_PKT5_S8_PT6_21rocsparse_index_base_b.uses_flat_scratch, 0
	.set _ZN9rocsparseL18bsrxmvn_4x4_kernelILj128ELj4E21rocsparse_complex_numIdEiiS1_IfES2_S2_EEvT3_20rocsparse_direction_NS_24const_host_device_scalarIT1_EES4_PKS4_PKT2_SD_SA_PKT4_PKT5_S8_PT6_21rocsparse_index_base_b.has_dyn_sized_stack, 0
	.set _ZN9rocsparseL18bsrxmvn_4x4_kernelILj128ELj4E21rocsparse_complex_numIdEiiS1_IfES2_S2_EEvT3_20rocsparse_direction_NS_24const_host_device_scalarIT1_EES4_PKS4_PKT2_SD_SA_PKT4_PKT5_S8_PT6_21rocsparse_index_base_b.has_recursion, 0
	.set _ZN9rocsparseL18bsrxmvn_4x4_kernelILj128ELj4E21rocsparse_complex_numIdEiiS1_IfES2_S2_EEvT3_20rocsparse_direction_NS_24const_host_device_scalarIT1_EES4_PKS4_PKT2_SD_SA_PKT4_PKT5_S8_PT6_21rocsparse_index_base_b.has_indirect_call, 0
	.section	.AMDGPU.csdata,"",@progbits
; Kernel info:
; codeLenInByte = 10668
; TotalNumSgprs: 18
; NumVgprs: 196
; ScratchSize: 0
; MemoryBound: 0
; FloatMode: 240
; IeeeMode: 1
; LDSByteSize: 0 bytes/workgroup (compile time only)
; SGPRBlocks: 0
; VGPRBlocks: 24
; NumSGPRsForWavesPerEU: 18
; NumVGPRsForWavesPerEU: 196
; Occupancy: 4
; WaveLimiterHint : 1
; COMPUTE_PGM_RSRC2:SCRATCH_EN: 0
; COMPUTE_PGM_RSRC2:USER_SGPR: 6
; COMPUTE_PGM_RSRC2:TRAP_HANDLER: 0
; COMPUTE_PGM_RSRC2:TGID_X_EN: 1
; COMPUTE_PGM_RSRC2:TGID_Y_EN: 0
; COMPUTE_PGM_RSRC2:TGID_Z_EN: 0
; COMPUTE_PGM_RSRC2:TIDIG_COMP_CNT: 0
	.section	.text._ZN9rocsparseL18bsrxmvn_4x4_kernelILj128ELj8E21rocsparse_complex_numIdEiiS1_IfES2_S2_EEvT3_20rocsparse_direction_NS_24const_host_device_scalarIT1_EES4_PKS4_PKT2_SD_SA_PKT4_PKT5_S8_PT6_21rocsparse_index_base_b,"axG",@progbits,_ZN9rocsparseL18bsrxmvn_4x4_kernelILj128ELj8E21rocsparse_complex_numIdEiiS1_IfES2_S2_EEvT3_20rocsparse_direction_NS_24const_host_device_scalarIT1_EES4_PKS4_PKT2_SD_SA_PKT4_PKT5_S8_PT6_21rocsparse_index_base_b,comdat
	.globl	_ZN9rocsparseL18bsrxmvn_4x4_kernelILj128ELj8E21rocsparse_complex_numIdEiiS1_IfES2_S2_EEvT3_20rocsparse_direction_NS_24const_host_device_scalarIT1_EES4_PKS4_PKT2_SD_SA_PKT4_PKT5_S8_PT6_21rocsparse_index_base_b ; -- Begin function _ZN9rocsparseL18bsrxmvn_4x4_kernelILj128ELj8E21rocsparse_complex_numIdEiiS1_IfES2_S2_EEvT3_20rocsparse_direction_NS_24const_host_device_scalarIT1_EES4_PKS4_PKT2_SD_SA_PKT4_PKT5_S8_PT6_21rocsparse_index_base_b
	.p2align	8
	.type	_ZN9rocsparseL18bsrxmvn_4x4_kernelILj128ELj8E21rocsparse_complex_numIdEiiS1_IfES2_S2_EEvT3_20rocsparse_direction_NS_24const_host_device_scalarIT1_EES4_PKS4_PKT2_SD_SA_PKT4_PKT5_S8_PT6_21rocsparse_index_base_b,@function
_ZN9rocsparseL18bsrxmvn_4x4_kernelILj128ELj8E21rocsparse_complex_numIdEiiS1_IfES2_S2_EEvT3_20rocsparse_direction_NS_24const_host_device_scalarIT1_EES4_PKS4_PKT2_SD_SA_PKT4_PKT5_S8_PT6_21rocsparse_index_base_b: ; @_ZN9rocsparseL18bsrxmvn_4x4_kernelILj128ELj8E21rocsparse_complex_numIdEiiS1_IfES2_S2_EEvT3_20rocsparse_direction_NS_24const_host_device_scalarIT1_EES4_PKS4_PKT2_SD_SA_PKT4_PKT5_S8_PT6_21rocsparse_index_base_b
; %bb.0:
	s_clause 0x1
	s_load_dwordx2 s[2:3], s[4:5], 0x68
	s_load_dwordx2 s[0:1], s[4:5], 0x8
	s_add_u32 s7, s4, 8
	s_addc_u32 s10, s5, 0
	s_add_u32 s11, s4, 0x50
	s_addc_u32 s12, s5, 0
	s_load_dwordx2 s[8:9], s[4:5], 0x50
	s_waitcnt lgkmcnt(0)
	s_bitcmp1_b32 s3, 0
	s_cselect_b32 s0, s7, s0
	s_cselect_b32 s1, s10, s1
	v_mov_b32_e32 v1, s0
	v_mov_b32_e32 v2, s1
	s_cselect_b32 s0, s11, s8
	s_cselect_b32 s1, s12, s9
	flat_load_dwordx4 v[5:8], v[1:2]
	v_mov_b32_e32 v1, s0
	v_mov_b32_e32 v2, s1
	flat_load_dwordx4 v[1:4], v[1:2]
	s_waitcnt vmcnt(1) lgkmcnt(1)
	v_cmp_eq_f64_e32 vcc_lo, 0, v[5:6]
	v_cmp_eq_f64_e64 s0, 0, v[7:8]
	s_and_b32 s3, vcc_lo, s0
	s_mov_b32 s0, -1
	s_and_saveexec_b32 s1, s3
	s_cbranch_execz .LBB166_2
; %bb.1:
	s_waitcnt vmcnt(0) lgkmcnt(0)
	v_cmp_neq_f64_e32 vcc_lo, 1.0, v[1:2]
	v_cmp_neq_f64_e64 s0, 0, v[3:4]
	s_or_b32 s0, vcc_lo, s0
	s_orn2_b32 s0, s0, exec_lo
.LBB166_2:
	s_or_b32 exec_lo, exec_lo, s1
	s_and_saveexec_b32 s1, s0
	s_cbranch_execz .LBB166_8
; %bb.3:
	s_clause 0x1
	s_load_dwordx2 s[8:9], s[4:5], 0x20
	s_load_dwordx2 s[0:1], s[4:5], 0x0
	v_lshrrev_b32_e32 v9, 3, v0
	v_lshl_or_b32 v21, s6, 4, v9
	s_waitcnt lgkmcnt(0)
	s_cmp_lg_u64 s[8:9], 0
	s_cbranch_scc0 .LBB166_9
; %bb.4:
	s_load_dword s3, s[4:5], 0x18
	s_mov_b32 s6, 0
                                        ; implicit-def: $vgpr9
	s_waitcnt lgkmcnt(0)
	v_cmp_gt_i32_e32 vcc_lo, s3, v21
	s_mov_b32 s3, 0
	s_and_saveexec_b32 s7, vcc_lo
	s_xor_b32 s7, exec_lo, s7
	s_cbranch_execz .LBB166_6
; %bb.5:
	v_ashrrev_i32_e32 v22, 31, v21
	s_mov_b32 s3, exec_lo
	v_lshlrev_b64 v[9:10], 2, v[21:22]
	v_add_co_u32 v9, vcc_lo, s8, v9
	v_add_co_ci_u32_e64 v10, null, s9, v10, vcc_lo
	global_load_dword v9, v[9:10], off
	s_waitcnt vmcnt(0)
	v_subrev_nc_u32_e32 v9, s2, v9
.LBB166_6:
	s_or_b32 exec_lo, exec_lo, s7
	s_and_b32 vcc_lo, exec_lo, s6
	s_cbranch_vccz .LBB166_10
.LBB166_7:
	v_cmp_gt_i32_e32 vcc_lo, s0, v21
	s_andn2_b32 s0, s3, exec_lo
	s_and_b32 s3, vcc_lo, exec_lo
	s_or_b32 s3, s0, s3
	s_and_b32 exec_lo, exec_lo, s3
	s_cbranch_execnz .LBB166_11
.LBB166_8:
	s_endpgm
.LBB166_9:
	s_mov_b32 s3, 0
                                        ; implicit-def: $vgpr9
	s_cbranch_execnz .LBB166_7
.LBB166_10:
	v_mov_b32_e32 v21, v9
	s_and_b32 exec_lo, exec_lo, s3
	s_cbranch_execz .LBB166_8
.LBB166_11:
	s_load_dwordx8 s[8:15], s[4:5], 0x28
	v_ashrrev_i32_e32 v22, 31, v21
	v_and_b32_e32 v0, 7, v0
	s_load_dwordx2 s[6:7], s[4:5], 0x48
	v_lshlrev_b64 v[9:10], 2, v[21:22]
	s_waitcnt lgkmcnt(0)
	v_add_co_u32 v11, vcc_lo, s8, v9
	v_add_co_ci_u32_e64 v12, null, s9, v10, vcc_lo
	v_add_co_u32 v9, vcc_lo, s10, v9
	v_add_co_ci_u32_e64 v10, null, s11, v10, vcc_lo
	global_load_dword v47, v[11:12], off
	v_add_co_u32 v11, vcc_lo, v11, 4
	v_add_co_ci_u32_e64 v12, null, 0, v12, vcc_lo
	s_cmp_eq_u64 s[10:11], 0
	s_cselect_b32 vcc_lo, -1, 0
	s_cmp_eq_u32 s1, 1
	v_cndmask_b32_e32 v10, v10, v12, vcc_lo
	v_cndmask_b32_e32 v9, v9, v11, vcc_lo
	global_load_dword v11, v[9:10], off
	s_waitcnt vmcnt(1)
	v_subrev_nc_u32_e32 v9, s2, v47
	v_add_nc_u32_e32 v22, v9, v0
	v_ashrrev_i32_e32 v23, 31, v22
	s_waitcnt vmcnt(0)
	v_subrev_nc_u32_e32 v46, s2, v11
	v_lshlrev_b64 v[9:10], 7, v[22:23]
	v_cmp_lt_i32_e64 s0, v22, v46
	v_add_co_u32 v24, vcc_lo, s14, v9
	v_add_co_ci_u32_e64 v25, null, s15, v10, vcc_lo
	s_cbranch_scc1 .LBB166_23
; %bb.12:
	v_mov_b32_e32 v34, 0
	v_mov_b32_e32 v38, 0
	;; [unrolled: 1-line block ×16, first 2 shown]
	s_and_saveexec_b32 s3, s0
	s_cbranch_execz .LBB166_22
; %bb.13:
	v_add_nc_u32_e32 v9, v47, v0
	v_not_b32_e32 v10, v47
	v_mov_b32_e32 v26, 0
	v_mov_b32_e32 v28, 0
	;; [unrolled: 1-line block ×3, first 2 shown]
	v_subrev_nc_u32_e32 v9, s2, v9
	v_mov_b32_e32 v30, 0
	v_mov_b32_e32 v40, 0
	;; [unrolled: 1-line block ×4, first 2 shown]
	v_add_nc_u32_e32 v9, 8, v9
	v_mov_b32_e32 v34, 0
	v_mov_b32_e32 v45, v25
	;; [unrolled: 1-line block ×4, first 2 shown]
	v_max_i32_e32 v9, v9, v46
	v_mov_b32_e32 v33, 0
	v_mov_b32_e32 v31, 0
	;; [unrolled: 1-line block ×4, first 2 shown]
	v_add3_u32 v9, s2, v9, v10
	v_mov_b32_e32 v39, 0
	v_mov_b32_e32 v35, 0
	;; [unrolled: 1-line block ×4, first 2 shown]
	v_sub_nc_u32_e32 v9, v9, v0
	s_mov_b32 s1, exec_lo
	v_and_b32_e32 v10, 24, v9
	v_cmpx_ne_u32_e32 24, v10
	s_cbranch_execz .LBB166_17
; %bb.14:
	v_lshrrev_b32_e32 v10, 3, v9
	v_mov_b32_e32 v34, 0
	v_mov_b32_e32 v38, 0
	;; [unrolled: 1-line block ×4, first 2 shown]
	v_add_nc_u32_e32 v10, 1, v10
	v_mov_b32_e32 v30, 0
	v_mov_b32_e32 v32, 0
	;; [unrolled: 1-line block ×4, first 2 shown]
	v_and_b32_e32 v10, 3, v10
	v_mov_b32_e32 v45, v25
	v_mov_b32_e32 v35, 0
	;; [unrolled: 1-line block ×10, first 2 shown]
	v_sub_nc_u32_e32 v10, 0, v10
	v_mov_b32_e32 v44, v24
	s_mov_b32 s8, 0
.LBB166_15:                             ; =>This Inner Loop Header: Depth=1
	v_ashrrev_i32_e32 v43, 31, v42
	v_add_co_u32 v10, s9, v10, 1
	s_or_b32 s8, s9, s8
	v_lshlrev_b64 v[11:12], 2, v[42:43]
	v_add_nc_u32_e32 v42, 8, v42
	v_add_co_u32 v11, vcc_lo, s12, v11
	v_add_co_ci_u32_e64 v12, null, s13, v12, vcc_lo
	global_load_dword v19, v[11:12], off
	s_clause 0x4
	global_load_dwordx4 v[11:14], v[44:45], off offset:32
	global_load_dwordx4 v[15:18], v[44:45], off offset:16
	global_load_dwordx4 v[48:51], v[44:45], off
	global_load_dwordx4 v[52:55], v[44:45], off offset:96
	global_load_dwordx4 v[56:59], v[44:45], off offset:64
	s_waitcnt vmcnt(5)
	v_subrev_nc_u32_e32 v19, s2, v19
	s_waitcnt vmcnt(4)
	v_cvt_f64_f32_e32 v[88:89], v11
	v_cvt_f64_f32_e32 v[11:12], v12
	;; [unrolled: 1-line block ×3, first 2 shown]
	s_waitcnt vmcnt(1)
	v_cvt_f64_f32_e32 v[92:93], v52
	v_lshlrev_b32_e32 v19, 2, v19
	s_waitcnt vmcnt(0)
	v_cvt_f64_f32_e32 v[90:91], v56
	v_cvt_f64_f32_e32 v[56:57], v57
	;; [unrolled: 1-line block ×4, first 2 shown]
	v_ashrrev_i32_e32 v20, 31, v19
	v_cvt_f64_f32_e32 v[96:97], v58
	v_cvt_f64_f32_e32 v[58:59], v59
	;; [unrolled: 1-line block ×4, first 2 shown]
	v_lshlrev_b64 v[19:20], 4, v[19:20]
	v_add_co_u32 v19, vcc_lo, s6, v19
	v_add_co_ci_u32_e64 v20, null, s7, v20, vcc_lo
	s_clause 0x1
	global_load_dwordx4 v[60:63], v[19:20], off
	global_load_dwordx4 v[64:67], v[19:20], off offset:16
	s_clause 0x2
	global_load_dwordx4 v[68:71], v[44:45], off offset:48
	global_load_dwordx4 v[72:75], v[44:45], off offset:80
	;; [unrolled: 1-line block ×3, first 2 shown]
	s_clause 0x1
	global_load_dwordx4 v[80:83], v[19:20], off offset:32
	global_load_dwordx4 v[84:87], v[19:20], off offset:48
	v_cvt_f64_f32_e32 v[19:20], v48
	v_cvt_f64_f32_e32 v[48:49], v49
	v_add_co_u32 v44, vcc_lo, 0x400, v44
	v_add_co_ci_u32_e64 v45, null, 0, v45, vcc_lo
	s_waitcnt vmcnt(6)
	v_fma_f64 v[38:39], v[19:20], v[60:61], v[38:39]
	v_fma_f64 v[34:35], v[48:49], v[60:61], v[34:35]
	;; [unrolled: 1-line block ×8, first 2 shown]
	v_cvt_f64_f32_e32 v[60:61], v50
	v_cvt_f64_f32_e32 v[50:51], v51
	v_fma_f64 v[38:39], -v[48:49], v[62:63], v[38:39]
	v_fma_f64 v[19:20], v[19:20], v[62:63], v[34:35]
	v_fma_f64 v[11:12], -v[11:12], v[62:63], v[40:41]
	v_fma_f64 v[34:35], v[88:89], v[62:63], v[36:37]
	;; [unrolled: 2-line block ×4, first 2 shown]
	s_waitcnt vmcnt(4)
	v_cvt_f64_f32_e32 v[40:41], v68
	v_cvt_f64_f32_e32 v[48:49], v69
	s_waitcnt vmcnt(3)
	v_cvt_f64_f32_e32 v[52:53], v72
	v_cvt_f64_f32_e32 v[56:57], v73
	;; [unrolled: 3-line block ×3, first 2 shown]
	v_fma_f64 v[36:37], v[60:61], v[64:65], v[38:39]
	v_fma_f64 v[19:20], v[50:51], v[64:65], v[19:20]
	;; [unrolled: 1-line block ×8, first 2 shown]
	v_cvt_f64_f32_e32 v[38:39], v15
	v_cvt_f64_f32_e32 v[15:16], v16
	;; [unrolled: 1-line block ×3, first 2 shown]
	v_fma_f64 v[36:37], -v[50:51], v[66:67], v[36:37]
	v_fma_f64 v[19:20], v[60:61], v[66:67], v[19:20]
	v_fma_f64 v[11:12], -v[13:14], v[66:67], v[11:12]
	v_fma_f64 v[13:14], v[94:95], v[66:67], v[34:35]
	;; [unrolled: 2-line block ×4, first 2 shown]
	v_cvt_f64_f32_e32 v[50:51], v70
	v_cvt_f64_f32_e32 v[54:55], v71
	;; [unrolled: 1-line block ×5, first 2 shown]
	s_waitcnt vmcnt(1)
	v_fma_f64 v[34:35], v[38:39], v[80:81], v[36:37]
	v_fma_f64 v[19:20], v[15:16], v[80:81], v[19:20]
	;; [unrolled: 1-line block ×8, first 2 shown]
	v_cvt_f64_f32_e32 v[36:37], v17
	v_cvt_f64_f32_e32 v[17:18], v18
	v_fma_f64 v[15:16], -v[15:16], v[82:83], v[34:35]
	v_fma_f64 v[19:20], v[38:39], v[82:83], v[19:20]
	v_fma_f64 v[11:12], -v[48:49], v[82:83], v[11:12]
	v_fma_f64 v[13:14], v[40:41], v[82:83], v[13:14]
	v_fma_f64 v[32:33], -v[56:57], v[82:83], v[32:33]
	v_fma_f64 v[30:31], v[52:53], v[82:83], v[30:31]
	v_fma_f64 v[26:27], -v[64:65], v[82:83], v[26:27]
	v_fma_f64 v[28:29], v[62:63], v[82:83], v[28:29]
	s_waitcnt vmcnt(0)
	v_fma_f64 v[15:16], v[36:37], v[84:85], v[15:16]
	v_fma_f64 v[19:20], v[17:18], v[84:85], v[19:20]
	;; [unrolled: 1-line block ×8, first 2 shown]
	v_fma_f64 v[38:39], -v[17:18], v[86:87], v[15:16]
	v_fma_f64 v[34:35], v[36:37], v[86:87], v[19:20]
	v_fma_f64 v[40:41], -v[54:55], v[86:87], v[11:12]
	v_fma_f64 v[36:37], v[50:51], v[86:87], v[13:14]
	;; [unrolled: 2-line block ×4, first 2 shown]
	s_andn2_b32 exec_lo, exec_lo, s8
	s_cbranch_execnz .LBB166_15
; %bb.16:
	s_or_b32 exec_lo, exec_lo, s8
.LBB166_17:
	s_or_b32 exec_lo, exec_lo, s1
	s_mov_b32 s8, exec_lo
	v_cmpx_lt_u32_e32 23, v9
	s_cbranch_execz .LBB166_21
; %bb.18:
	s_mov_b32 s9, 0
.LBB166_19:                             ; =>This Inner Loop Header: Depth=1
	v_ashrrev_i32_e32 v43, 31, v42
	v_lshlrev_b64 v[9:10], 2, v[42:43]
	v_add_nc_u32_e32 v42, 32, v42
	v_add_co_u32 v9, vcc_lo, s12, v9
	v_add_co_ci_u32_e64 v10, null, s13, v10, vcc_lo
	s_clause 0x1
	global_load_dword v11, v[9:10], off
	global_load_dword v12, v[9:10], off offset:32
	s_clause 0x3
	global_load_dwordx4 v[48:51], v[44:45], off
	global_load_dwordx4 v[52:55], v[44:45], off offset:32
	global_load_dwordx4 v[56:59], v[44:45], off offset:64
	;; [unrolled: 1-line block ×3, first 2 shown]
	s_clause 0x1
	global_load_dword v23, v[9:10], off offset:64
	global_load_dword v43, v[9:10], off offset:96
	s_waitcnt vmcnt(7)
	v_subrev_nc_u32_e32 v9, s2, v11
	s_waitcnt vmcnt(5)
	v_cvt_f64_f32_e32 v[180:181], v48
	v_cvt_f64_f32_e32 v[182:183], v49
	s_waitcnt vmcnt(4)
	v_cvt_f64_f32_e32 v[188:189], v52
	v_lshlrev_b32_e32 v9, 2, v9
	v_cvt_f64_f32_e32 v[52:53], v53
	s_waitcnt vmcnt(3)
	v_cvt_f64_f32_e32 v[192:193], v56
	v_cvt_f64_f32_e32 v[56:57], v57
	s_waitcnt vmcnt(2)
	v_cvt_f64_f32_e32 v[196:197], v60
	v_ashrrev_i32_e32 v10, 31, v9
	v_cvt_f64_f32_e32 v[60:61], v61
	v_cvt_f64_f32_e32 v[184:185], v50
	;; [unrolled: 1-line block ×3, first 2 shown]
	s_waitcnt vmcnt(1)
	v_subrev_nc_u32_e32 v23, s2, v23
	v_lshlrev_b64 v[9:10], 4, v[9:10]
	v_cvt_f64_f32_e32 v[190:191], v54
	v_cvt_f64_f32_e32 v[54:55], v55
	;; [unrolled: 1-line block ×3, first 2 shown]
	v_lshlrev_b32_e32 v200, 2, v23
	v_cvt_f64_f32_e32 v[58:59], v59
	v_add_co_u32 v9, vcc_lo, s6, v9
	v_add_co_ci_u32_e64 v10, null, s7, v10, vcc_lo
	v_ashrrev_i32_e32 v201, 31, v200
	v_cvt_f64_f32_e32 v[198:199], v62
	v_cvt_f64_f32_e32 v[62:63], v63
	s_clause 0x1
	global_load_dwordx4 v[64:67], v[9:10], off
	global_load_dwordx4 v[68:71], v[9:10], off offset:16
	s_clause 0x3
	global_load_dwordx4 v[72:75], v[44:45], off offset:16
	global_load_dwordx4 v[76:79], v[44:45], off offset:48
	;; [unrolled: 1-line block ×7, first 2 shown]
	s_clause 0x2
	global_load_dwordx4 v[100:103], v[44:45], off offset:1056
	global_load_dwordx4 v[104:107], v[44:45], off offset:1088
	;; [unrolled: 1-line block ×3, first 2 shown]
	v_subrev_nc_u32_e32 v9, s2, v12
	s_waitcnt vmcnt(12)
	v_subrev_nc_u32_e32 v23, s2, v43
	v_lshlrev_b32_e32 v9, 2, v9
	v_ashrrev_i32_e32 v10, 31, v9
	v_lshlrev_b64 v[9:10], 4, v[9:10]
	v_add_co_u32 v176, vcc_lo, s6, v9
	v_add_co_ci_u32_e64 v177, null, s7, v10, vcc_lo
	v_add_co_u32 v178, vcc_lo, 0x800, v44
	s_clause 0x1
	global_load_dwordx4 v[112:115], v[176:177], off
	global_load_dwordx4 v[116:119], v[176:177], off offset:16
	s_clause 0x3
	global_load_dwordx4 v[120:123], v[44:45], off offset:1040
	global_load_dwordx4 v[124:127], v[44:45], off offset:1072
	global_load_dwordx4 v[128:131], v[44:45], off offset:1104
	global_load_dwordx4 v[132:135], v[44:45], off offset:1136
	v_add_co_ci_u32_e64 v179, null, 0, v45, vcc_lo
	s_clause 0x2
	global_load_dwordx4 v[136:139], v[178:179], off offset:32
	global_load_dwordx4 v[140:143], v[178:179], off
	global_load_dwordx4 v[144:147], v[178:179], off offset:16
	global_load_dwordx4 v[148:151], v[176:177], off offset:32
	s_clause 0x8
	global_load_dwordx4 v[152:155], v[178:179], off offset:48
	global_load_dwordx4 v[156:159], v[178:179], off offset:64
	;; [unrolled: 1-line block ×10, first 2 shown]
	v_add_co_u32 v44, s1, 0x1000, v44
	v_add_co_ci_u32_e64 v45, null, 0, v45, s1
	s_waitcnt vmcnt(31)
	v_fma_f64 v[38:39], v[180:181], v[64:65], v[38:39]
	v_fma_f64 v[34:35], v[182:183], v[64:65], v[34:35]
	;; [unrolled: 1-line block ×8, first 2 shown]
	v_lshlrev_b64 v[64:65], 4, v[200:201]
	v_add_co_u32 v64, vcc_lo, s6, v64
	v_add_co_ci_u32_e64 v65, null, s7, v65, vcc_lo
	v_fma_f64 v[38:39], -v[182:183], v[66:67], v[38:39]
	v_fma_f64 v[34:35], v[180:181], v[66:67], v[34:35]
	v_fma_f64 v[40:41], -v[52:53], v[66:67], v[40:41]
	v_fma_f64 v[36:37], v[188:189], v[66:67], v[36:37]
	;; [unrolled: 2-line block ×4, first 2 shown]
	global_load_dwordx4 v[26:29], v[64:65], off
	s_waitcnt vmcnt(29)
	v_cvt_f64_f32_e32 v[182:183], v76
	v_cvt_f64_f32_e32 v[76:77], v77
	s_waitcnt vmcnt(28)
	v_cvt_f64_f32_e32 v[188:189], v80
	v_cvt_f64_f32_e32 v[80:81], v81
	;; [unrolled: 3-line block ×3, first 2 shown]
	v_fma_f64 v[38:39], v[184:185], v[68:69], v[38:39]
	v_fma_f64 v[60:61], v[186:187], v[68:69], v[34:35]
	;; [unrolled: 1-line block ×8, first 2 shown]
	v_cvt_f64_f32_e32 v[68:69], v72
	v_cvt_f64_f32_e32 v[72:73], v73
	s_clause 0x1
	global_load_dwordx4 v[30:33], v[178:179], off offset:1120
	global_load_dwordx4 v[34:37], v[178:179], off offset:1088
	v_fma_f64 v[186:187], -v[186:187], v[70:71], v[38:39]
	v_fma_f64 v[60:61], v[184:185], v[70:71], v[60:61]
	v_cvt_f64_f32_e32 v[184:185], v84
	v_fma_f64 v[54:55], -v[54:55], v[70:71], v[40:41]
	v_cvt_f64_f32_e32 v[84:85], v85
	v_fma_f64 v[66:67], v[190:191], v[70:71], v[66:67]
	v_fma_f64 v[58:59], -v[58:59], v[70:71], v[176:177]
	v_fma_f64 v[176:177], v[194:195], v[70:71], v[180:181]
	v_fma_f64 v[52:53], -v[62:63], v[70:71], v[52:53]
	v_fma_f64 v[56:57], v[198:199], v[70:71], v[56:57]
	global_load_dwordx4 v[38:41], v[64:65], off offset:16
	v_cvt_f64_f32_e32 v[62:63], v74
	v_cvt_f64_f32_e32 v[70:71], v75
	v_cvt_f64_f32_e32 v[180:181], v82
	v_cvt_f64_f32_e32 v[82:83], v83
	v_cvt_f64_f32_e32 v[190:191], v92
	v_cvt_f64_f32_e32 v[92:93], v93
	v_fma_f64 v[74:75], v[68:69], v[88:89], v[186:187]
	v_fma_f64 v[60:61], v[72:73], v[88:89], v[60:61]
	v_cvt_f64_f32_e32 v[186:187], v86
	v_fma_f64 v[54:55], v[182:183], v[88:89], v[54:55]
	v_cvt_f64_f32_e32 v[86:87], v87
	v_fma_f64 v[66:67], v[76:77], v[88:89], v[66:67]
	v_fma_f64 v[58:59], v[188:189], v[88:89], v[58:59]
	v_fma_f64 v[176:177], v[80:81], v[88:89], v[176:177]
	v_fma_f64 v[52:53], v[184:185], v[88:89], v[52:53]
	v_fma_f64 v[56:57], v[84:85], v[88:89], v[56:57]
	v_cvt_f64_f32_e32 v[88:89], v78
	v_cvt_f64_f32_e32 v[78:79], v79
	v_fma_f64 v[72:73], -v[72:73], v[90:91], v[74:75]
	v_fma_f64 v[60:61], v[68:69], v[90:91], v[60:61]
	v_fma_f64 v[68:69], -v[76:77], v[90:91], v[54:55]
	v_fma_f64 v[66:67], v[182:183], v[90:91], v[66:67]
	;; [unrolled: 2-line block ×4, first 2 shown]
	global_load_dwordx4 v[52:55], v[64:65], off offset:32
	s_waitcnt vmcnt(27)
	v_cvt_f64_f32_e32 v[80:81], v100
	v_cvt_f64_f32_e32 v[84:85], v101
	;; [unrolled: 1-line block ×3, first 2 shown]
	s_waitcnt vmcnt(26)
	v_cvt_f64_f32_e32 v[100:101], v104
	s_waitcnt vmcnt(25)
	v_cvt_f64_f32_e32 v[176:177], v108
	v_cvt_f64_f32_e32 v[108:109], v109
	;; [unrolled: 1-line block ×4, first 2 shown]
	v_fma_f64 v[72:73], v[62:63], v[96:97], v[72:73]
	v_fma_f64 v[60:61], v[70:71], v[96:97], v[60:61]
	;; [unrolled: 1-line block ×8, first 2 shown]
	v_cvt_f64_f32_e32 v[96:97], v103
	v_cvt_f64_f32_e32 v[102:103], v105
	;; [unrolled: 1-line block ×4, first 2 shown]
	v_fma_f64 v[70:71], -v[70:71], v[98:99], v[72:73]
	v_fma_f64 v[60:61], v[62:63], v[98:99], v[60:61]
	v_fma_f64 v[62:63], -v[78:79], v[98:99], v[68:69]
	v_lshlrev_b32_e32 v78, 2, v23
	v_fma_f64 v[66:67], v[88:89], v[98:99], v[66:67]
	v_fma_f64 v[68:69], -v[82:83], v[98:99], v[58:59]
	v_fma_f64 v[72:73], v[180:181], v[98:99], v[74:75]
	v_fma_f64 v[74:75], -v[86:87], v[98:99], v[76:77]
	v_fma_f64 v[76:77], v[186:187], v[98:99], v[56:57]
	global_load_dwordx4 v[56:59], v[64:65], off offset:48
	v_ashrrev_i32_e32 v79, 31, v78
	s_waitcnt vmcnt(22)
	v_cvt_f64_f32_e32 v[86:87], v124
	v_cvt_f64_f32_e32 v[88:89], v125
	s_waitcnt vmcnt(21)
	v_cvt_f64_f32_e32 v[98:99], v129
	s_waitcnt vmcnt(20)
	v_cvt_f64_f32_e32 v[124:125], v135
	v_fma_f64 v[64:65], v[190:191], v[112:113], v[70:71]
	v_fma_f64 v[60:61], v[92:93], v[112:113], v[60:61]
	;; [unrolled: 1-line block ×8, first 2 shown]
	v_lshlrev_b64 v[76:77], 4, v[78:79]
	v_cvt_f64_f32_e32 v[112:113], v123
	v_add_co_u32 v82, vcc_lo, s6, v76
	v_add_co_ci_u32_e64 v83, null, s7, v77, vcc_lo
	v_cmp_ge_i32_e32 vcc_lo, v42, v46
	v_fma_f64 v[64:65], -v[92:93], v[114:115], v[64:65]
	v_fma_f64 v[78:79], v[190:191], v[114:115], v[60:61]
	v_cvt_f64_f32_e32 v[92:93], v128
	v_fma_f64 v[84:85], -v[84:85], v[114:115], v[62:63]
	global_load_dwordx4 v[60:63], v[82:83], off
	v_fma_f64 v[66:67], v[80:81], v[114:115], v[66:67]
	v_fma_f64 v[68:69], -v[102:103], v[114:115], v[68:69]
	v_fma_f64 v[70:71], v[100:101], v[114:115], v[70:71]
	v_fma_f64 v[72:73], -v[108:109], v[114:115], v[72:73]
	v_fma_f64 v[74:75], v[176:177], v[114:115], v[74:75]
	v_cvt_f64_f32_e32 v[80:81], v120
	v_cvt_f64_f32_e32 v[100:101], v132
	;; [unrolled: 1-line block ×4, first 2 shown]
	s_or_b32 s9, vcc_lo, s9
	v_fma_f64 v[64:65], v[192:193], v[116:117], v[64:65]
	v_fma_f64 v[76:77], v[94:95], v[116:117], v[78:79]
	;; [unrolled: 1-line block ×3, first 2 shown]
	v_cvt_f64_f32_e32 v[84:85], v121
	v_fma_f64 v[66:67], v[96:97], v[116:117], v[66:67]
	v_fma_f64 v[68:69], v[104:105], v[116:117], v[68:69]
	;; [unrolled: 1-line block ×5, first 2 shown]
	v_cvt_f64_f32_e32 v[116:117], v127
	v_cvt_f64_f32_e32 v[120:121], v131
	s_waitcnt vmcnt(12)
	v_cvt_f64_f32_e32 v[126:127], v169
	v_fma_f64 v[94:95], -v[94:95], v[118:119], v[64:65]
	v_fma_f64 v[76:77], v[192:193], v[118:119], v[76:77]
	v_fma_f64 v[78:79], -v[96:97], v[118:119], v[78:79]
	v_fma_f64 v[90:91], v[90:91], v[118:119], v[66:67]
	;; [unrolled: 2-line block ×4, first 2 shown]
	global_load_dwordx4 v[64:67], v[82:83], off offset:16
	global_load_dwordx4 v[68:71], v[178:179], off offset:1104
	v_cvt_f64_f32_e32 v[110:111], v122
	v_cvt_f64_f32_e32 v[118:119], v130
	;; [unrolled: 1-line block ×3, first 2 shown]
	v_fma_f64 v[94:95], v[80:81], v[148:149], v[94:95]
	v_fma_f64 v[76:77], v[84:85], v[148:149], v[76:77]
	;; [unrolled: 1-line block ×8, first 2 shown]
	global_load_dwordx4 v[72:75], v[178:179], off offset:1136
	v_fma_f64 v[84:85], -v[84:85], v[150:151], v[94:95]
	v_fma_f64 v[80:81], v[80:81], v[150:151], v[76:77]
	v_fma_f64 v[88:89], -v[88:89], v[150:151], v[78:79]
	global_load_dwordx4 v[76:79], v[82:83], off offset:32
	v_fma_f64 v[86:87], v[86:87], v[150:151], v[90:91]
	v_fma_f64 v[90:91], -v[98:99], v[150:151], v[96:97]
	v_fma_f64 v[92:93], v[92:93], v[150:151], v[104:105]
	v_fma_f64 v[94:95], -v[102:103], v[150:151], v[106:107]
	v_fma_f64 v[96:97], v[100:101], v[150:151], v[108:109]
	v_cvt_f64_f32_e32 v[98:99], v141
	v_cvt_f64_f32_e32 v[100:101], v136
	;; [unrolled: 1-line block ×6, first 2 shown]
	s_waitcnt vmcnt(11)
	v_fma_f64 v[84:85], v[110:111], v[48:49], v[84:85]
	v_fma_f64 v[80:81], v[112:113], v[48:49], v[80:81]
	;; [unrolled: 1-line block ×8, first 2 shown]
	v_cvt_f64_f32_e32 v[96:97], v140
	v_fma_f64 v[84:85], -v[112:113], v[50:51], v[84:85]
	v_fma_f64 v[80:81], v[110:111], v[50:51], v[80:81]
	v_cvt_f64_f32_e32 v[112:113], v138
	v_fma_f64 v[88:89], -v[116:117], v[50:51], v[88:89]
	v_cvt_f64_f32_e32 v[116:117], v158
	v_fma_f64 v[86:87], v[114:115], v[50:51], v[86:87]
	v_fma_f64 v[90:91], -v[120:121], v[50:51], v[90:91]
	v_fma_f64 v[92:93], v[118:119], v[50:51], v[92:93]
	v_fma_f64 v[94:95], -v[124:125], v[50:51], v[94:95]
	v_fma_f64 v[110:111], v[122:123], v[50:51], v[48:49]
	global_load_dwordx4 v[48:51], v[82:83], off offset:48
	v_cvt_f64_f32_e32 v[114:115], v139
	v_cvt_f64_f32_e32 v[118:119], v159
	;; [unrolled: 1-line block ×4, first 2 shown]
	s_waitcnt vmcnt(11)
	v_fma_f64 v[82:83], v[96:97], v[26:27], v[84:85]
	v_fma_f64 v[80:81], v[98:99], v[26:27], v[80:81]
	v_fma_f64 v[84:85], v[100:101], v[26:27], v[88:89]
	v_fma_f64 v[86:87], v[102:103], v[26:27], v[86:87]
	v_fma_f64 v[88:89], v[104:105], v[26:27], v[90:91]
	v_fma_f64 v[90:91], v[106:107], v[26:27], v[92:93]
	v_fma_f64 v[92:93], v[108:109], v[26:27], v[94:95]
	v_fma_f64 v[26:27], v[126:127], v[26:27], v[110:111]
	v_cvt_f64_f32_e32 v[94:95], v142
	v_cvt_f64_f32_e32 v[110:111], v143
	v_fma_f64 v[82:83], -v[98:99], v[28:29], v[82:83]
	v_fma_f64 v[80:81], v[96:97], v[28:29], v[80:81]
	v_cvt_f64_f32_e32 v[96:97], v152
	v_fma_f64 v[84:85], -v[102:103], v[28:29], v[84:85]
	v_cvt_f64_f32_e32 v[98:99], v153
	v_fma_f64 v[86:87], v[100:101], v[28:29], v[86:87]
	v_fma_f64 v[88:89], -v[106:107], v[28:29], v[88:89]
	v_fma_f64 v[90:91], v[104:105], v[28:29], v[90:91]
	v_fma_f64 v[92:93], -v[126:127], v[28:29], v[92:93]
	v_fma_f64 v[26:27], v[108:109], v[28:29], v[26:27]
	v_cvt_f64_f32_e32 v[100:101], v160
	v_cvt_f64_f32_e32 v[102:103], v161
	v_cvt_f64_f32_e32 v[104:105], v164
	v_cvt_f64_f32_e32 v[106:107], v165
	v_cvt_f64_f32_e32 v[108:109], v155
	s_waitcnt vmcnt(8)
	v_fma_f64 v[28:29], v[94:95], v[38:39], v[82:83]
	v_fma_f64 v[80:81], v[110:111], v[38:39], v[80:81]
	;; [unrolled: 1-line block ×8, first 2 shown]
	v_cvt_f64_f32_e32 v[38:39], v144
	v_cvt_f64_f32_e32 v[92:93], v145
	v_fma_f64 v[28:29], -v[110:111], v[40:41], v[28:29]
	v_fma_f64 v[80:81], v[94:95], v[40:41], v[80:81]
	v_cvt_f64_f32_e32 v[94:95], v154
	v_fma_f64 v[82:83], -v[114:115], v[40:41], v[82:83]
	v_cvt_f64_f32_e32 v[110:111], v162
	v_fma_f64 v[84:85], v[112:113], v[40:41], v[84:85]
	v_fma_f64 v[86:87], -v[118:119], v[40:41], v[86:87]
	v_fma_f64 v[88:89], v[116:117], v[40:41], v[88:89]
	v_fma_f64 v[90:91], -v[122:123], v[40:41], v[90:91]
	v_fma_f64 v[26:27], v[120:121], v[40:41], v[26:27]
	v_cvt_f64_f32_e32 v[112:113], v163
	v_cvt_f64_f32_e32 v[114:115], v166
	v_cvt_f64_f32_e32 v[116:117], v167
	s_waitcnt vmcnt(7)
	v_fma_f64 v[28:29], v[38:39], v[52:53], v[28:29]
	v_fma_f64 v[40:41], v[92:93], v[52:53], v[80:81]
	v_fma_f64 v[80:81], v[96:97], v[52:53], v[82:83]
	v_fma_f64 v[82:83], v[98:99], v[52:53], v[84:85]
	v_fma_f64 v[84:85], v[100:101], v[52:53], v[86:87]
	v_fma_f64 v[86:87], v[102:103], v[52:53], v[88:89]
	v_fma_f64 v[88:89], v[104:105], v[52:53], v[90:91]
	v_fma_f64 v[26:27], v[106:107], v[52:53], v[26:27]
	v_cvt_f64_f32_e32 v[52:53], v146
	v_cvt_f64_f32_e32 v[90:91], v147
	v_fma_f64 v[28:29], -v[92:93], v[54:55], v[28:29]
	v_fma_f64 v[38:39], v[38:39], v[54:55], v[40:41]
	v_cvt_f64_f32_e32 v[92:93], v34
	v_fma_f64 v[40:41], -v[98:99], v[54:55], v[80:81]
	v_cvt_f64_f32_e32 v[34:35], v35
	v_fma_f64 v[80:81], v[96:97], v[54:55], v[82:83]
	v_fma_f64 v[82:83], -v[102:103], v[54:55], v[84:85]
	v_fma_f64 v[84:85], v[100:101], v[54:55], v[86:87]
	v_fma_f64 v[86:87], -v[106:107], v[54:55], v[88:89]
	v_fma_f64 v[26:27], v[104:105], v[54:55], v[26:27]
	v_cvt_f64_f32_e32 v[88:89], v17
	v_cvt_f64_f32_e32 v[17:18], v18
	v_cvt_f64_f32_e32 v[96:97], v30
	v_cvt_f64_f32_e32 v[30:31], v31
	s_waitcnt vmcnt(6)
	v_fma_f64 v[28:29], v[52:53], v[56:57], v[28:29]
	v_fma_f64 v[38:39], v[90:91], v[56:57], v[38:39]
	v_fma_f64 v[40:41], v[94:95], v[56:57], v[40:41]
	v_fma_f64 v[54:55], v[108:109], v[56:57], v[80:81]
	v_fma_f64 v[80:81], v[110:111], v[56:57], v[82:83]
	v_fma_f64 v[82:83], v[112:113], v[56:57], v[84:85]
	v_fma_f64 v[84:85], v[114:115], v[56:57], v[86:87]
	v_fma_f64 v[26:27], v[116:117], v[56:57], v[26:27]
	v_cvt_f64_f32_e32 v[56:57], v172
	v_cvt_f64_f32_e32 v[86:87], v173
	v_fma_f64 v[28:29], -v[90:91], v[58:59], v[28:29]
	v_fma_f64 v[38:39], v[52:53], v[58:59], v[38:39]
	v_cvt_f64_f32_e32 v[90:91], v36
	v_fma_f64 v[40:41], -v[108:109], v[58:59], v[40:41]
	v_cvt_f64_f32_e32 v[36:37], v37
	v_fma_f64 v[52:53], v[94:95], v[58:59], v[54:55]
	v_fma_f64 v[54:55], -v[112:113], v[58:59], v[80:81]
	v_fma_f64 v[80:81], v[110:111], v[58:59], v[82:83]
	v_fma_f64 v[82:83], -v[116:117], v[58:59], v[84:85]
	v_fma_f64 v[26:27], v[114:115], v[58:59], v[26:27]
	v_cvt_f64_f32_e32 v[84:85], v19
	;; [unrolled: 25-line block ×3, first 2 shown]
	v_cvt_f64_f32_e32 v[13:14], v14
	s_waitcnt vmcnt(3)
	v_cvt_f64_f32_e32 v[58:59], v68
	v_fma_f64 v[28:29], v[60:61], v[64:65], v[28:29]
	v_fma_f64 v[38:39], v[82:83], v[64:65], v[38:39]
	;; [unrolled: 1-line block ×3, first 2 shown]
	v_cvt_f64_f32_e32 v[62:63], v69
	v_fma_f64 v[40:41], v[19:20], v[64:65], v[40:41]
	v_fma_f64 v[34:35], v[90:91], v[64:65], v[34:35]
	;; [unrolled: 1-line block ×5, first 2 shown]
	s_waitcnt vmcnt(2)
	v_cvt_f64_f32_e32 v[64:65], v72
	v_cvt_f64_f32_e32 v[68:69], v73
	v_fma_f64 v[28:29], -v[82:83], v[66:67], v[28:29]
	v_fma_f64 v[38:39], v[60:61], v[66:67], v[38:39]
	v_fma_f64 v[17:18], -v[19:20], v[66:67], v[17:18]
	v_fma_f64 v[19:20], v[84:85], v[66:67], v[40:41]
	v_fma_f64 v[34:35], -v[36:37], v[66:67], v[34:35]
	v_fma_f64 v[36:37], v[90:91], v[66:67], v[52:53]
	v_fma_f64 v[30:31], -v[32:33], v[66:67], v[30:31]
	v_fma_f64 v[26:27], v[94:95], v[66:67], v[26:27]
	v_cvt_f64_f32_e32 v[40:41], v15
	v_cvt_f64_f32_e32 v[15:16], v16
	;; [unrolled: 1-line block ×8, first 2 shown]
	s_waitcnt vmcnt(1)
	v_fma_f64 v[28:29], v[54:55], v[76:77], v[28:29]
	v_fma_f64 v[32:33], v[13:14], v[76:77], v[38:39]
	;; [unrolled: 1-line block ×8, first 2 shown]
	v_fma_f64 v[13:14], -v[13:14], v[78:79], v[28:29]
	v_fma_f64 v[28:29], v[54:55], v[78:79], v[32:33]
	v_fma_f64 v[9:10], -v[9:10], v[78:79], v[17:18]
	v_fma_f64 v[17:18], v[56:57], v[78:79], v[19:20]
	;; [unrolled: 2-line block ×4, first 2 shown]
	s_waitcnt vmcnt(0)
	v_fma_f64 v[13:14], v[40:41], v[48:49], v[13:14]
	v_fma_f64 v[28:29], v[15:16], v[48:49], v[28:29]
	;; [unrolled: 1-line block ×8, first 2 shown]
	v_fma_f64 v[38:39], -v[15:16], v[50:51], v[13:14]
	v_fma_f64 v[34:35], v[40:41], v[50:51], v[28:29]
	v_fma_f64 v[40:41], -v[11:12], v[50:51], v[9:10]
	v_fma_f64 v[36:37], v[52:53], v[50:51], v[17:18]
	;; [unrolled: 2-line block ×4, first 2 shown]
	s_andn2_b32 exec_lo, exec_lo, s9
	s_cbranch_execnz .LBB166_19
; %bb.20:
	s_or_b32 exec_lo, exec_lo, s9
.LBB166_21:
	s_or_b32 exec_lo, exec_lo, s8
.LBB166_22:
	s_or_b32 exec_lo, exec_lo, s3
	s_cbranch_execz .LBB166_24
	s_branch .LBB166_35
.LBB166_23:
                                        ; implicit-def: $vgpr34_vgpr35
                                        ; implicit-def: $vgpr38_vgpr39
                                        ; implicit-def: $vgpr36_vgpr37
                                        ; implicit-def: $vgpr40_vgpr41
                                        ; implicit-def: $vgpr30_vgpr31
                                        ; implicit-def: $vgpr32_vgpr33
                                        ; implicit-def: $vgpr28_vgpr29
                                        ; implicit-def: $vgpr26_vgpr27
.LBB166_24:
	v_mov_b32_e32 v34, 0
	v_mov_b32_e32 v38, 0
	v_mov_b32_e32 v36, 0
	v_mov_b32_e32 v40, 0
	v_mov_b32_e32 v30, 0
	v_mov_b32_e32 v32, 0
	v_mov_b32_e32 v28, 0
	v_mov_b32_e32 v26, 0
	v_mov_b32_e32 v35, 0
	v_mov_b32_e32 v39, 0
	v_mov_b32_e32 v37, 0
	v_mov_b32_e32 v41, 0
	v_mov_b32_e32 v31, 0
	v_mov_b32_e32 v33, 0
	v_mov_b32_e32 v29, 0
	v_mov_b32_e32 v27, 0
	s_and_saveexec_b32 s1, s0
	s_cbranch_execz .LBB166_34
; %bb.25:
	v_add_nc_u32_e32 v9, v47, v0
	v_not_b32_e32 v10, v47
	v_mov_b32_e32 v26, 0
	v_mov_b32_e32 v28, 0
	;; [unrolled: 1-line block ×3, first 2 shown]
	v_subrev_nc_u32_e32 v9, s2, v9
	v_mov_b32_e32 v30, 0
	v_mov_b32_e32 v40, 0
	;; [unrolled: 1-line block ×4, first 2 shown]
	v_add_nc_u32_e32 v9, 8, v9
	v_mov_b32_e32 v34, 0
	v_mov_b32_e32 v27, 0
	;; [unrolled: 1-line block ×4, first 2 shown]
	v_max_i32_e32 v9, v9, v46
	v_mov_b32_e32 v31, 0
	v_mov_b32_e32 v41, 0
	;; [unrolled: 1-line block ×4, first 2 shown]
	v_add3_u32 v9, s2, v9, v10
	v_mov_b32_e32 v35, 0
	s_mov_b32 s0, exec_lo
	v_sub_nc_u32_e32 v9, v9, v0
	v_and_b32_e32 v10, 24, v9
	v_cmpx_ne_u32_e32 24, v10
	s_cbranch_execz .LBB166_29
; %bb.26:
	v_lshrrev_b32_e32 v10, 3, v9
	v_mov_b32_e32 v34, 0
	v_mov_b32_e32 v38, 0
	;; [unrolled: 1-line block ×4, first 2 shown]
	v_add_nc_u32_e32 v10, 1, v10
	v_mov_b32_e32 v30, 0
	v_mov_b32_e32 v32, 0
	;; [unrolled: 1-line block ×4, first 2 shown]
	v_and_b32_e32 v10, 3, v10
	v_mov_b32_e32 v35, 0
	v_mov_b32_e32 v39, 0
	;; [unrolled: 1-line block ×8, first 2 shown]
	v_sub_nc_u32_e32 v10, 0, v10
	s_mov_b32 s3, 0
.LBB166_27:                             ; =>This Inner Loop Header: Depth=1
	v_ashrrev_i32_e32 v23, 31, v22
	v_add_co_u32 v10, s8, v10, 1
	s_or_b32 s3, s8, s3
	v_lshlrev_b64 v[11:12], 2, v[22:23]
	v_add_nc_u32_e32 v22, 8, v22
	v_add_co_u32 v11, vcc_lo, s12, v11
	v_add_co_ci_u32_e64 v12, null, s13, v12, vcc_lo
	global_load_dword v19, v[11:12], off
	s_clause 0x1
	global_load_dwordx4 v[11:14], v[24:25], off offset:16
	global_load_dwordx4 v[15:18], v[24:25], off
	s_waitcnt vmcnt(2)
	v_subrev_nc_u32_e32 v19, s2, v19
	s_waitcnt vmcnt(1)
	v_cvt_f64_f32_e32 v[85:86], v11
	s_waitcnt vmcnt(0)
	v_cvt_f64_f32_e32 v[83:84], v17
	v_cvt_f64_f32_e32 v[17:18], v18
	;; [unrolled: 1-line block ×3, first 2 shown]
	v_lshlrev_b32_e32 v19, 2, v19
	v_cvt_f64_f32_e32 v[87:88], v13
	v_cvt_f64_f32_e32 v[13:14], v14
	v_ashrrev_i32_e32 v20, 31, v19
	v_lshlrev_b64 v[19:20], 4, v[19:20]
	v_add_co_u32 v19, vcc_lo, s6, v19
	v_add_co_ci_u32_e64 v20, null, s7, v20, vcc_lo
	s_clause 0x1
	global_load_dwordx4 v[42:45], v[19:20], off
	global_load_dwordx4 v[47:50], v[19:20], off offset:16
	s_clause 0x3
	global_load_dwordx4 v[51:54], v[24:25], off offset:32
	global_load_dwordx4 v[55:58], v[24:25], off offset:48
	;; [unrolled: 1-line block ×4, first 2 shown]
	s_clause 0x1
	global_load_dwordx4 v[67:70], v[19:20], off offset:32
	global_load_dwordx4 v[71:74], v[19:20], off offset:48
	s_clause 0x1
	global_load_dwordx4 v[75:78], v[24:25], off offset:96
	global_load_dwordx4 v[79:82], v[24:25], off offset:112
	v_cvt_f64_f32_e32 v[19:20], v15
	v_cvt_f64_f32_e32 v[15:16], v16
	v_add_co_u32 v24, vcc_lo, 0x400, v24
	v_add_co_ci_u32_e64 v25, null, 0, v25, vcc_lo
	s_waitcnt vmcnt(9)
	v_fma_f64 v[38:39], v[19:20], v[42:43], v[38:39]
	v_fma_f64 v[34:35], v[15:16], v[42:43], v[34:35]
	;; [unrolled: 1-line block ×8, first 2 shown]
	s_waitcnt vmcnt(7)
	v_cvt_f64_f32_e32 v[42:43], v51
	v_cvt_f64_f32_e32 v[51:52], v52
	;; [unrolled: 1-line block ×4, first 2 shown]
	s_waitcnt vmcnt(6)
	v_cvt_f64_f32_e32 v[91:92], v55
	v_cvt_f64_f32_e32 v[55:56], v56
	;; [unrolled: 1-line block ×4, first 2 shown]
	v_fma_f64 v[15:16], -v[15:16], v[44:45], v[38:39]
	v_fma_f64 v[19:20], v[19:20], v[44:45], v[34:35]
	v_fma_f64 v[17:18], -v[17:18], v[44:45], v[40:41]
	v_fma_f64 v[34:35], v[83:84], v[44:45], v[36:37]
	;; [unrolled: 2-line block ×4, first 2 shown]
	s_waitcnt vmcnt(5)
	v_cvt_f64_f32_e32 v[32:33], v59
	v_cvt_f64_f32_e32 v[36:37], v61
	;; [unrolled: 1-line block ×3, first 2 shown]
	s_waitcnt vmcnt(4)
	v_cvt_f64_f32_e32 v[40:41], v63
	v_cvt_f64_f32_e32 v[44:45], v64
	s_waitcnt vmcnt(0)
	v_cvt_f64_f32_e32 v[61:62], v81
	v_cvt_f64_f32_e32 v[63:64], v82
	v_fma_f64 v[15:16], v[42:43], v[47:48], v[15:16]
	v_fma_f64 v[19:20], v[51:52], v[47:48], v[19:20]
	;; [unrolled: 1-line block ×8, first 2 shown]
	v_cvt_f64_f32_e32 v[34:35], v60
	v_cvt_f64_f32_e32 v[47:48], v65
	;; [unrolled: 1-line block ×3, first 2 shown]
	v_fma_f64 v[15:16], -v[51:52], v[49:50], v[15:16]
	v_fma_f64 v[19:20], v[42:43], v[49:50], v[19:20]
	v_fma_f64 v[17:18], -v[53:54], v[49:50], v[17:18]
	v_fma_f64 v[28:29], v[89:90], v[49:50], v[28:29]
	;; [unrolled: 2-line block ×4, first 2 shown]
	v_cvt_f64_f32_e32 v[42:43], v75
	v_cvt_f64_f32_e32 v[49:50], v76
	;; [unrolled: 1-line block ×6, first 2 shown]
	v_fma_f64 v[15:16], v[32:33], v[67:68], v[15:16]
	v_fma_f64 v[19:20], v[34:35], v[67:68], v[19:20]
	;; [unrolled: 1-line block ×8, first 2 shown]
	v_fma_f64 v[15:16], -v[34:35], v[69:70], v[15:16]
	v_fma_f64 v[19:20], v[32:33], v[69:70], v[19:20]
	v_fma_f64 v[17:18], -v[38:39], v[69:70], v[17:18]
	v_fma_f64 v[28:29], v[36:37], v[69:70], v[28:29]
	;; [unrolled: 2-line block ×4, first 2 shown]
	v_fma_f64 v[15:16], v[42:43], v[71:72], v[15:16]
	v_fma_f64 v[19:20], v[49:50], v[71:72], v[19:20]
	;; [unrolled: 1-line block ×8, first 2 shown]
	v_fma_f64 v[38:39], -v[49:50], v[73:74], v[15:16]
	v_fma_f64 v[34:35], v[42:43], v[73:74], v[19:20]
	v_fma_f64 v[40:41], -v[53:54], v[73:74], v[17:18]
	v_fma_f64 v[36:37], v[51:52], v[73:74], v[28:29]
	;; [unrolled: 2-line block ×4, first 2 shown]
	s_andn2_b32 exec_lo, exec_lo, s3
	s_cbranch_execnz .LBB166_27
; %bb.28:
	s_or_b32 exec_lo, exec_lo, s3
.LBB166_29:
	s_or_b32 exec_lo, exec_lo, s0
	s_mov_b32 s3, exec_lo
	v_cmpx_lt_u32_e32 23, v9
	s_cbranch_execz .LBB166_33
; %bb.30:
	s_mov_b32 s8, 0
.LBB166_31:                             ; =>This Inner Loop Header: Depth=1
	v_ashrrev_i32_e32 v23, 31, v22
	v_lshlrev_b64 v[9:10], 2, v[22:23]
	v_add_nc_u32_e32 v22, 32, v22
	v_add_co_u32 v47, vcc_lo, s12, v9
	v_add_co_ci_u32_e64 v48, null, s13, v10, vcc_lo
	s_clause 0x1
	global_load_dword v23, v[47:48], off
	global_load_dword v89, v[47:48], off offset:32
	s_clause 0x3
	global_load_dwordx4 v[9:12], v[24:25], off
	global_load_dwordx4 v[13:16], v[24:25], off offset:16
	global_load_dwordx4 v[17:20], v[24:25], off offset:32
	;; [unrolled: 1-line block ×3, first 2 shown]
	s_clause 0x1
	global_load_dword v167, v[47:48], off offset:64
	global_load_dword v168, v[47:48], off offset:96
	s_waitcnt vmcnt(7)
	v_subrev_nc_u32_e32 v23, s2, v23
	s_waitcnt vmcnt(5)
	v_cvt_f64_f32_e32 v[139:140], v9
	v_cvt_f64_f32_e32 v[141:142], v10
	v_cvt_f64_f32_e32 v[143:144], v11
	v_lshlrev_b32_e32 v47, 2, v23
	v_subrev_nc_u32_e32 v23, s2, v89
	v_cvt_f64_f32_e32 v[145:146], v12
	s_waitcnt vmcnt(3)
	v_cvt_f64_f32_e32 v[155:156], v17
	v_cvt_f64_f32_e32 v[157:158], v18
	v_ashrrev_i32_e32 v48, 31, v47
	v_lshlrev_b32_e32 v89, 2, v23
	v_cvt_f64_f32_e32 v[159:160], v19
	v_cvt_f64_f32_e32 v[161:162], v20
	;; [unrolled: 1-line block ×3, first 2 shown]
	v_lshlrev_b64 v[47:48], 4, v[47:48]
	v_ashrrev_i32_e32 v90, 31, v89
	v_cvt_f64_f32_e32 v[149:150], v14
	v_cvt_f64_f32_e32 v[151:152], v15
	;; [unrolled: 1-line block ×3, first 2 shown]
	s_waitcnt vmcnt(1)
	v_subrev_nc_u32_e32 v23, s2, v167
	v_add_co_u32 v87, vcc_lo, s6, v47
	v_add_co_ci_u32_e64 v88, null, s7, v48, vcc_lo
	v_lshlrev_b64 v[90:91], 4, v[89:90]
	v_cvt_f64_f32_e32 v[163:164], v42
	v_cvt_f64_f32_e32 v[42:43], v43
	s_clause 0x1
	global_load_dwordx4 v[47:50], v[87:88], off
	global_load_dwordx4 v[51:54], v[87:88], off offset:16
	s_clause 0x2
	global_load_dwordx4 v[55:58], v[24:25], off offset:64
	global_load_dwordx4 v[59:62], v[24:25], off offset:80
	;; [unrolled: 1-line block ×4, first 2 shown]
	s_clause 0x3
	global_load_dwordx4 v[71:74], v[24:25], off offset:112
	global_load_dwordx4 v[75:78], v[24:25], off offset:1024
	;; [unrolled: 1-line block ×4, first 2 shown]
	v_cvt_f64_f32_e32 v[165:166], v44
	v_cvt_f64_f32_e32 v[44:45], v45
	v_add_co_u32 v135, vcc_lo, s6, v90
	global_load_dwordx4 v[87:90], v[87:88], off offset:48
	v_add_co_ci_u32_e64 v136, null, s7, v91, vcc_lo
	global_load_dwordx4 v[91:94], v[135:136], off
	global_load_dwordx4 v[95:98], v[24:25], off offset:1072
	v_add_co_u32 v137, vcc_lo, 0x800, v24
	v_add_co_ci_u32_e64 v138, null, 0, v25, vcc_lo
	s_clause 0x8
	global_load_dwordx4 v[99:102], v[24:25], off offset:1088
	global_load_dwordx4 v[103:106], v[24:25], off offset:1104
	;; [unrolled: 1-line block ×4, first 2 shown]
	global_load_dwordx4 v[115:118], v[137:138], off
	global_load_dwordx4 v[119:122], v[137:138], off offset:16
	global_load_dwordx4 v[123:126], v[137:138], off offset:32
	;; [unrolled: 1-line block ×5, first 2 shown]
	v_add_co_u32 v24, s0, 0x1000, v24
	global_load_dwordx4 v[13:16], v[137:138], off offset:80
	v_add_co_ci_u32_e64 v25, null, 0, v25, s0
	s_waitcnt vmcnt(23)
	v_fma_f64 v[17:18], v[139:140], v[47:48], v[38:39]
	v_fma_f64 v[19:20], v[141:142], v[47:48], v[34:35]
	;; [unrolled: 1-line block ×8, first 2 shown]
	v_lshlrev_b32_e32 v47, 2, v23
	v_subrev_nc_u32_e32 v23, s2, v168
	v_ashrrev_i32_e32 v48, 31, v47
	v_lshlrev_b64 v[47:48], 4, v[47:48]
	v_fma_f64 v[38:39], -v[141:142], v[49:50], v[17:18]
	v_fma_f64 v[139:140], v[139:140], v[49:50], v[19:20]
	global_load_dwordx4 v[17:20], v[135:136], off offset:32
	v_fma_f64 v[40:41], -v[145:146], v[49:50], v[34:35]
	v_fma_f64 v[143:144], v[143:144], v[49:50], v[36:37]
	global_load_dwordx4 v[34:37], v[135:136], off offset:48
	v_fma_f64 v[32:33], -v[149:150], v[49:50], v[32:33]
	v_fma_f64 v[30:31], v[147:148], v[49:50], v[30:31]
	v_fma_f64 v[145:146], -v[153:154], v[49:50], v[26:27]
	v_fma_f64 v[49:50], v[151:152], v[49:50], v[28:29]
	v_add_co_u32 v135, vcc_lo, s6, v47
	v_add_co_ci_u32_e64 v136, null, s7, v48, vcc_lo
	s_waitcnt vmcnt(23)
	v_cvt_f64_f32_e32 v[141:142], v55
	v_cvt_f64_f32_e32 v[55:56], v56
	s_waitcnt vmcnt(22)
	v_cvt_f64_f32_e32 v[149:150], v59
	global_load_dwordx4 v[26:29], v[135:136], off
	v_cvt_f64_f32_e32 v[59:60], v60
	v_cvt_f64_f32_e32 v[151:152], v61
	;; [unrolled: 1-line block ×3, first 2 shown]
	v_fma_f64 v[38:39], v[155:156], v[51:52], v[38:39]
	v_fma_f64 v[47:48], v[157:158], v[51:52], v[139:140]
	;; [unrolled: 1-line block ×8, first 2 shown]
	v_cvt_f64_f32_e32 v[51:52], v57
	v_cvt_f64_f32_e32 v[57:58], v58
	global_load_dwordx4 v[30:33], v[137:138], off offset:96
	v_fma_f64 v[153:154], -v[157:158], v[53:54], v[38:39]
	v_fma_f64 v[47:48], v[155:156], v[53:54], v[47:48]
	s_waitcnt vmcnt(23)
	v_cvt_f64_f32_e32 v[155:156], v63
	v_fma_f64 v[157:158], -v[161:162], v[53:54], v[40:41]
	v_fma_f64 v[139:140], v[159:160], v[53:54], v[139:140]
	global_load_dwordx4 v[38:41], v[135:136], off offset:16
	v_fma_f64 v[42:43], -v[42:43], v[53:54], v[143:144]
	v_fma_f64 v[143:144], v[163:164], v[53:54], v[147:148]
	v_fma_f64 v[44:45], -v[44:45], v[53:54], v[145:146]
	v_fma_f64 v[49:50], v[165:166], v[53:54], v[49:50]
	v_cvt_f64_f32_e32 v[63:64], v64
	v_cvt_f64_f32_e32 v[159:160], v65
	;; [unrolled: 1-line block ×3, first 2 shown]
	s_waitcnt vmcnt(22)
	v_cvt_f64_f32_e32 v[145:146], v71
	s_waitcnt vmcnt(21)
	v_cvt_f64_f32_e32 v[161:162], v75
	v_cvt_f64_f32_e32 v[75:76], v76
	;; [unrolled: 1-line block ×4, first 2 shown]
	v_fma_f64 v[53:54], v[141:142], v[67:68], v[153:154]
	v_fma_f64 v[47:48], v[55:56], v[67:68], v[47:48]
	;; [unrolled: 1-line block ×8, first 2 shown]
	v_cvt_f64_f32_e32 v[67:68], v72
	v_cvt_f64_f32_e32 v[71:72], v73
	;; [unrolled: 1-line block ×3, first 2 shown]
	global_load_dwordx4 v[42:45], v[137:138], off offset:112
	v_fma_f64 v[53:54], -v[55:56], v[69:70], v[53:54]
	v_fma_f64 v[55:56], v[141:142], v[69:70], v[47:48]
	s_waitcnt vmcnt(21)
	v_cvt_f64_f32_e32 v[141:142], v79
	v_fma_f64 v[57:58], -v[57:58], v[69:70], v[147:148]
	v_fma_f64 v[51:52], v[51:52], v[69:70], v[139:140]
	v_cvt_f64_f32_e32 v[79:80], v80
	v_fma_f64 v[59:60], -v[59:60], v[69:70], v[153:154]
	v_fma_f64 v[139:140], v[149:150], v[69:70], v[143:144]
	v_fma_f64 v[61:62], -v[61:62], v[69:70], v[157:158]
	v_fma_f64 v[69:70], v[151:152], v[69:70], v[49:50]
	global_load_dwordx4 v[47:50], v[135:136], off offset:32
	v_cvt_f64_f32_e32 v[143:144], v81
	v_cvt_f64_f32_e32 v[81:82], v82
	s_waitcnt vmcnt(21)
	v_cvt_f64_f32_e32 v[149:150], v85
	v_cvt_f64_f32_e32 v[85:86], v86
	s_waitcnt vmcnt(18)
	v_cvt_f64_f32_e32 v[151:152], v95
	v_cvt_f64_f32_e32 v[95:96], v96
	;; [unrolled: 1-line block ×4, first 2 shown]
	v_fma_f64 v[53:54], v[155:156], v[87:88], v[53:54]
	v_fma_f64 v[55:56], v[63:64], v[87:88], v[55:56]
	;; [unrolled: 1-line block ×8, first 2 shown]
	v_cvt_f64_f32_e32 v[87:88], v83
	v_cvt_f64_f32_e32 v[83:84], v84
	v_fma_f64 v[63:64], -v[63:64], v[89:90], v[53:54]
	v_fma_f64 v[155:156], v[155:156], v[89:90], v[55:56]
	global_load_dwordx4 v[51:54], v[137:138], off offset:1040
	v_fma_f64 v[65:66], -v[65:66], v[89:90], v[57:58]
	v_fma_f64 v[147:148], v[159:160], v[89:90], v[147:148]
	global_load_dwordx4 v[55:58], v[137:138], off offset:1024
	v_fma_f64 v[67:68], -v[67:68], v[89:90], v[59:60]
	v_fma_f64 v[139:140], v[145:146], v[89:90], v[139:140]
	v_fma_f64 v[73:74], -v[73:74], v[89:90], v[61:62]
	v_fma_f64 v[69:70], v[71:72], v[89:90], v[69:70]
	global_load_dwordx4 v[59:62], v[135:136], off offset:48
	v_lshlrev_b32_e32 v71, 2, v23
	s_waitcnt vmcnt(19)
	v_cvt_f64_f32_e32 v[145:146], v103
	v_cvt_f64_f32_e32 v[103:104], v104
	v_ashrrev_i32_e32 v72, 31, v71
	v_lshlrev_b64 v[71:72], 4, v[71:72]
	v_fma_f64 v[63:64], v[161:162], v[91:92], v[63:64]
	v_fma_f64 v[89:90], v[75:76], v[91:92], v[155:156]
	;; [unrolled: 1-line block ×4, first 2 shown]
	v_cvt_f64_f32_e32 v[147:148], v105
	v_fma_f64 v[67:68], v[141:142], v[91:92], v[67:68]
	v_fma_f64 v[139:140], v[79:80], v[91:92], v[139:140]
	;; [unrolled: 1-line block ×4, first 2 shown]
	v_add_co_u32 v91, vcc_lo, s6, v71
	v_add_co_ci_u32_e64 v92, null, s7, v72, vcc_lo
	v_cvt_f64_f32_e32 v[105:106], v106
	v_cmp_ge_i32_e32 vcc_lo, v22, v46
	s_or_b32 s8, vcc_lo, s8
	v_fma_f64 v[75:76], -v[75:76], v[93:94], v[63:64]
	v_fma_f64 v[89:90], v[161:162], v[93:94], v[89:90]
	v_fma_f64 v[77:78], -v[77:78], v[93:94], v[65:66]
	v_fma_f64 v[135:136], v[163:164], v[93:94], v[135:136]
	;; [unrolled: 2-line block ×4, first 2 shown]
	global_load_dwordx4 v[63:66], v[91:92], off
	global_load_dwordx4 v[67:70], v[137:138], off offset:1056
	v_cvt_f64_f32_e32 v[141:142], v99
	v_cvt_f64_f32_e32 v[99:100], v100
	;; [unrolled: 1-line block ×4, first 2 shown]
	s_waitcnt vmcnt(13)
	v_fma_f64 v[75:76], v[87:88], v[9:10], v[75:76]
	v_fma_f64 v[89:90], v[83:84], v[9:10], v[89:90]
	;; [unrolled: 1-line block ×8, first 2 shown]
	global_load_dwordx4 v[71:74], v[137:138], off offset:1072
	v_fma_f64 v[81:82], -v[83:84], v[11:12], v[75:76]
	v_fma_f64 v[83:84], v[87:88], v[11:12], v[89:90]
	v_fma_f64 v[85:86], -v[85:86], v[11:12], v[77:78]
	v_fma_f64 v[87:88], v[149:150], v[11:12], v[93:94]
	v_cvt_f64_f32_e32 v[149:150], v111
	v_fma_f64 v[79:80], -v[95:96], v[11:12], v[79:80]
	v_fma_f64 v[89:90], v[151:152], v[11:12], v[135:136]
	v_fma_f64 v[93:94], -v[97:98], v[11:12], v[139:140]
	v_fma_f64 v[95:96], v[153:154], v[11:12], v[9:10]
	global_load_dwordx4 v[9:12], v[91:92], off offset:16
	global_load_dwordx4 v[75:78], v[137:138], off offset:1088
	v_cvt_f64_f32_e32 v[139:140], v109
	v_cvt_f64_f32_e32 v[109:110], v110
	;; [unrolled: 1-line block ×5, first 2 shown]
	s_waitcnt vmcnt(14)
	v_fma_f64 v[97:98], v[141:142], v[17:18], v[81:82]
	v_fma_f64 v[83:84], v[99:100], v[17:18], v[83:84]
	;; [unrolled: 1-line block ×8, first 2 shown]
	global_load_dwordx4 v[79:82], v[137:138], off offset:1104
	v_cvt_f64_f32_e32 v[95:96], v107
	v_cvt_f64_f32_e32 v[107:108], v108
	v_fma_f64 v[97:98], -v[99:100], v[19:20], v[97:98]
	v_fma_f64 v[99:100], v[141:142], v[19:20], v[83:84]
	v_fma_f64 v[101:102], -v[101:102], v[19:20], v[85:86]
	v_fma_f64 v[141:142], v[143:144], v[19:20], v[87:88]
	v_fma_f64 v[103:104], -v[103:104], v[19:20], v[135:136]
	v_fma_f64 v[135:136], v[145:146], v[19:20], v[89:90]
	v_fma_f64 v[93:94], -v[105:106], v[19:20], v[93:94]
	v_fma_f64 v[105:106], v[147:148], v[19:20], v[17:18]
	s_clause 0x1
	global_load_dwordx4 v[17:20], v[91:92], off offset:32
	global_load_dwordx4 v[83:86], v[91:92], off offset:48
	;; [unrolled: 1-line block ×3, first 2 shown]
	v_cvt_f64_f32_e32 v[145:146], v119
	v_cvt_f64_f32_e32 v[119:120], v120
	;; [unrolled: 1-line block ×4, first 2 shown]
	s_waitcnt vmcnt(17)
	v_fma_f64 v[97:98], v[95:96], v[34:35], v[97:98]
	v_fma_f64 v[99:100], v[107:108], v[34:35], v[99:100]
	;; [unrolled: 1-line block ×8, first 2 shown]
	global_load_dwordx4 v[91:94], v[137:138], off offset:1136
	v_cvt_f64_f32_e32 v[105:106], v115
	v_cvt_f64_f32_e32 v[115:116], v116
	;; [unrolled: 1-line block ×4, first 2 shown]
	v_fma_f64 v[97:98], -v[107:108], v[36:37], v[97:98]
	v_fma_f64 v[95:96], v[95:96], v[36:37], v[99:100]
	v_fma_f64 v[99:100], -v[109:110], v[36:37], v[101:102]
	v_fma_f64 v[101:102], v[139:140], v[36:37], v[141:142]
	;; [unrolled: 2-line block ×4, first 2 shown]
	v_cvt_f64_f32_e32 v[111:112], v125
	v_cvt_f64_f32_e32 v[113:114], v126
	;; [unrolled: 1-line block ×3, first 2 shown]
	s_waitcnt vmcnt(17)
	v_fma_f64 v[36:37], v[105:106], v[26:27], v[97:98]
	v_fma_f64 v[95:96], v[115:116], v[26:27], v[95:96]
	;; [unrolled: 1-line block ×8, first 2 shown]
	v_cvt_f64_f32_e32 v[34:35], v123
	v_cvt_f64_f32_e32 v[109:110], v124
	v_cvt_f64_f32_e32 v[123:124], v127
	v_cvt_f64_f32_e32 v[127:128], v129
	v_cvt_f64_f32_e32 v[129:130], v130
	v_fma_f64 v[36:37], -v[115:116], v[28:29], v[36:37]
	v_fma_f64 v[95:96], v[105:106], v[28:29], v[95:96]
	v_fma_f64 v[97:98], -v[117:118], v[28:29], v[97:98]
	v_fma_f64 v[99:100], v[137:138], v[28:29], v[99:100]
	;; [unrolled: 2-line block ×4, first 2 shown]
	v_cvt_f64_f32_e32 v[107:108], v133
	v_cvt_f64_f32_e32 v[115:116], v134
	;; [unrolled: 1-line block ×6, first 2 shown]
	s_waitcnt vmcnt(15)
	v_fma_f64 v[28:29], v[34:35], v[38:39], v[36:37]
	v_fma_f64 v[36:37], v[109:110], v[38:39], v[95:96]
	;; [unrolled: 1-line block ×8, first 2 shown]
	v_cvt_f64_f32_e32 v[38:39], v131
	v_cvt_f64_f32_e32 v[105:106], v132
	v_fma_f64 v[28:29], -v[109:110], v[40:41], v[28:29]
	v_fma_f64 v[34:35], v[34:35], v[40:41], v[36:37]
	v_fma_f64 v[36:37], -v[113:114], v[40:41], v[95:96]
	v_fma_f64 v[95:96], v[111:112], v[40:41], v[97:98]
	v_fma_f64 v[97:98], -v[125:126], v[40:41], v[99:100]
	v_fma_f64 v[99:100], v[123:124], v[40:41], v[101:102]
	v_fma_f64 v[101:102], -v[129:130], v[40:41], v[103:104]
	v_fma_f64 v[26:27], v[127:128], v[40:41], v[26:27]
	s_waitcnt vmcnt(14)
	v_cvt_f64_f32_e32 v[103:104], v42
	v_cvt_f64_f32_e32 v[42:43], v43
	;; [unrolled: 1-line block ×4, first 2 shown]
	s_waitcnt vmcnt(13)
	v_fma_f64 v[28:29], v[38:39], v[47:48], v[28:29]
	v_fma_f64 v[34:35], v[105:106], v[47:48], v[34:35]
	;; [unrolled: 1-line block ×8, first 2 shown]
	v_cvt_f64_f32_e32 v[47:48], v30
	v_cvt_f64_f32_e32 v[30:31], v31
	;; [unrolled: 1-line block ×4, first 2 shown]
	v_fma_f64 v[28:29], -v[105:106], v[49:50], v[28:29]
	v_fma_f64 v[34:35], v[38:39], v[49:50], v[34:35]
	v_fma_f64 v[36:37], -v[115:116], v[49:50], v[36:37]
	v_fma_f64 v[38:39], v[107:108], v[49:50], v[40:41]
	;; [unrolled: 2-line block ×4, first 2 shown]
	s_waitcnt vmcnt(11)
	v_cvt_f64_f32_e32 v[49:50], v55
	v_cvt_f64_f32_e32 v[55:56], v56
	;; [unrolled: 1-line block ×6, first 2 shown]
	s_waitcnt vmcnt(10)
	v_fma_f64 v[28:29], v[47:48], v[59:60], v[28:29]
	v_fma_f64 v[34:35], v[30:31], v[59:60], v[34:35]
	;; [unrolled: 1-line block ×8, first 2 shown]
	v_cvt_f64_f32_e32 v[59:60], v57
	v_cvt_f64_f32_e32 v[57:58], v58
	v_fma_f64 v[28:29], -v[30:31], v[61:62], v[28:29]
	v_fma_f64 v[30:31], v[47:48], v[61:62], v[34:35]
	v_fma_f64 v[32:33], -v[32:33], v[61:62], v[36:37]
	v_fma_f64 v[34:35], v[101:102], v[61:62], v[38:39]
	;; [unrolled: 2-line block ×4, first 2 shown]
	s_waitcnt vmcnt(8)
	v_cvt_f64_f32_e32 v[38:39], v67
	v_cvt_f64_f32_e32 v[40:41], v68
	v_cvt_f64_f32_e32 v[42:43], v69
	v_cvt_f64_f32_e32 v[44:45], v70
	s_waitcnt vmcnt(7)
	v_cvt_f64_f32_e32 v[47:48], v71
	v_cvt_f64_f32_e32 v[61:62], v72
	;; [unrolled: 1-line block ×3, first 2 shown]
	v_fma_f64 v[28:29], v[49:50], v[63:64], v[28:29]
	v_fma_f64 v[30:31], v[55:56], v[63:64], v[30:31]
	v_fma_f64 v[32:33], v[59:60], v[63:64], v[32:33]
	v_fma_f64 v[34:35], v[57:58], v[63:64], v[34:35]
	v_fma_f64 v[13:14], v[95:96], v[63:64], v[13:14]
	v_fma_f64 v[36:37], v[51:52], v[63:64], v[36:37]
	v_fma_f64 v[15:16], v[97:98], v[63:64], v[15:16]
	v_fma_f64 v[26:27], v[53:54], v[63:64], v[26:27]
	v_cvt_f64_f32_e32 v[63:64], v73
	v_fma_f64 v[28:29], -v[55:56], v[65:66], v[28:29]
	v_fma_f64 v[30:31], v[49:50], v[65:66], v[30:31]
	v_fma_f64 v[32:33], -v[57:58], v[65:66], v[32:33]
	v_fma_f64 v[34:35], v[59:60], v[65:66], v[34:35]
	;; [unrolled: 2-line block ×4, first 2 shown]
	s_waitcnt vmcnt(5)
	v_cvt_f64_f32_e32 v[49:50], v76
	v_cvt_f64_f32_e32 v[51:52], v77
	;; [unrolled: 1-line block ×3, first 2 shown]
	v_fma_f64 v[28:29], v[38:39], v[9:10], v[28:29]
	v_fma_f64 v[30:31], v[40:41], v[9:10], v[30:31]
	;; [unrolled: 1-line block ×8, first 2 shown]
	v_cvt_f64_f32_e32 v[26:27], v75
	s_waitcnt vmcnt(4)
	v_cvt_f64_f32_e32 v[55:56], v79
	v_cvt_f64_f32_e32 v[57:58], v80
	;; [unrolled: 1-line block ×4, first 2 shown]
	v_fma_f64 v[28:29], -v[40:41], v[11:12], v[28:29]
	v_fma_f64 v[30:31], v[38:39], v[11:12], v[30:31]
	v_fma_f64 v[32:33], -v[44:45], v[11:12], v[32:33]
	v_fma_f64 v[34:35], v[42:43], v[11:12], v[34:35]
	;; [unrolled: 2-line block ×4, first 2 shown]
	s_waitcnt vmcnt(1)
	v_cvt_f64_f32_e32 v[42:43], v89
	v_cvt_f64_f32_e32 v[40:41], v90
	v_fma_f64 v[11:12], v[26:27], v[17:18], v[28:29]
	v_fma_f64 v[28:29], v[49:50], v[17:18], v[30:31]
	;; [unrolled: 1-line block ×8, first 2 shown]
	v_cvt_f64_f32_e32 v[17:18], v87
	v_cvt_f64_f32_e32 v[36:37], v88
	s_waitcnt vmcnt(0)
	v_cvt_f64_f32_e32 v[44:45], v91
	v_cvt_f64_f32_e32 v[47:48], v92
	v_cvt_f64_f32_e32 v[61:62], v93
	v_cvt_f64_f32_e32 v[63:64], v94
	v_fma_f64 v[11:12], -v[49:50], v[19:20], v[11:12]
	v_fma_f64 v[26:27], v[26:27], v[19:20], v[28:29]
	v_fma_f64 v[28:29], -v[53:54], v[19:20], v[30:31]
	v_fma_f64 v[30:31], v[51:52], v[19:20], v[32:33]
	;; [unrolled: 2-line block ×4, first 2 shown]
	v_fma_f64 v[11:12], v[17:18], v[83:84], v[11:12]
	v_fma_f64 v[19:20], v[36:37], v[83:84], v[26:27]
	;; [unrolled: 1-line block ×8, first 2 shown]
	v_fma_f64 v[38:39], -v[36:37], v[85:86], v[11:12]
	v_fma_f64 v[34:35], v[17:18], v[85:86], v[19:20]
	v_fma_f64 v[40:41], -v[40:41], v[85:86], v[26:27]
	v_fma_f64 v[36:37], v[42:43], v[85:86], v[28:29]
	;; [unrolled: 2-line block ×4, first 2 shown]
	s_andn2_b32 exec_lo, exec_lo, s8
	s_cbranch_execnz .LBB166_31
; %bb.32:
	s_or_b32 exec_lo, exec_lo, s8
.LBB166_33:
	s_or_b32 exec_lo, exec_lo, s3
.LBB166_34:
	s_or_b32 exec_lo, exec_lo, s1
.LBB166_35:
	v_mbcnt_lo_u32_b32 v42, -1, 0
	v_xor_b32_e32 v9, 4, v42
	v_cmp_gt_i32_e32 vcc_lo, 32, v9
	v_cndmask_b32_e32 v9, v42, v9, vcc_lo
	v_lshlrev_b32_e32 v25, 2, v9
	ds_bpermute_b32 v9, v25, v38
	ds_bpermute_b32 v10, v25, v39
	;; [unrolled: 1-line block ×16, first 2 shown]
	s_waitcnt lgkmcnt(14)
	v_add_f64 v[9:10], v[38:39], v[9:10]
	s_waitcnt lgkmcnt(12)
	v_add_f64 v[11:12], v[34:35], v[11:12]
	v_xor_b32_e32 v34, 2, v42
	s_waitcnt lgkmcnt(10)
	v_add_f64 v[13:14], v[40:41], v[13:14]
	s_waitcnt lgkmcnt(8)
	v_add_f64 v[15:16], v[36:37], v[15:16]
	s_waitcnt lgkmcnt(6)
	v_add_f64 v[17:18], v[32:33], v[17:18]
	v_cmp_gt_i32_e32 vcc_lo, 32, v34
	s_waitcnt lgkmcnt(4)
	v_add_f64 v[19:20], v[30:31], v[19:20]
	s_waitcnt lgkmcnt(2)
	v_add_f64 v[22:23], v[26:27], v[22:23]
	;; [unrolled: 2-line block ×3, first 2 shown]
	v_cndmask_b32_e32 v30, v42, v34, vcc_lo
	v_lshlrev_b32_e32 v41, 2, v30
	ds_bpermute_b32 v24, v41, v9
	ds_bpermute_b32 v25, v41, v10
	;; [unrolled: 1-line block ×16, first 2 shown]
	s_waitcnt lgkmcnt(14)
	v_add_f64 v[9:10], v[9:10], v[24:25]
	s_waitcnt lgkmcnt(12)
	v_add_f64 v[28:29], v[11:12], v[28:29]
	;; [unrolled: 2-line block ×3, first 2 shown]
	v_xor_b32_e32 v30, 1, v42
	s_waitcnt lgkmcnt(8)
	v_add_f64 v[24:25], v[15:16], v[32:33]
	s_waitcnt lgkmcnt(6)
	v_add_f64 v[13:14], v[17:18], v[34:35]
	;; [unrolled: 2-line block ×3, first 2 shown]
	v_cmp_gt_i32_e32 vcc_lo, 32, v30
	s_waitcnt lgkmcnt(2)
	v_add_f64 v[15:16], v[22:23], v[38:39]
	s_waitcnt lgkmcnt(0)
	v_add_f64 v[19:20], v[26:27], v[40:41]
	v_cndmask_b32_e32 v30, v42, v30, vcc_lo
	v_cmp_eq_u32_e32 vcc_lo, 7, v0
	v_lshlrev_b32_e32 v35, 2, v30
	ds_bpermute_b32 v22, v35, v9
	ds_bpermute_b32 v23, v35, v10
	;; [unrolled: 1-line block ×16, first 2 shown]
	s_and_b32 exec_lo, exec_lo, vcc_lo
	s_cbranch_execz .LBB166_8
; %bb.36:
	s_waitcnt lgkmcnt(12)
	v_add_f64 v[28:29], v[28:29], v[40:41]
	s_waitcnt lgkmcnt(8)
	v_add_f64 v[24:25], v[24:25], v[38:39]
	;; [unrolled: 2-line block ×4, first 2 shown]
	v_add_f64 v[9:10], v[9:10], v[22:23]
	v_add_f64 v[11:12], v[11:12], v[26:27]
	;; [unrolled: 1-line block ×4, first 2 shown]
	v_cmp_eq_f64_e32 vcc_lo, 0, v[1:2]
	v_cmp_eq_f64_e64 s0, 0, v[3:4]
	s_load_dwordx2 s[2:3], s[4:5], 0x60
	v_lshlrev_b32_e32 v21, 2, v21
	v_mul_f64 v[13:14], v[28:29], -v[7:8]
	v_mul_f64 v[15:16], v[5:6], v[28:29]
	v_mul_f64 v[28:29], v[24:25], -v[7:8]
	v_mul_f64 v[24:25], v[5:6], v[24:25]
	;; [unrolled: 2-line block ×4, first 2 shown]
	s_and_b32 s0, vcc_lo, s0
	v_fma_f64 v[17:18], v[5:6], v[9:10], v[13:14]
	v_fma_f64 v[19:20], v[7:8], v[9:10], v[15:16]
	;; [unrolled: 1-line block ×8, first 2 shown]
	s_and_saveexec_b32 s1, s0
	s_xor_b32 s0, exec_lo, s1
	s_cbranch_execz .LBB166_38
; %bb.37:
	v_ashrrev_i32_e32 v22, 31, v21
	v_lshlrev_b64 v[0:1], 4, v[21:22]
                                        ; implicit-def: $vgpr21
	s_waitcnt lgkmcnt(0)
	v_add_co_u32 v0, vcc_lo, s2, v0
	v_add_co_ci_u32_e64 v1, null, s3, v1, vcc_lo
	global_store_dwordx4 v[0:1], v[17:20], off
	global_store_dwordx4 v[0:1], v[13:16], off offset:16
	global_store_dwordx4 v[0:1], v[9:12], off offset:32
	;; [unrolled: 1-line block ×3, first 2 shown]
                                        ; implicit-def: $vgpr3_vgpr4
                                        ; implicit-def: $vgpr17_vgpr18
                                        ; implicit-def: $vgpr13_vgpr14
                                        ; implicit-def: $vgpr9_vgpr10
                                        ; implicit-def: $vgpr5_vgpr6
.LBB166_38:
	s_andn2_saveexec_b32 s0, s0
	s_cbranch_execz .LBB166_8
; %bb.39:
	v_ashrrev_i32_e32 v22, 31, v21
	v_lshlrev_b64 v[21:22], 4, v[21:22]
	s_waitcnt lgkmcnt(0)
	v_add_co_u32 v37, vcc_lo, s2, v21
	v_add_co_ci_u32_e64 v38, null, s3, v22, vcc_lo
	s_clause 0x3
	global_load_dwordx4 v[21:24], v[37:38], off
	global_load_dwordx4 v[25:28], v[37:38], off offset:16
	global_load_dwordx4 v[29:32], v[37:38], off offset:32
	;; [unrolled: 1-line block ×3, first 2 shown]
	s_waitcnt vmcnt(3)
	v_fma_f64 v[17:18], v[1:2], v[21:22], v[17:18]
	v_fma_f64 v[19:20], v[3:4], v[21:22], v[19:20]
	s_waitcnt vmcnt(2)
	v_fma_f64 v[13:14], v[1:2], v[25:26], v[13:14]
	v_fma_f64 v[15:16], v[3:4], v[25:26], v[15:16]
	;; [unrolled: 3-line block ×4, first 2 shown]
	v_fma_f64 v[5:6], -v[3:4], v[23:24], v[17:18]
	v_fma_f64 v[7:8], v[1:2], v[23:24], v[19:20]
	v_fma_f64 v[9:10], -v[3:4], v[27:28], v[13:14]
	v_fma_f64 v[11:12], v[1:2], v[27:28], v[15:16]
	v_fma_f64 v[13:14], -v[3:4], v[31:32], v[21:22]
	v_fma_f64 v[15:16], v[1:2], v[31:32], v[25:26]
	v_fma_f64 v[17:18], -v[3:4], v[35:36], v[29:30]
	v_fma_f64 v[19:20], v[1:2], v[35:36], v[33:34]
	global_store_dwordx4 v[37:38], v[5:8], off
	global_store_dwordx4 v[37:38], v[9:12], off offset:16
	global_store_dwordx4 v[37:38], v[13:16], off offset:32
	;; [unrolled: 1-line block ×3, first 2 shown]
	s_endpgm
	.section	.rodata,"a",@progbits
	.p2align	6, 0x0
	.amdhsa_kernel _ZN9rocsparseL18bsrxmvn_4x4_kernelILj128ELj8E21rocsparse_complex_numIdEiiS1_IfES2_S2_EEvT3_20rocsparse_direction_NS_24const_host_device_scalarIT1_EES4_PKS4_PKT2_SD_SA_PKT4_PKT5_S8_PT6_21rocsparse_index_base_b
		.amdhsa_group_segment_fixed_size 0
		.amdhsa_private_segment_fixed_size 0
		.amdhsa_kernarg_size 112
		.amdhsa_user_sgpr_count 6
		.amdhsa_user_sgpr_private_segment_buffer 1
		.amdhsa_user_sgpr_dispatch_ptr 0
		.amdhsa_user_sgpr_queue_ptr 0
		.amdhsa_user_sgpr_kernarg_segment_ptr 1
		.amdhsa_user_sgpr_dispatch_id 0
		.amdhsa_user_sgpr_flat_scratch_init 0
		.amdhsa_user_sgpr_private_segment_size 0
		.amdhsa_wavefront_size32 1
		.amdhsa_uses_dynamic_stack 0
		.amdhsa_system_sgpr_private_segment_wavefront_offset 0
		.amdhsa_system_sgpr_workgroup_id_x 1
		.amdhsa_system_sgpr_workgroup_id_y 0
		.amdhsa_system_sgpr_workgroup_id_z 0
		.amdhsa_system_sgpr_workgroup_info 0
		.amdhsa_system_vgpr_workitem_id 0
		.amdhsa_next_free_vgpr 202
		.amdhsa_next_free_sgpr 16
		.amdhsa_reserve_vcc 1
		.amdhsa_reserve_flat_scratch 0
		.amdhsa_float_round_mode_32 0
		.amdhsa_float_round_mode_16_64 0
		.amdhsa_float_denorm_mode_32 3
		.amdhsa_float_denorm_mode_16_64 3
		.amdhsa_dx10_clamp 1
		.amdhsa_ieee_mode 1
		.amdhsa_fp16_overflow 0
		.amdhsa_workgroup_processor_mode 1
		.amdhsa_memory_ordered 1
		.amdhsa_forward_progress 1
		.amdhsa_shared_vgpr_count 0
		.amdhsa_exception_fp_ieee_invalid_op 0
		.amdhsa_exception_fp_denorm_src 0
		.amdhsa_exception_fp_ieee_div_zero 0
		.amdhsa_exception_fp_ieee_overflow 0
		.amdhsa_exception_fp_ieee_underflow 0
		.amdhsa_exception_fp_ieee_inexact 0
		.amdhsa_exception_int_div_zero 0
	.end_amdhsa_kernel
	.section	.text._ZN9rocsparseL18bsrxmvn_4x4_kernelILj128ELj8E21rocsparse_complex_numIdEiiS1_IfES2_S2_EEvT3_20rocsparse_direction_NS_24const_host_device_scalarIT1_EES4_PKS4_PKT2_SD_SA_PKT4_PKT5_S8_PT6_21rocsparse_index_base_b,"axG",@progbits,_ZN9rocsparseL18bsrxmvn_4x4_kernelILj128ELj8E21rocsparse_complex_numIdEiiS1_IfES2_S2_EEvT3_20rocsparse_direction_NS_24const_host_device_scalarIT1_EES4_PKS4_PKT2_SD_SA_PKT4_PKT5_S8_PT6_21rocsparse_index_base_b,comdat
.Lfunc_end166:
	.size	_ZN9rocsparseL18bsrxmvn_4x4_kernelILj128ELj8E21rocsparse_complex_numIdEiiS1_IfES2_S2_EEvT3_20rocsparse_direction_NS_24const_host_device_scalarIT1_EES4_PKS4_PKT2_SD_SA_PKT4_PKT5_S8_PT6_21rocsparse_index_base_b, .Lfunc_end166-_ZN9rocsparseL18bsrxmvn_4x4_kernelILj128ELj8E21rocsparse_complex_numIdEiiS1_IfES2_S2_EEvT3_20rocsparse_direction_NS_24const_host_device_scalarIT1_EES4_PKS4_PKT2_SD_SA_PKT4_PKT5_S8_PT6_21rocsparse_index_base_b
                                        ; -- End function
	.set _ZN9rocsparseL18bsrxmvn_4x4_kernelILj128ELj8E21rocsparse_complex_numIdEiiS1_IfES2_S2_EEvT3_20rocsparse_direction_NS_24const_host_device_scalarIT1_EES4_PKS4_PKT2_SD_SA_PKT4_PKT5_S8_PT6_21rocsparse_index_base_b.num_vgpr, 202
	.set _ZN9rocsparseL18bsrxmvn_4x4_kernelILj128ELj8E21rocsparse_complex_numIdEiiS1_IfES2_S2_EEvT3_20rocsparse_direction_NS_24const_host_device_scalarIT1_EES4_PKS4_PKT2_SD_SA_PKT4_PKT5_S8_PT6_21rocsparse_index_base_b.num_agpr, 0
	.set _ZN9rocsparseL18bsrxmvn_4x4_kernelILj128ELj8E21rocsparse_complex_numIdEiiS1_IfES2_S2_EEvT3_20rocsparse_direction_NS_24const_host_device_scalarIT1_EES4_PKS4_PKT2_SD_SA_PKT4_PKT5_S8_PT6_21rocsparse_index_base_b.numbered_sgpr, 16
	.set _ZN9rocsparseL18bsrxmvn_4x4_kernelILj128ELj8E21rocsparse_complex_numIdEiiS1_IfES2_S2_EEvT3_20rocsparse_direction_NS_24const_host_device_scalarIT1_EES4_PKS4_PKT2_SD_SA_PKT4_PKT5_S8_PT6_21rocsparse_index_base_b.num_named_barrier, 0
	.set _ZN9rocsparseL18bsrxmvn_4x4_kernelILj128ELj8E21rocsparse_complex_numIdEiiS1_IfES2_S2_EEvT3_20rocsparse_direction_NS_24const_host_device_scalarIT1_EES4_PKS4_PKT2_SD_SA_PKT4_PKT5_S8_PT6_21rocsparse_index_base_b.private_seg_size, 0
	.set _ZN9rocsparseL18bsrxmvn_4x4_kernelILj128ELj8E21rocsparse_complex_numIdEiiS1_IfES2_S2_EEvT3_20rocsparse_direction_NS_24const_host_device_scalarIT1_EES4_PKS4_PKT2_SD_SA_PKT4_PKT5_S8_PT6_21rocsparse_index_base_b.uses_vcc, 1
	.set _ZN9rocsparseL18bsrxmvn_4x4_kernelILj128ELj8E21rocsparse_complex_numIdEiiS1_IfES2_S2_EEvT3_20rocsparse_direction_NS_24const_host_device_scalarIT1_EES4_PKS4_PKT2_SD_SA_PKT4_PKT5_S8_PT6_21rocsparse_index_base_b.uses_flat_scratch, 0
	.set _ZN9rocsparseL18bsrxmvn_4x4_kernelILj128ELj8E21rocsparse_complex_numIdEiiS1_IfES2_S2_EEvT3_20rocsparse_direction_NS_24const_host_device_scalarIT1_EES4_PKS4_PKT2_SD_SA_PKT4_PKT5_S8_PT6_21rocsparse_index_base_b.has_dyn_sized_stack, 0
	.set _ZN9rocsparseL18bsrxmvn_4x4_kernelILj128ELj8E21rocsparse_complex_numIdEiiS1_IfES2_S2_EEvT3_20rocsparse_direction_NS_24const_host_device_scalarIT1_EES4_PKS4_PKT2_SD_SA_PKT4_PKT5_S8_PT6_21rocsparse_index_base_b.has_recursion, 0
	.set _ZN9rocsparseL18bsrxmvn_4x4_kernelILj128ELj8E21rocsparse_complex_numIdEiiS1_IfES2_S2_EEvT3_20rocsparse_direction_NS_24const_host_device_scalarIT1_EES4_PKS4_PKT2_SD_SA_PKT4_PKT5_S8_PT6_21rocsparse_index_base_b.has_indirect_call, 0
	.section	.AMDGPU.csdata,"",@progbits
; Kernel info:
; codeLenInByte = 10928
; TotalNumSgprs: 18
; NumVgprs: 202
; ScratchSize: 0
; MemoryBound: 0
; FloatMode: 240
; IeeeMode: 1
; LDSByteSize: 0 bytes/workgroup (compile time only)
; SGPRBlocks: 0
; VGPRBlocks: 25
; NumSGPRsForWavesPerEU: 18
; NumVGPRsForWavesPerEU: 202
; Occupancy: 4
; WaveLimiterHint : 1
; COMPUTE_PGM_RSRC2:SCRATCH_EN: 0
; COMPUTE_PGM_RSRC2:USER_SGPR: 6
; COMPUTE_PGM_RSRC2:TRAP_HANDLER: 0
; COMPUTE_PGM_RSRC2:TGID_X_EN: 1
; COMPUTE_PGM_RSRC2:TGID_Y_EN: 0
; COMPUTE_PGM_RSRC2:TGID_Z_EN: 0
; COMPUTE_PGM_RSRC2:TIDIG_COMP_CNT: 0
	.section	.text._ZN9rocsparseL18bsrxmvn_4x4_kernelILj128ELj16E21rocsparse_complex_numIdEiiS1_IfES2_S2_EEvT3_20rocsparse_direction_NS_24const_host_device_scalarIT1_EES4_PKS4_PKT2_SD_SA_PKT4_PKT5_S8_PT6_21rocsparse_index_base_b,"axG",@progbits,_ZN9rocsparseL18bsrxmvn_4x4_kernelILj128ELj16E21rocsparse_complex_numIdEiiS1_IfES2_S2_EEvT3_20rocsparse_direction_NS_24const_host_device_scalarIT1_EES4_PKS4_PKT2_SD_SA_PKT4_PKT5_S8_PT6_21rocsparse_index_base_b,comdat
	.globl	_ZN9rocsparseL18bsrxmvn_4x4_kernelILj128ELj16E21rocsparse_complex_numIdEiiS1_IfES2_S2_EEvT3_20rocsparse_direction_NS_24const_host_device_scalarIT1_EES4_PKS4_PKT2_SD_SA_PKT4_PKT5_S8_PT6_21rocsparse_index_base_b ; -- Begin function _ZN9rocsparseL18bsrxmvn_4x4_kernelILj128ELj16E21rocsparse_complex_numIdEiiS1_IfES2_S2_EEvT3_20rocsparse_direction_NS_24const_host_device_scalarIT1_EES4_PKS4_PKT2_SD_SA_PKT4_PKT5_S8_PT6_21rocsparse_index_base_b
	.p2align	8
	.type	_ZN9rocsparseL18bsrxmvn_4x4_kernelILj128ELj16E21rocsparse_complex_numIdEiiS1_IfES2_S2_EEvT3_20rocsparse_direction_NS_24const_host_device_scalarIT1_EES4_PKS4_PKT2_SD_SA_PKT4_PKT5_S8_PT6_21rocsparse_index_base_b,@function
_ZN9rocsparseL18bsrxmvn_4x4_kernelILj128ELj16E21rocsparse_complex_numIdEiiS1_IfES2_S2_EEvT3_20rocsparse_direction_NS_24const_host_device_scalarIT1_EES4_PKS4_PKT2_SD_SA_PKT4_PKT5_S8_PT6_21rocsparse_index_base_b: ; @_ZN9rocsparseL18bsrxmvn_4x4_kernelILj128ELj16E21rocsparse_complex_numIdEiiS1_IfES2_S2_EEvT3_20rocsparse_direction_NS_24const_host_device_scalarIT1_EES4_PKS4_PKT2_SD_SA_PKT4_PKT5_S8_PT6_21rocsparse_index_base_b
; %bb.0:
	s_clause 0x1
	s_load_dwordx2 s[2:3], s[4:5], 0x68
	s_load_dwordx2 s[0:1], s[4:5], 0x8
	s_add_u32 s7, s4, 8
	s_addc_u32 s10, s5, 0
	s_add_u32 s11, s4, 0x50
	s_addc_u32 s12, s5, 0
	s_load_dwordx2 s[8:9], s[4:5], 0x50
	s_waitcnt lgkmcnt(0)
	s_bitcmp1_b32 s3, 0
	s_cselect_b32 s0, s7, s0
	s_cselect_b32 s1, s10, s1
	v_mov_b32_e32 v1, s0
	v_mov_b32_e32 v2, s1
	s_cselect_b32 s0, s11, s8
	s_cselect_b32 s1, s12, s9
	flat_load_dwordx4 v[5:8], v[1:2]
	v_mov_b32_e32 v1, s0
	v_mov_b32_e32 v2, s1
	flat_load_dwordx4 v[1:4], v[1:2]
	s_waitcnt vmcnt(1) lgkmcnt(1)
	v_cmp_eq_f64_e32 vcc_lo, 0, v[5:6]
	v_cmp_eq_f64_e64 s0, 0, v[7:8]
	s_and_b32 s3, vcc_lo, s0
	s_mov_b32 s0, -1
	s_and_saveexec_b32 s1, s3
	s_cbranch_execz .LBB167_2
; %bb.1:
	s_waitcnt vmcnt(0) lgkmcnt(0)
	v_cmp_neq_f64_e32 vcc_lo, 1.0, v[1:2]
	v_cmp_neq_f64_e64 s0, 0, v[3:4]
	s_or_b32 s0, vcc_lo, s0
	s_orn2_b32 s0, s0, exec_lo
.LBB167_2:
	s_or_b32 exec_lo, exec_lo, s1
	s_and_saveexec_b32 s1, s0
	s_cbranch_execz .LBB167_8
; %bb.3:
	s_clause 0x1
	s_load_dwordx2 s[8:9], s[4:5], 0x20
	s_load_dwordx2 s[0:1], s[4:5], 0x0
	v_lshrrev_b32_e32 v9, 4, v0
	v_lshl_or_b32 v29, s6, 3, v9
	s_waitcnt lgkmcnt(0)
	s_cmp_lg_u64 s[8:9], 0
	s_cbranch_scc0 .LBB167_9
; %bb.4:
	s_load_dword s3, s[4:5], 0x18
	s_mov_b32 s6, 0
                                        ; implicit-def: $vgpr9
	s_waitcnt lgkmcnt(0)
	v_cmp_gt_i32_e32 vcc_lo, s3, v29
	s_mov_b32 s3, 0
	s_and_saveexec_b32 s7, vcc_lo
	s_xor_b32 s7, exec_lo, s7
	s_cbranch_execz .LBB167_6
; %bb.5:
	v_ashrrev_i32_e32 v30, 31, v29
	s_mov_b32 s3, exec_lo
	v_lshlrev_b64 v[9:10], 2, v[29:30]
	v_add_co_u32 v9, vcc_lo, s8, v9
	v_add_co_ci_u32_e64 v10, null, s9, v10, vcc_lo
	global_load_dword v9, v[9:10], off
	s_waitcnt vmcnt(0)
	v_subrev_nc_u32_e32 v9, s2, v9
.LBB167_6:
	s_or_b32 exec_lo, exec_lo, s7
	s_and_b32 vcc_lo, exec_lo, s6
	s_cbranch_vccz .LBB167_10
.LBB167_7:
	v_cmp_gt_i32_e32 vcc_lo, s0, v29
	s_andn2_b32 s0, s3, exec_lo
	s_and_b32 s3, vcc_lo, exec_lo
	s_or_b32 s3, s0, s3
	s_and_b32 exec_lo, exec_lo, s3
	s_cbranch_execnz .LBB167_11
.LBB167_8:
	s_endpgm
.LBB167_9:
	s_mov_b32 s3, 0
                                        ; implicit-def: $vgpr9
	s_cbranch_execnz .LBB167_7
.LBB167_10:
	v_mov_b32_e32 v29, v9
	s_and_b32 exec_lo, exec_lo, s3
	s_cbranch_execz .LBB167_8
.LBB167_11:
	s_load_dwordx8 s[8:15], s[4:5], 0x28
	v_ashrrev_i32_e32 v30, 31, v29
	v_and_b32_e32 v0, 15, v0
	s_load_dwordx2 s[6:7], s[4:5], 0x48
	v_lshlrev_b64 v[9:10], 2, v[29:30]
	s_waitcnt lgkmcnt(0)
	v_add_co_u32 v11, vcc_lo, s8, v9
	v_add_co_ci_u32_e64 v12, null, s9, v10, vcc_lo
	v_add_co_u32 v9, vcc_lo, s10, v9
	v_add_co_ci_u32_e64 v10, null, s11, v10, vcc_lo
	global_load_dword v21, v[11:12], off
	v_add_co_u32 v11, vcc_lo, v11, 4
	v_add_co_ci_u32_e64 v12, null, 0, v12, vcc_lo
	s_cmp_eq_u64 s[10:11], 0
	s_cselect_b32 vcc_lo, -1, 0
	s_cmp_eq_u32 s1, 1
	v_cndmask_b32_e32 v10, v10, v12, vcc_lo
	v_cndmask_b32_e32 v9, v9, v11, vcc_lo
	global_load_dword v11, v[9:10], off
	s_waitcnt vmcnt(1)
	v_subrev_nc_u32_e32 v9, s2, v21
	v_add_nc_u32_e32 v30, v9, v0
	v_ashrrev_i32_e32 v31, 31, v30
	s_waitcnt vmcnt(0)
	v_subrev_nc_u32_e32 v50, s2, v11
	v_lshlrev_b64 v[9:10], 7, v[30:31]
	v_cmp_lt_i32_e64 s0, v30, v50
	v_add_co_u32 v32, vcc_lo, s14, v9
	v_add_co_ci_u32_e64 v33, null, s15, v10, vcc_lo
	s_cbranch_scc1 .LBB167_23
; %bb.12:
	v_mov_b32_e32 v36, 0
	v_mov_b32_e32 v48, 0
	;; [unrolled: 1-line block ×16, first 2 shown]
	s_and_saveexec_b32 s3, s0
	s_cbranch_execz .LBB167_22
; %bb.13:
	v_add_nc_u32_e32 v9, v21, v0
	v_not_b32_e32 v10, v21
	v_mov_b32_e32 v34, 0
	v_mov_b32_e32 v38, 0
	;; [unrolled: 1-line block ×3, first 2 shown]
	v_subrev_nc_u32_e32 v9, s2, v9
	v_mov_b32_e32 v40, 0
	v_mov_b32_e32 v46, 0
	;; [unrolled: 1-line block ×4, first 2 shown]
	v_add_nc_u32_e32 v9, 16, v9
	v_mov_b32_e32 v36, 0
	v_mov_b32_e32 v19, v32
	;; [unrolled: 1-line block ×4, first 2 shown]
	v_max_i32_e32 v9, v9, v50
	v_mov_b32_e32 v45, 0
	v_mov_b32_e32 v41, 0
	;; [unrolled: 1-line block ×4, first 2 shown]
	v_add3_u32 v9, s2, v9, v10
	v_mov_b32_e32 v49, 0
	v_mov_b32_e32 v37, 0
	;; [unrolled: 1-line block ×4, first 2 shown]
	v_sub_nc_u32_e32 v9, v9, v0
	s_mov_b32 s1, exec_lo
	v_and_b32_e32 v10, 48, v9
	v_cmpx_ne_u32_e32 48, v10
	s_cbranch_execz .LBB167_17
; %bb.14:
	v_lshrrev_b32_e32 v10, 4, v9
	v_mov_b32_e32 v36, 0
	v_mov_b32_e32 v48, 0
	;; [unrolled: 1-line block ×4, first 2 shown]
	v_add_nc_u32_e32 v10, 1, v10
	v_mov_b32_e32 v40, 0
	v_mov_b32_e32 v44, 0
	;; [unrolled: 1-line block ×4, first 2 shown]
	v_and_b32_e32 v10, 3, v10
	v_mov_b32_e32 v19, v32
	v_mov_b32_e32 v37, 0
	;; [unrolled: 1-line block ×10, first 2 shown]
	v_sub_nc_u32_e32 v10, 0, v10
	v_mov_b32_e32 v20, v33
	s_mov_b32 s8, 0
.LBB167_15:                             ; =>This Inner Loop Header: Depth=1
	v_ashrrev_i32_e32 v18, 31, v17
	v_add_co_u32 v10, s9, v10, 1
	s_or_b32 s8, s9, s8
	v_lshlrev_b64 v[11:12], 2, v[17:18]
	v_add_nc_u32_e32 v17, 16, v17
	v_add_co_u32 v11, vcc_lo, s12, v11
	v_add_co_ci_u32_e64 v12, null, s13, v12, vcc_lo
	global_load_dword v15, v[11:12], off
	s_clause 0x4
	global_load_dwordx4 v[11:14], v[19:20], off offset:32
	global_load_dwordx4 v[22:25], v[19:20], off offset:16
	global_load_dwordx4 v[51:54], v[19:20], off
	global_load_dwordx4 v[55:58], v[19:20], off offset:96
	global_load_dwordx4 v[59:62], v[19:20], off offset:64
	s_waitcnt vmcnt(5)
	v_subrev_nc_u32_e32 v15, s2, v15
	s_waitcnt vmcnt(4)
	v_cvt_f64_f32_e32 v[95:96], v13
	v_cvt_f64_f32_e32 v[13:14], v14
	s_waitcnt vmcnt(2)
	v_cvt_f64_f32_e32 v[26:27], v52
	s_waitcnt vmcnt(1)
	v_cvt_f64_f32_e32 v[93:94], v55
	v_lshlrev_b32_e32 v15, 2, v15
	s_waitcnt vmcnt(0)
	v_cvt_f64_f32_e32 v[91:92], v59
	v_cvt_f64_f32_e32 v[59:60], v60
	;; [unrolled: 1-line block ×4, first 2 shown]
	v_ashrrev_i32_e32 v16, 31, v15
	v_cvt_f64_f32_e32 v[61:62], v62
	v_cvt_f64_f32_e32 v[99:100], v57
	;; [unrolled: 1-line block ×3, first 2 shown]
	v_lshlrev_b64 v[15:16], 4, v[15:16]
	v_add_co_u32 v15, vcc_lo, s6, v15
	v_add_co_ci_u32_e64 v16, null, s7, v16, vcc_lo
	s_clause 0x1
	global_load_dwordx4 v[63:66], v[15:16], off
	global_load_dwordx4 v[67:70], v[15:16], off offset:16
	s_clause 0x2
	global_load_dwordx4 v[71:74], v[19:20], off offset:48
	global_load_dwordx4 v[75:78], v[19:20], off offset:80
	;; [unrolled: 1-line block ×3, first 2 shown]
	s_clause 0x1
	global_load_dwordx4 v[83:86], v[15:16], off offset:32
	global_load_dwordx4 v[87:90], v[15:16], off offset:48
	v_cvt_f64_f32_e32 v[15:16], v51
	v_cvt_f64_f32_e32 v[51:52], v11
	;; [unrolled: 1-line block ×3, first 2 shown]
	v_add_co_u32 v19, vcc_lo, 0x800, v19
	v_add_co_ci_u32_e64 v20, null, 0, v20, vcc_lo
	s_waitcnt vmcnt(6)
	v_fma_f64 v[48:49], v[15:16], v[63:64], v[48:49]
	v_fma_f64 v[36:37], v[26:27], v[63:64], v[36:37]
	;; [unrolled: 1-line block ×8, first 2 shown]
	v_cvt_f64_f32_e32 v[63:64], v53
	v_cvt_f64_f32_e32 v[53:54], v54
	v_fma_f64 v[26:27], -v[26:27], v[65:66], v[48:49]
	v_fma_f64 v[15:16], v[15:16], v[65:66], v[36:37]
	v_fma_f64 v[11:12], -v[11:12], v[65:66], v[46:47]
	v_fma_f64 v[36:37], v[51:52], v[65:66], v[42:43]
	;; [unrolled: 2-line block ×4, first 2 shown]
	v_cvt_f64_f32_e32 v[44:45], v22
	v_cvt_f64_f32_e32 v[22:23], v23
	s_waitcnt vmcnt(4)
	v_cvt_f64_f32_e32 v[46:47], v71
	v_cvt_f64_f32_e32 v[48:49], v72
	s_waitcnt vmcnt(3)
	;; [unrolled: 3-line block ×3, first 2 shown]
	v_cvt_f64_f32_e32 v[59:60], v79
	v_cvt_f64_f32_e32 v[65:66], v80
	v_fma_f64 v[26:27], v[63:64], v[67:68], v[26:27]
	v_fma_f64 v[15:16], v[53:54], v[67:68], v[15:16]
	;; [unrolled: 1-line block ×8, first 2 shown]
	v_cvt_f64_f32_e32 v[67:68], v81
	v_fma_f64 v[26:27], -v[53:54], v[69:70], v[26:27]
	v_fma_f64 v[15:16], v[63:64], v[69:70], v[15:16]
	v_fma_f64 v[11:12], -v[13:14], v[69:70], v[11:12]
	v_fma_f64 v[13:14], v[95:96], v[69:70], v[36:37]
	;; [unrolled: 2-line block ×4, first 2 shown]
	v_cvt_f64_f32_e32 v[42:43], v24
	v_cvt_f64_f32_e32 v[24:25], v25
	;; [unrolled: 1-line block ×7, first 2 shown]
	s_waitcnt vmcnt(1)
	v_fma_f64 v[26:27], v[44:45], v[83:84], v[26:27]
	v_fma_f64 v[15:16], v[22:23], v[83:84], v[15:16]
	;; [unrolled: 1-line block ×8, first 2 shown]
	v_fma_f64 v[22:23], -v[22:23], v[85:86], v[26:27]
	v_fma_f64 v[15:16], v[44:45], v[85:86], v[15:16]
	v_fma_f64 v[11:12], -v[48:49], v[85:86], v[11:12]
	v_fma_f64 v[13:14], v[46:47], v[85:86], v[13:14]
	;; [unrolled: 2-line block ×4, first 2 shown]
	s_waitcnt vmcnt(0)
	v_fma_f64 v[22:23], v[42:43], v[87:88], v[22:23]
	v_fma_f64 v[15:16], v[24:25], v[87:88], v[15:16]
	v_fma_f64 v[11:12], v[53:54], v[87:88], v[11:12]
	v_fma_f64 v[13:14], v[57:58], v[87:88], v[13:14]
	v_fma_f64 v[26:27], v[61:62], v[87:88], v[26:27]
	v_fma_f64 v[40:41], v[63:64], v[87:88], v[36:37]
	v_fma_f64 v[34:35], v[67:68], v[87:88], v[34:35]
	v_fma_f64 v[38:39], v[69:70], v[87:88], v[38:39]
	v_fma_f64 v[48:49], -v[24:25], v[89:90], v[22:23]
	v_fma_f64 v[36:37], v[42:43], v[89:90], v[15:16]
	v_fma_f64 v[46:47], -v[57:58], v[89:90], v[11:12]
	v_fma_f64 v[42:43], v[53:54], v[89:90], v[13:14]
	;; [unrolled: 2-line block ×4, first 2 shown]
	s_andn2_b32 exec_lo, exec_lo, s8
	s_cbranch_execnz .LBB167_15
; %bb.16:
	s_or_b32 exec_lo, exec_lo, s8
.LBB167_17:
	s_or_b32 exec_lo, exec_lo, s1
	s_mov_b32 s8, exec_lo
	v_cmpx_lt_u32_e32 47, v9
	s_cbranch_execz .LBB167_21
; %bb.18:
	s_mov_b32 s9, 0
.LBB167_19:                             ; =>This Inner Loop Header: Depth=1
	v_ashrrev_i32_e32 v18, 31, v17
	v_lshlrev_b64 v[9:10], 2, v[17:18]
	v_add_nc_u32_e32 v17, 64, v17
	v_add_co_u32 v9, vcc_lo, s12, v9
	v_add_co_ci_u32_e64 v10, null, s13, v10, vcc_lo
	s_clause 0x1
	global_load_dword v11, v[9:10], off
	global_load_dword v15, v[9:10], off offset:64
	s_clause 0x4
	global_load_dwordx4 v[22:25], v[19:20], off
	global_load_dwordx4 v[51:54], v[19:20], off offset:32
	global_load_dwordx4 v[55:58], v[19:20], off offset:64
	;; [unrolled: 1-line block ×4, first 2 shown]
	s_clause 0x1
	global_load_dword v18, v[9:10], off offset:128
	global_load_dword v28, v[9:10], off offset:192
	s_waitcnt vmcnt(8)
	v_subrev_nc_u32_e32 v9, s2, v11
	s_waitcnt vmcnt(6)
	v_cvt_f64_f32_e32 v[177:178], v22
	v_cvt_f64_f32_e32 v[179:180], v23
	s_waitcnt vmcnt(5)
	v_cvt_f64_f32_e32 v[185:186], v51
	v_lshlrev_b32_e32 v9, 2, v9
	v_cvt_f64_f32_e32 v[51:52], v52
	s_waitcnt vmcnt(4)
	v_cvt_f64_f32_e32 v[189:190], v55
	v_cvt_f64_f32_e32 v[55:56], v56
	s_waitcnt vmcnt(2)
	v_cvt_f64_f32_e32 v[193:194], v63
	v_ashrrev_i32_e32 v10, 31, v9
	v_cvt_f64_f32_e32 v[63:64], v64
	v_cvt_f64_f32_e32 v[181:182], v24
	;; [unrolled: 1-line block ×3, first 2 shown]
	s_waitcnt vmcnt(1)
	v_subrev_nc_u32_e32 v18, s2, v18
	v_lshlrev_b64 v[9:10], 4, v[9:10]
	v_cvt_f64_f32_e32 v[187:188], v53
	v_cvt_f64_f32_e32 v[53:54], v54
	;; [unrolled: 1-line block ×3, first 2 shown]
	v_lshlrev_b32_e32 v197, 2, v18
	v_cvt_f64_f32_e32 v[57:58], v58
	v_add_co_u32 v9, vcc_lo, s6, v9
	v_add_co_ci_u32_e64 v10, null, s7, v10, vcc_lo
	v_add_co_u32 v11, vcc_lo, v19, 0x1000
	v_add_co_ci_u32_e64 v12, null, 0, v20, vcc_lo
	s_clause 0x1
	global_load_dwordx4 v[67:70], v[9:10], off
	global_load_dwordx4 v[71:74], v[9:10], off offset:16
	s_clause 0x2
	global_load_dwordx4 v[75:78], v[19:20], off offset:16
	global_load_dwordx4 v[79:82], v[19:20], off offset:48
	global_load_dwordx4 v[83:86], v[19:20], off offset:80
	global_load_dwordx4 v[87:90], v[9:10], off offset:32
	v_add_co_u32 v13, vcc_lo, 0x800, v19
	v_add_co_ci_u32_e64 v14, null, 0, v20, vcc_lo
	s_clause 0x2
	global_load_dwordx4 v[91:94], v[11:12], off offset:-2048
	global_load_dwordx4 v[95:98], v[13:14], off offset:32
	global_load_dwordx4 v[99:102], v[13:14], off offset:16
	;; [unrolled: 1-line block ×3, first 2 shown]
	s_clause 0x3
	global_load_dwordx4 v[107:110], v[13:14], off offset:48
	global_load_dwordx4 v[111:114], v[13:14], off offset:64
	global_load_dwordx4 v[115:118], v[13:14], off offset:80
	global_load_dwordx4 v[119:122], v[13:14], off offset:96
	v_subrev_nc_u32_e32 v9, s2, v15
	v_ashrrev_i32_e32 v198, 31, v197
	v_cvt_f64_f32_e32 v[195:196], v65
	v_cvt_f64_f32_e32 v[65:66], v66
	s_waitcnt vmcnt(14)
	v_subrev_nc_u32_e32 v18, s2, v28
	v_lshlrev_b32_e32 v9, 2, v9
	v_ashrrev_i32_e32 v10, 31, v9
	v_lshlrev_b64 v[9:10], 4, v[9:10]
	v_add_co_u32 v26, vcc_lo, s6, v9
	v_add_co_ci_u32_e64 v27, null, s7, v10, vcc_lo
	s_clause 0x1
	global_load_dwordx4 v[123:126], v[26:27], off
	global_load_dwordx4 v[127:130], v[26:27], off offset:16
	global_load_dwordx4 v[131:134], v[13:14], off offset:112
	;; [unrolled: 1-line block ×3, first 2 shown]
	v_add_co_u32 v9, vcc_lo, 0x1000, v19
	v_add_co_ci_u32_e64 v10, null, 0, v20, vcc_lo
	v_add_co_u32 v175, vcc_lo, 0x1800, v19
	v_add_co_ci_u32_e64 v176, null, 0, v20, vcc_lo
	s_clause 0xa
	global_load_dwordx4 v[139:142], v[11:12], off
	global_load_dwordx4 v[143:146], v[9:10], off offset:32
	global_load_dwordx4 v[147:150], v[9:10], off offset:16
	;; [unrolled: 1-line block ×7, first 2 shown]
	global_load_dwordx4 v[13:16], v[175:176], off
	global_load_dwordx4 v[9:12], v[175:176], off offset:48
	global_load_dwordx4 v[171:174], v[175:176], off offset:32
	;; [unrolled: 1-line block ×3, first 2 shown]
	v_add_co_u32 v19, s1, 0x2000, v19
	v_add_co_ci_u32_e64 v20, null, 0, v20, s1
	s_waitcnt vmcnt(29)
	v_fma_f64 v[26:27], v[177:178], v[67:68], v[48:49]
	v_fma_f64 v[36:37], v[179:180], v[67:68], v[36:37]
	v_fma_f64 v[46:47], v[185:186], v[67:68], v[46:47]
	v_fma_f64 v[42:43], v[51:52], v[67:68], v[42:43]
	v_fma_f64 v[44:45], v[189:190], v[67:68], v[44:45]
	v_fma_f64 v[40:41], v[55:56], v[67:68], v[40:41]
	v_fma_f64 v[34:35], v[193:194], v[67:68], v[34:35]
	v_fma_f64 v[38:39], v[63:64], v[67:68], v[38:39]
	v_lshlrev_b64 v[48:49], 4, v[197:198]
	v_add_co_u32 v67, vcc_lo, s6, v48
	v_add_co_ci_u32_e64 v68, null, s7, v49, vcc_lo
	v_fma_f64 v[26:27], -v[179:180], v[69:70], v[26:27]
	v_fma_f64 v[177:178], v[177:178], v[69:70], v[36:37]
	v_fma_f64 v[46:47], -v[51:52], v[69:70], v[46:47]
	v_fma_f64 v[42:43], v[185:186], v[69:70], v[42:43]
	;; [unrolled: 2-line block ×4, first 2 shown]
	global_load_dwordx4 v[34:37], v[67:68], off
	s_waitcnt vmcnt(27)
	v_cvt_f64_f32_e32 v[179:180], v79
	v_cvt_f64_f32_e32 v[79:80], v80
	s_waitcnt vmcnt(26)
	v_cvt_f64_f32_e32 v[185:186], v83
	v_cvt_f64_f32_e32 v[83:84], v84
	;; [unrolled: 1-line block ×4, first 2 shown]
	v_fma_f64 v[26:27], v[181:182], v[71:72], v[26:27]
	v_fma_f64 v[48:49], v[183:184], v[71:72], v[177:178]
	;; [unrolled: 1-line block ×8, first 2 shown]
	v_cvt_f64_f32_e32 v[177:178], v75
	v_cvt_f64_f32_e32 v[75:76], v76
	s_clause 0x1
	global_load_dwordx4 v[38:41], v[175:176], off offset:96
	global_load_dwordx4 v[42:45], v[175:176], off offset:64
	v_fma_f64 v[26:27], -v[183:184], v[73:74], v[26:27]
	v_fma_f64 v[181:182], v[181:182], v[73:74], v[48:49]
	v_fma_f64 v[53:54], -v[53:54], v[73:74], v[46:47]
	v_fma_f64 v[55:56], v[187:188], v[73:74], v[55:56]
	;; [unrolled: 2-line block ×4, first 2 shown]
	global_load_dwordx4 v[46:49], v[67:68], off offset:16
	v_cvt_f64_f32_e32 v[69:70], v77
	v_cvt_f64_f32_e32 v[71:72], v78
	;; [unrolled: 1-line block ×4, first 2 shown]
	s_waitcnt vmcnt(27)
	v_cvt_f64_f32_e32 v[183:184], v91
	v_cvt_f64_f32_e32 v[91:92], v92
	;; [unrolled: 1-line block ×4, first 2 shown]
	v_fma_f64 v[26:27], v[177:178], v[87:88], v[26:27]
	v_fma_f64 v[73:74], v[75:76], v[87:88], v[181:182]
	v_fma_f64 v[53:54], v[179:180], v[87:88], v[53:54]
	v_fma_f64 v[55:56], v[79:80], v[87:88], v[55:56]
	v_fma_f64 v[57:58], v[185:186], v[87:88], v[57:58]
	v_fma_f64 v[63:64], v[83:84], v[87:88], v[63:64]
	v_fma_f64 v[51:52], v[189:190], v[87:88], v[51:52]
	v_fma_f64 v[65:66], v[59:60], v[87:88], v[65:66]
	v_cvt_f64_f32_e32 v[87:88], v85
	v_cvt_f64_f32_e32 v[85:86], v86
	;; [unrolled: 1-line block ×4, first 2 shown]
	v_fma_f64 v[26:27], -v[75:76], v[89:90], v[26:27]
	v_fma_f64 v[73:74], v[177:178], v[89:90], v[73:74]
	v_fma_f64 v[75:76], -v[79:80], v[89:90], v[53:54]
	v_fma_f64 v[55:56], v[179:180], v[89:90], v[55:56]
	;; [unrolled: 2-line block ×4, first 2 shown]
	global_load_dwordx4 v[51:54], v[67:68], off offset:32
	s_waitcnt vmcnt(27)
	v_cvt_f64_f32_e32 v[79:80], v95
	v_cvt_f64_f32_e32 v[83:84], v96
	;; [unrolled: 1-line block ×4, first 2 shown]
	s_waitcnt vmcnt(23)
	v_cvt_f64_f32_e32 v[97:98], v111
	s_waitcnt vmcnt(21)
	v_cvt_f64_f32_e32 v[177:178], v119
	v_cvt_f64_f32_e32 v[119:120], v120
	;; [unrolled: 1-line block ×4, first 2 shown]
	v_fma_f64 v[26:27], v[69:70], v[103:104], v[26:27]
	v_fma_f64 v[73:74], v[71:72], v[103:104], v[73:74]
	;; [unrolled: 1-line block ×8, first 2 shown]
	v_cvt_f64_f32_e32 v[103:104], v112
	v_cvt_f64_f32_e32 v[111:112], v113
	;; [unrolled: 1-line block ×3, first 2 shown]
	v_fma_f64 v[26:27], -v[71:72], v[105:106], v[26:27]
	v_fma_f64 v[69:70], v[69:70], v[105:106], v[73:74]
	v_fma_f64 v[71:72], -v[81:82], v[105:106], v[75:76]
	v_fma_f64 v[73:74], v[77:78], v[105:106], v[55:56]
	;; [unrolled: 2-line block ×4, first 2 shown]
	global_load_dwordx4 v[55:58], v[67:68], off offset:48
	v_lshlrev_b32_e32 v65, 2, v18
	v_cvt_f64_f32_e32 v[81:82], v100
	v_cvt_f64_f32_e32 v[87:88], v108
	v_ashrrev_i32_e32 v66, 31, v65
	v_lshlrev_b64 v[65:66], 4, v[65:66]
	s_waitcnt vmcnt(21)
	v_fma_f64 v[26:27], v[183:184], v[123:124], v[26:27]
	v_fma_f64 v[67:68], v[91:92], v[123:124], v[69:70]
	;; [unrolled: 1-line block ×8, first 2 shown]
	v_add_co_u32 v85, vcc_lo, s6, v65
	v_add_co_ci_u32_e64 v86, null, s7, v66, vcc_lo
	s_waitcnt vmcnt(19)
	v_cvt_f64_f32_e32 v[123:124], v133
	v_cmp_ge_i32_e32 vcc_lo, v17, v50
	s_or_b32 s9, vcc_lo, s9
	v_fma_f64 v[26:27], -v[91:92], v[125:126], v[26:27]
	v_fma_f64 v[67:68], v[183:184], v[125:126], v[67:68]
	v_fma_f64 v[69:70], -v[83:84], v[125:126], v[69:70]
	v_fma_f64 v[71:72], v[79:80], v[125:126], v[71:72]
	;; [unrolled: 2-line block ×4, first 2 shown]
	global_load_dwordx4 v[59:62], v[85:86], off
	v_cvt_f64_f32_e32 v[79:80], v99
	v_cvt_f64_f32_e32 v[83:84], v107
	;; [unrolled: 1-line block ×11, first 2 shown]
	v_fma_f64 v[26:27], v[187:188], v[127:128], v[26:27]
	v_fma_f64 v[65:66], v[93:94], v[127:128], v[67:68]
	;; [unrolled: 1-line block ×8, first 2 shown]
	s_waitcnt vmcnt(15)
	v_cvt_f64_f32_e32 v[127:128], v152
	v_fma_f64 v[26:27], -v[93:94], v[129:130], v[26:27]
	v_fma_f64 v[77:78], v[187:188], v[129:130], v[65:66]
	v_fma_f64 v[93:94], -v[95:96], v[129:130], v[67:68]
	v_fma_f64 v[89:90], v[89:90], v[129:130], v[69:70]
	;; [unrolled: 2-line block ×4, first 2 shown]
	global_load_dwordx4 v[63:66], v[85:86], off offset:16
	s_clause 0x1
	global_load_dwordx4 v[67:70], v[175:176], off offset:80
	global_load_dwordx4 v[71:74], v[175:176], off offset:16
	v_cvt_f64_f32_e32 v[121:122], v117
	v_cvt_f64_f32_e32 v[117:118], v118
	v_fma_f64 v[26:27], v[79:80], v[135:136], v[26:27]
	v_fma_f64 v[111:112], v[81:82], v[135:136], v[77:78]
	;; [unrolled: 1-line block ×8, first 2 shown]
	global_load_dwordx4 v[75:78], v[175:176], off offset:112
	v_fma_f64 v[26:27], -v[81:82], v[137:138], v[26:27]
	v_fma_f64 v[111:112], v[79:80], v[137:138], v[111:112]
	v_fma_f64 v[87:88], -v[87:88], v[137:138], v[93:94]
	v_fma_f64 v[83:84], v[83:84], v[137:138], v[89:90]
	;; [unrolled: 2-line block ×4, first 2 shown]
	global_load_dwordx4 v[79:82], v[85:86], off offset:32
	v_cvt_f64_f32_e32 v[99:100], v140
	v_cvt_f64_f32_e32 v[103:104], v143
	;; [unrolled: 1-line block ×3, first 2 shown]
	s_waitcnt vmcnt(18)
	v_cvt_f64_f32_e32 v[107:108], v159
	v_cvt_f64_f32_e32 v[113:114], v151
	s_waitcnt vmcnt(12)
	v_fma_f64 v[26:27], v[115:116], v[22:23], v[26:27]
	v_fma_f64 v[97:98], v[101:102], v[22:23], v[111:112]
	;; [unrolled: 1-line block ×8, first 2 shown]
	v_cvt_f64_f32_e32 v[95:96], v139
	v_cvt_f64_f32_e32 v[111:112], v160
	v_fma_f64 v[26:27], -v[101:102], v[24:25], v[26:27]
	v_fma_f64 v[97:98], v[115:116], v[24:25], v[97:98]
	v_fma_f64 v[87:88], -v[109:110], v[24:25], v[87:88]
	v_fma_f64 v[83:84], v[119:120], v[24:25], v[83:84]
	v_fma_f64 v[89:90], -v[117:118], v[24:25], v[89:90]
	v_fma_f64 v[91:92], v[121:122], v[24:25], v[91:92]
	v_fma_f64 v[93:94], -v[125:126], v[24:25], v[93:94]
	v_fma_f64 v[101:102], v[123:124], v[24:25], v[22:23]
	global_load_dwordx4 v[22:25], v[85:86], off offset:48
	v_cvt_f64_f32_e32 v[109:110], v145
	v_cvt_f64_f32_e32 v[115:116], v146
	;; [unrolled: 1-line block ×6, first 2 shown]
	s_waitcnt vmcnt(12)
	v_fma_f64 v[26:27], v[95:96], v[34:35], v[26:27]
	v_fma_f64 v[85:86], v[99:100], v[34:35], v[97:98]
	;; [unrolled: 1-line block ×8, first 2 shown]
	v_cvt_f64_f32_e32 v[97:98], v141
	v_cvt_f64_f32_e32 v[101:102], v142
	v_fma_f64 v[26:27], -v[99:100], v[36:37], v[26:27]
	v_fma_f64 v[85:86], v[95:96], v[36:37], v[85:86]
	v_fma_f64 v[87:88], -v[105:106], v[36:37], v[87:88]
	v_fma_f64 v[83:84], v[103:104], v[36:37], v[83:84]
	;; [unrolled: 2-line block ×4, first 2 shown]
	v_cvt_f64_f32_e32 v[95:96], v163
	v_cvt_f64_f32_e32 v[99:100], v164
	;; [unrolled: 1-line block ×7, first 2 shown]
	s_waitcnt vmcnt(9)
	v_fma_f64 v[26:27], v[97:98], v[46:47], v[26:27]
	v_fma_f64 v[36:37], v[101:102], v[46:47], v[85:86]
	;; [unrolled: 1-line block ×8, first 2 shown]
	v_cvt_f64_f32_e32 v[46:47], v147
	v_cvt_f64_f32_e32 v[93:94], v148
	v_fma_f64 v[26:27], -v[101:102], v[48:49], v[26:27]
	v_fma_f64 v[36:37], v[97:98], v[48:49], v[36:37]
	v_fma_f64 v[85:86], -v[115:116], v[48:49], v[85:86]
	v_fma_f64 v[83:84], v[109:110], v[48:49], v[83:84]
	;; [unrolled: 2-line block ×4, first 2 shown]
	v_cvt_f64_f32_e32 v[97:98], v165
	v_cvt_f64_f32_e32 v[101:102], v166
	;; [unrolled: 1-line block ×5, first 2 shown]
	s_waitcnt vmcnt(8)
	v_fma_f64 v[26:27], v[46:47], v[51:52], v[26:27]
	v_fma_f64 v[36:37], v[93:94], v[51:52], v[36:37]
	;; [unrolled: 1-line block ×8, first 2 shown]
	v_cvt_f64_f32_e32 v[51:52], v149
	v_cvt_f64_f32_e32 v[91:92], v150
	v_fma_f64 v[26:27], -v[93:94], v[53:54], v[26:27]
	v_fma_f64 v[36:37], v[46:47], v[53:54], v[36:37]
	v_fma_f64 v[46:47], -v[99:100], v[53:54], v[48:49]
	v_fma_f64 v[48:49], v[95:96], v[53:54], v[83:84]
	;; [unrolled: 2-line block ×4, first 2 shown]
	v_cvt_f64_f32_e32 v[89:90], v172
	v_cvt_f64_f32_e32 v[93:94], v42
	;; [unrolled: 1-line block ×5, first 2 shown]
	s_waitcnt vmcnt(7)
	v_fma_f64 v[26:27], v[51:52], v[55:56], v[26:27]
	v_fma_f64 v[36:37], v[91:92], v[55:56], v[36:37]
	;; [unrolled: 1-line block ×8, first 2 shown]
	v_cvt_f64_f32_e32 v[55:56], v13
	v_cvt_f64_f32_e32 v[13:14], v14
	;; [unrolled: 1-line block ×3, first 2 shown]
	v_fma_f64 v[26:27], -v[91:92], v[57:58], v[26:27]
	v_fma_f64 v[36:37], v[51:52], v[57:58], v[36:37]
	v_fma_f64 v[46:47], -v[101:102], v[57:58], v[46:47]
	v_fma_f64 v[48:49], v[97:98], v[57:58], v[48:49]
	;; [unrolled: 2-line block ×4, first 2 shown]
	v_cvt_f64_f32_e32 v[85:86], v174
	v_cvt_f64_f32_e32 v[91:92], v44
	;; [unrolled: 1-line block ×5, first 2 shown]
	s_waitcnt vmcnt(6)
	v_fma_f64 v[26:27], v[55:56], v[59:60], v[26:27]
	v_fma_f64 v[36:37], v[13:14], v[59:60], v[36:37]
	;; [unrolled: 1-line block ×8, first 2 shown]
	v_cvt_f64_f32_e32 v[59:60], v15
	v_cvt_f64_f32_e32 v[15:16], v16
	;; [unrolled: 1-line block ×3, first 2 shown]
	v_fma_f64 v[13:14], -v[13:14], v[61:62], v[26:27]
	v_fma_f64 v[26:27], v[55:56], v[61:62], v[36:37]
	v_fma_f64 v[36:37], -v[89:90], v[61:62], v[46:47]
	v_fma_f64 v[46:47], v[87:88], v[61:62], v[48:49]
	;; [unrolled: 2-line block ×4, first 2 shown]
	v_cvt_f64_f32_e32 v[55:56], v9
	v_cvt_f64_f32_e32 v[9:10], v10
	s_waitcnt vmcnt(4)
	v_cvt_f64_f32_e32 v[57:58], v67
	s_waitcnt vmcnt(3)
	v_cvt_f64_f32_e32 v[51:52], v71
	v_cvt_f64_f32_e32 v[53:54], v72
	v_fma_f64 v[13:14], v[59:60], v[63:64], v[13:14]
	v_fma_f64 v[26:27], v[15:16], v[63:64], v[26:27]
	;; [unrolled: 1-line block ×8, first 2 shown]
	v_cvt_f64_f32_e32 v[61:62], v68
	s_waitcnt vmcnt(2)
	v_cvt_f64_f32_e32 v[63:64], v75
	v_cvt_f64_f32_e32 v[67:68], v76
	v_fma_f64 v[13:14], -v[15:16], v[65:66], v[13:14]
	v_fma_f64 v[15:16], v[59:60], v[65:66], v[26:27]
	v_fma_f64 v[26:27], -v[85:86], v[65:66], v[36:37]
	v_fma_f64 v[36:37], v[83:84], v[65:66], v[46:47]
	;; [unrolled: 2-line block ×4, first 2 shown]
	v_cvt_f64_f32_e32 v[46:47], v74
	v_cvt_f64_f32_e32 v[59:60], v11
	;; [unrolled: 1-line block ×6, first 2 shown]
	s_waitcnt vmcnt(1)
	v_fma_f64 v[13:14], v[51:52], v[79:80], v[13:14]
	v_fma_f64 v[15:16], v[53:54], v[79:80], v[15:16]
	;; [unrolled: 1-line block ×8, first 2 shown]
	v_cvt_f64_f32_e32 v[44:45], v73
	v_cvt_f64_f32_e32 v[73:74], v78
	v_fma_f64 v[13:14], -v[53:54], v[81:82], v[13:14]
	v_fma_f64 v[15:16], v[51:52], v[81:82], v[15:16]
	v_fma_f64 v[9:10], -v[9:10], v[81:82], v[26:27]
	v_fma_f64 v[26:27], v[55:56], v[81:82], v[36:37]
	;; [unrolled: 2-line block ×4, first 2 shown]
	s_waitcnt vmcnt(0)
	v_fma_f64 v[13:14], v[44:45], v[22:23], v[13:14]
	v_fma_f64 v[15:16], v[46:47], v[22:23], v[15:16]
	;; [unrolled: 1-line block ×8, first 2 shown]
	v_fma_f64 v[48:49], -v[46:47], v[24:25], v[13:14]
	v_fma_f64 v[36:37], v[44:45], v[24:25], v[15:16]
	v_fma_f64 v[46:47], -v[11:12], v[24:25], v[9:10]
	v_fma_f64 v[42:43], v[59:60], v[24:25], v[26:27]
	;; [unrolled: 2-line block ×4, first 2 shown]
	s_andn2_b32 exec_lo, exec_lo, s9
	s_cbranch_execnz .LBB167_19
; %bb.20:
	s_or_b32 exec_lo, exec_lo, s9
.LBB167_21:
	s_or_b32 exec_lo, exec_lo, s8
.LBB167_22:
	s_or_b32 exec_lo, exec_lo, s3
	s_cbranch_execz .LBB167_24
	s_branch .LBB167_35
.LBB167_23:
                                        ; implicit-def: $vgpr36_vgpr37
                                        ; implicit-def: $vgpr48_vgpr49
                                        ; implicit-def: $vgpr42_vgpr43
                                        ; implicit-def: $vgpr46_vgpr47
                                        ; implicit-def: $vgpr40_vgpr41
                                        ; implicit-def: $vgpr44_vgpr45
                                        ; implicit-def: $vgpr38_vgpr39
                                        ; implicit-def: $vgpr34_vgpr35
.LBB167_24:
	v_mov_b32_e32 v36, 0
	v_mov_b32_e32 v48, 0
	;; [unrolled: 1-line block ×16, first 2 shown]
	s_and_saveexec_b32 s1, s0
	s_cbranch_execz .LBB167_34
; %bb.25:
	v_add_nc_u32_e32 v9, v21, v0
	v_not_b32_e32 v10, v21
	v_mov_b32_e32 v34, 0
	v_mov_b32_e32 v38, 0
	;; [unrolled: 1-line block ×3, first 2 shown]
	v_subrev_nc_u32_e32 v9, s2, v9
	v_mov_b32_e32 v40, 0
	v_mov_b32_e32 v46, 0
	;; [unrolled: 1-line block ×4, first 2 shown]
	v_add_nc_u32_e32 v9, 16, v9
	v_mov_b32_e32 v36, 0
	v_mov_b32_e32 v35, 0
	;; [unrolled: 1-line block ×4, first 2 shown]
	v_max_i32_e32 v9, v9, v50
	v_mov_b32_e32 v41, 0
	v_mov_b32_e32 v47, 0
	;; [unrolled: 1-line block ×4, first 2 shown]
	v_add3_u32 v9, s2, v9, v10
	v_mov_b32_e32 v37, 0
	s_mov_b32 s0, exec_lo
	v_sub_nc_u32_e32 v9, v9, v0
	v_and_b32_e32 v10, 48, v9
	v_cmpx_ne_u32_e32 48, v10
	s_cbranch_execz .LBB167_29
; %bb.26:
	v_lshrrev_b32_e32 v10, 4, v9
	v_mov_b32_e32 v36, 0
	v_mov_b32_e32 v48, 0
	v_mov_b32_e32 v42, 0
	v_mov_b32_e32 v46, 0
	v_add_nc_u32_e32 v10, 1, v10
	v_mov_b32_e32 v40, 0
	v_mov_b32_e32 v44, 0
	;; [unrolled: 1-line block ×4, first 2 shown]
	v_and_b32_e32 v10, 3, v10
	v_mov_b32_e32 v37, 0
	v_mov_b32_e32 v49, 0
	;; [unrolled: 1-line block ×8, first 2 shown]
	v_sub_nc_u32_e32 v10, 0, v10
	s_mov_b32 s3, 0
.LBB167_27:                             ; =>This Inner Loop Header: Depth=1
	v_ashrrev_i32_e32 v31, 31, v30
	v_add_co_u32 v10, s8, v10, 1
	s_or_b32 s3, s8, s3
	v_lshlrev_b64 v[11:12], 2, v[30:31]
	v_add_nc_u32_e32 v30, 16, v30
	v_add_co_u32 v11, vcc_lo, s12, v11
	v_add_co_ci_u32_e64 v12, null, s13, v12, vcc_lo
	global_load_dword v19, v[11:12], off
	s_clause 0x1
	global_load_dwordx4 v[11:14], v[32:33], off offset:16
	global_load_dwordx4 v[15:18], v[32:33], off
	s_waitcnt vmcnt(2)
	v_subrev_nc_u32_e32 v19, s2, v19
	s_waitcnt vmcnt(1)
	v_cvt_f64_f32_e32 v[85:86], v11
	s_waitcnt vmcnt(0)
	v_cvt_f64_f32_e32 v[83:84], v17
	v_cvt_f64_f32_e32 v[17:18], v18
	;; [unrolled: 1-line block ×3, first 2 shown]
	v_lshlrev_b32_e32 v19, 2, v19
	v_cvt_f64_f32_e32 v[87:88], v13
	v_cvt_f64_f32_e32 v[13:14], v14
	v_ashrrev_i32_e32 v20, 31, v19
	v_lshlrev_b64 v[19:20], 4, v[19:20]
	v_add_co_u32 v27, vcc_lo, s6, v19
	v_add_co_ci_u32_e64 v28, null, s7, v20, vcc_lo
	s_clause 0x1
	global_load_dwordx4 v[19:22], v[27:28], off
	global_load_dwordx4 v[23:26], v[27:28], off offset:16
	s_clause 0x3
	global_load_dwordx4 v[51:54], v[32:33], off offset:32
	global_load_dwordx4 v[55:58], v[32:33], off offset:48
	;; [unrolled: 1-line block ×4, first 2 shown]
	s_clause 0x1
	global_load_dwordx4 v[67:70], v[27:28], off offset:32
	global_load_dwordx4 v[71:74], v[27:28], off offset:48
	s_clause 0x1
	global_load_dwordx4 v[75:78], v[32:33], off offset:96
	global_load_dwordx4 v[79:82], v[32:33], off offset:112
	v_cvt_f64_f32_e32 v[27:28], v15
	v_cvt_f64_f32_e32 v[15:16], v16
	v_add_co_u32 v32, vcc_lo, 0x800, v32
	v_add_co_ci_u32_e64 v33, null, 0, v33, vcc_lo
	s_waitcnt vmcnt(9)
	v_fma_f64 v[48:49], v[27:28], v[19:20], v[48:49]
	v_fma_f64 v[36:37], v[15:16], v[19:20], v[36:37]
	;; [unrolled: 1-line block ×8, first 2 shown]
	s_waitcnt vmcnt(7)
	v_cvt_f64_f32_e32 v[38:39], v51
	v_cvt_f64_f32_e32 v[51:52], v52
	;; [unrolled: 1-line block ×4, first 2 shown]
	s_waitcnt vmcnt(6)
	v_cvt_f64_f32_e32 v[91:92], v55
	v_cvt_f64_f32_e32 v[55:56], v56
	;; [unrolled: 1-line block ×4, first 2 shown]
	v_fma_f64 v[15:16], -v[15:16], v[21:22], v[48:49]
	v_fma_f64 v[27:28], v[27:28], v[21:22], v[36:37]
	v_fma_f64 v[17:18], -v[17:18], v[21:22], v[46:47]
	v_fma_f64 v[36:37], v[83:84], v[21:22], v[42:43]
	;; [unrolled: 2-line block ×4, first 2 shown]
	s_waitcnt vmcnt(5)
	v_cvt_f64_f32_e32 v[42:43], v62
	s_waitcnt vmcnt(4)
	v_cvt_f64_f32_e32 v[44:45], v63
	v_cvt_f64_f32_e32 v[46:47], v64
	;; [unrolled: 1-line block ×3, first 2 shown]
	s_waitcnt vmcnt(0)
	v_cvt_f64_f32_e32 v[63:64], v82
	v_fma_f64 v[15:16], v[38:39], v[23:24], v[15:16]
	v_fma_f64 v[21:22], v[51:52], v[23:24], v[27:28]
	;; [unrolled: 1-line block ×8, first 2 shown]
	v_cvt_f64_f32_e32 v[23:24], v59
	v_cvt_f64_f32_e32 v[36:37], v60
	;; [unrolled: 1-line block ×5, first 2 shown]
	v_fma_f64 v[15:16], -v[51:52], v[25:26], v[15:16]
	v_fma_f64 v[21:22], v[38:39], v[25:26], v[21:22]
	v_fma_f64 v[17:18], -v[53:54], v[25:26], v[17:18]
	v_fma_f64 v[27:28], v[89:90], v[25:26], v[27:28]
	v_fma_f64 v[11:12], -v[55:56], v[25:26], v[11:12]
	v_fma_f64 v[34:35], v[91:92], v[25:26], v[34:35]
	v_fma_f64 v[13:14], -v[57:58], v[25:26], v[13:14]
	v_fma_f64 v[19:20], v[93:94], v[25:26], v[19:20]
	v_cvt_f64_f32_e32 v[38:39], v76
	v_cvt_f64_f32_e32 v[51:52], v77
	;; [unrolled: 1-line block ×5, first 2 shown]
	v_fma_f64 v[15:16], v[23:24], v[67:68], v[15:16]
	v_fma_f64 v[21:22], v[36:37], v[67:68], v[21:22]
	;; [unrolled: 1-line block ×8, first 2 shown]
	v_cvt_f64_f32_e32 v[34:35], v75
	v_fma_f64 v[15:16], -v[36:37], v[69:70], v[15:16]
	v_fma_f64 v[21:22], v[23:24], v[69:70], v[21:22]
	v_fma_f64 v[17:18], -v[42:43], v[69:70], v[17:18]
	v_fma_f64 v[23:24], v[40:41], v[69:70], v[25:26]
	v_fma_f64 v[11:12], -v[46:47], v[69:70], v[11:12]
	v_fma_f64 v[25:26], v[44:45], v[69:70], v[27:28]
	v_fma_f64 v[13:14], -v[59:60], v[69:70], v[13:14]
	v_fma_f64 v[19:20], v[48:49], v[69:70], v[19:20]
	v_fma_f64 v[15:16], v[34:35], v[71:72], v[15:16]
	v_fma_f64 v[21:22], v[38:39], v[71:72], v[21:22]
	v_fma_f64 v[17:18], v[51:52], v[71:72], v[17:18]
	v_fma_f64 v[23:24], v[53:54], v[71:72], v[23:24]
	v_fma_f64 v[11:12], v[55:56], v[71:72], v[11:12]
	v_fma_f64 v[25:26], v[57:58], v[71:72], v[25:26]
	v_fma_f64 v[13:14], v[61:62], v[71:72], v[13:14]
	v_fma_f64 v[19:20], v[63:64], v[71:72], v[19:20]
	v_fma_f64 v[48:49], -v[38:39], v[73:74], v[15:16]
	v_fma_f64 v[36:37], v[34:35], v[73:74], v[21:22]
	v_fma_f64 v[46:47], -v[53:54], v[73:74], v[17:18]
	v_fma_f64 v[42:43], v[51:52], v[73:74], v[23:24]
	;; [unrolled: 2-line block ×4, first 2 shown]
	s_andn2_b32 exec_lo, exec_lo, s3
	s_cbranch_execnz .LBB167_27
; %bb.28:
	s_or_b32 exec_lo, exec_lo, s3
.LBB167_29:
	s_or_b32 exec_lo, exec_lo, s0
	s_mov_b32 s3, exec_lo
	v_cmpx_lt_u32_e32 47, v9
	s_cbranch_execz .LBB167_33
; %bb.30:
	s_mov_b32 s8, 0
.LBB167_31:                             ; =>This Inner Loop Header: Depth=1
	v_ashrrev_i32_e32 v31, 31, v30
	v_add_co_u32 v103, s0, v32, 0x1000
	v_add_co_ci_u32_e64 v104, null, 0, v33, s0
	v_lshlrev_b64 v[9:10], 2, v[30:31]
	v_add_nc_u32_e32 v30, 64, v30
	v_add_co_u32 v51, vcc_lo, s12, v9
	v_add_co_ci_u32_e64 v52, null, s13, v10, vcc_lo
	s_clause 0x1
	global_load_dword v53, v[51:52], off
	global_load_dword v89, v[51:52], off offset:64
	s_clause 0x4
	global_load_dwordx4 v[25:28], v[32:33], off
	global_load_dwordx4 v[21:24], v[32:33], off offset:16
	global_load_dwordx4 v[17:20], v[32:33], off offset:32
	;; [unrolled: 1-line block ×4, first 2 shown]
	s_clause 0x1
	global_load_dword v169, v[51:52], off offset:128
	global_load_dword v31, v[51:52], off offset:192
	s_waitcnt vmcnt(8)
	v_subrev_nc_u32_e32 v51, s2, v53
	s_waitcnt vmcnt(7)
	v_subrev_nc_u32_e32 v89, s2, v89
	s_waitcnt vmcnt(6)
	v_cvt_f64_f32_e32 v[137:138], v25
	v_cvt_f64_f32_e32 v[25:26], v26
	v_cvt_f64_f32_e32 v[139:140], v27
	v_lshlrev_b32_e32 v51, 2, v51
	v_lshlrev_b32_e32 v89, 2, v89
	s_waitcnt vmcnt(4)
	v_cvt_f64_f32_e32 v[145:146], v17
	v_cvt_f64_f32_e32 v[147:148], v18
	s_waitcnt vmcnt(2)
	v_cvt_f64_f32_e32 v[161:162], v9
	v_ashrrev_i32_e32 v52, 31, v51
	v_ashrrev_i32_e32 v90, 31, v89
	v_cvt_f64_f32_e32 v[163:164], v10
	v_cvt_f64_f32_e32 v[165:166], v11
	;; [unrolled: 1-line block ×3, first 2 shown]
	v_lshlrev_b64 v[51:52], 4, v[51:52]
	v_lshlrev_b64 v[90:91], 4, v[89:90]
	v_cvt_f64_f32_e32 v[27:28], v28
	v_cvt_f64_f32_e32 v[141:142], v21
	;; [unrolled: 1-line block ×4, first 2 shown]
	v_add_co_u32 v87, vcc_lo, s6, v51
	v_add_co_ci_u32_e64 v88, null, s7, v52, vcc_lo
	v_add_co_u32 v119, vcc_lo, 0x800, v32
	v_add_co_ci_u32_e64 v120, null, 0, v33, vcc_lo
	s_clause 0x1
	global_load_dwordx4 v[51:54], v[87:88], off
	global_load_dwordx4 v[55:58], v[87:88], off offset:16
	s_clause 0x2
	global_load_dwordx4 v[59:62], v[32:33], off offset:80
	global_load_dwordx4 v[63:66], v[32:33], off offset:96
	;; [unrolled: 1-line block ×4, first 2 shown]
	s_clause 0x2
	global_load_dwordx4 v[75:78], v[103:104], off offset:-2048
	global_load_dwordx4 v[79:82], v[119:120], off offset:16
	global_load_dwordx4 v[83:86], v[119:120], off offset:32
	v_add_co_u32 v131, vcc_lo, s6, v90
	global_load_dwordx4 v[87:90], v[87:88], off offset:48
	v_add_co_ci_u32_e64 v132, null, s7, v91, vcc_lo
	global_load_dwordx4 v[91:94], v[131:132], off
	global_load_dwordx4 v[95:98], v[119:120], off offset:48
	v_add_co_u32 v133, vcc_lo, 0x1000, v32
	v_add_co_ci_u32_e64 v134, null, 0, v33, vcc_lo
	global_load_dwordx4 v[99:102], v[131:132], off offset:16
	s_clause 0x6
	global_load_dwordx4 v[103:106], v[103:104], off
	global_load_dwordx4 v[107:110], v[119:120], off offset:64
	global_load_dwordx4 v[111:114], v[119:120], off offset:80
	;; [unrolled: 1-line block ×7, first 2 shown]
	v_cvt_f64_f32_e32 v[23:24], v24
	v_cvt_f64_f32_e32 v[149:150], v19
	;; [unrolled: 1-line block ×7, first 2 shown]
	v_add_co_u32 v135, vcc_lo, 0x1800, v32
	v_add_co_ci_u32_e64 v136, null, 0, v33, vcc_lo
	s_waitcnt vmcnt(21)
	v_subrev_nc_u32_e32 v31, s2, v31
	v_add_co_u32 v32, s0, 0x2000, v32
	v_add_co_ci_u32_e64 v33, null, 0, v33, s0
	s_waitcnt vmcnt(20)
	v_fma_f64 v[17:18], v[25:26], v[51:52], v[36:37]
	v_fma_f64 v[42:43], v[27:28], v[51:52], v[42:43]
	;; [unrolled: 1-line block ×9, first 2 shown]
	v_subrev_nc_u32_e32 v46, s2, v169
	v_fma_f64 v[25:26], -v[25:26], v[53:54], v[13:14]
	v_fma_f64 v[42:43], v[139:140], v[53:54], v[42:43]
	v_fma_f64 v[44:45], -v[21:22], v[53:54], v[44:45]
	v_fma_f64 v[40:41], v[141:142], v[53:54], v[40:41]
	v_lshlrev_b32_e32 v46, 2, v46
	v_fma_f64 v[34:35], -v[23:24], v[53:54], v[34:35]
	v_fma_f64 v[38:39], v[143:144], v[53:54], v[38:39]
	global_load_dwordx4 v[13:16], v[133:134], off offset:48
	s_waitcnt vmcnt(19)
	v_cvt_f64_f32_e32 v[137:138], v59
	v_ashrrev_i32_e32 v47, 31, v46
	v_cvt_f64_f32_e32 v[59:60], v60
	s_waitcnt vmcnt(18)
	v_cvt_f64_f32_e32 v[139:140], v65
	v_cvt_f64_f32_e32 v[65:66], v66
	v_lshlrev_b64 v[46:47], 4, v[46:47]
	v_fma_f64 v[36:37], v[147:148], v[55:56], v[36:37]
	v_fma_f64 v[27:28], -v[27:28], v[53:54], v[17:18]
	global_load_dwordx4 v[17:20], v[131:132], off offset:48
	v_add_co_u32 v131, vcc_lo, s6, v46
	v_add_co_ci_u32_e64 v132, null, s7, v47, vcc_lo
	v_fma_f64 v[46:47], v[145:146], v[55:56], v[25:26]
	v_fma_f64 v[42:43], v[151:152], v[55:56], v[42:43]
	;; [unrolled: 1-line block ×3, first 2 shown]
	global_load_dwordx4 v[21:24], v[131:132], off
	v_fma_f64 v[40:41], v[155:156], v[55:56], v[40:41]
	v_fma_f64 v[51:52], v[157:158], v[55:56], v[34:35]
	;; [unrolled: 1-line block ×3, first 2 shown]
	v_cvt_f64_f32_e32 v[53:54], v61
	v_fma_f64 v[141:142], v[145:146], v[57:58], v[36:37]
	v_fma_f64 v[48:49], v[149:150], v[55:56], v[27:28]
	v_cvt_f64_f32_e32 v[55:56], v62
	s_clause 0x1
	global_load_dwordx4 v[25:28], v[133:134], off offset:64
	global_load_dwordx4 v[34:37], v[133:134], off offset:80
	v_cvt_f64_f32_e32 v[61:62], v63
	v_cvt_f64_f32_e32 v[63:64], v64
	v_fma_f64 v[46:47], -v[147:148], v[57:58], v[46:47]
	v_fma_f64 v[42:43], v[149:150], v[57:58], v[42:43]
	v_fma_f64 v[44:45], -v[155:156], v[57:58], v[44:45]
	s_waitcnt vmcnt(21)
	v_cvt_f64_f32_e32 v[145:146], v67
	v_fma_f64 v[143:144], v[153:154], v[57:58], v[40:41]
	v_fma_f64 v[51:52], -v[159:160], v[57:58], v[51:52]
	v_cvt_f64_f32_e32 v[67:68], v68
	s_waitcnt vmcnt(19)
	v_cvt_f64_f32_e32 v[153:154], v75
	v_cvt_f64_f32_e32 v[75:76], v76
	;; [unrolled: 1-line block ×4, first 2 shown]
	s_waitcnt vmcnt(17)
	v_cvt_f64_f32_e32 v[159:160], v83
	v_cvt_f64_f32_e32 v[83:84], v84
	v_fma_f64 v[141:142], v[163:164], v[71:72], v[141:142]
	v_fma_f64 v[48:49], -v[151:152], v[57:58], v[48:49]
	v_fma_f64 v[57:58], v[157:158], v[57:58], v[38:39]
	global_load_dwordx4 v[38:41], v[131:132], off offset:16
	v_fma_f64 v[46:47], v[161:162], v[71:72], v[46:47]
	v_fma_f64 v[149:150], v[167:168], v[71:72], v[42:43]
	v_fma_f64 v[151:152], v[137:138], v[71:72], v[44:45]
	global_load_dwordx4 v[42:45], v[133:134], off offset:96
	v_fma_f64 v[143:144], v[59:60], v[71:72], v[143:144]
	v_fma_f64 v[51:52], v[53:54], v[71:72], v[51:52]
	;; [unrolled: 1-line block ×4, first 2 shown]
	v_cvt_f64_f32_e32 v[71:72], v69
	v_cvt_f64_f32_e32 v[69:70], v70
	v_fma_f64 v[157:158], -v[163:164], v[73:74], v[46:47]
	global_load_dwordx4 v[46:49], v[133:134], off offset:112
	v_fma_f64 v[133:134], v[161:162], v[73:74], v[141:142]
	v_fma_f64 v[149:150], v[165:166], v[73:74], v[149:150]
	v_fma_f64 v[59:60], -v[59:60], v[73:74], v[151:152]
	v_fma_f64 v[137:138], v[137:138], v[73:74], v[143:144]
	v_fma_f64 v[55:56], -v[55:56], v[73:74], v[51:52]
	v_cvt_f64_f32_e32 v[141:142], v79
	v_cvt_f64_f32_e32 v[79:80], v80
	v_cvt_f64_f32_e32 v[161:162], v85
	v_cvt_f64_f32_e32 v[85:86], v86
	s_waitcnt vmcnt(17)
	v_cvt_f64_f32_e32 v[163:164], v95
	v_cvt_f64_f32_e32 v[95:96], v96
	;; [unrolled: 1-line block ×4, first 2 shown]
	v_fma_f64 v[147:148], -v[167:168], v[73:74], v[147:148]
	v_fma_f64 v[57:58], v[53:54], v[73:74], v[57:58]
	global_load_dwordx4 v[51:54], v[131:132], off offset:32
	v_cvt_f64_f32_e32 v[73:74], v81
	v_cvt_f64_f32_e32 v[81:82], v82
	v_fma_f64 v[143:144], v[61:62], v[87:88], v[157:158]
	v_fma_f64 v[133:134], v[63:64], v[87:88], v[133:134]
	;; [unrolled: 1-line block ×8, first 2 shown]
	global_load_dwordx4 v[55:58], v[135:136], off
	v_fma_f64 v[143:144], -v[63:64], v[89:90], v[143:144]
	v_fma_f64 v[133:134], v[61:62], v[89:90], v[133:134]
	v_fma_f64 v[139:140], v[139:140], v[89:90], v[149:150]
	v_fma_f64 v[67:68], -v[67:68], v[89:90], v[151:152]
	v_fma_f64 v[137:138], v[145:146], v[89:90], v[137:138]
	v_fma_f64 v[69:70], -v[69:70], v[89:90], v[157:158]
	global_load_dwordx4 v[59:62], v[135:136], off offset:16
	s_waitcnt vmcnt(15)
	v_cvt_f64_f32_e32 v[149:150], v117
	v_cvt_f64_f32_e32 v[117:118], v118
	s_waitcnt vmcnt(14)
	v_cvt_f64_f32_e32 v[151:152], v119
	v_cvt_f64_f32_e32 v[119:120], v120
	v_fma_f64 v[147:148], -v[65:66], v[89:90], v[147:148]
	v_fma_f64 v[71:72], v[71:72], v[89:90], v[87:88]
	global_load_dwordx4 v[63:66], v[131:132], off offset:48
	v_lshlrev_b32_e32 v87, 2, v31
	v_fma_f64 v[89:90], v[153:154], v[91:92], v[143:144]
	v_cvt_f64_f32_e32 v[143:144], v113
	v_fma_f64 v[131:132], v[75:76], v[91:92], v[133:134]
	v_fma_f64 v[139:140], v[77:78], v[91:92], v[139:140]
	v_fma_f64 v[67:68], v[141:142], v[91:92], v[67:68]
	v_fma_f64 v[137:138], v[79:80], v[91:92], v[137:138]
	v_fma_f64 v[69:70], v[73:74], v[91:92], v[69:70]
	v_ashrrev_i32_e32 v88, 31, v87
	v_cvt_f64_f32_e32 v[113:114], v114
	v_lshlrev_b64 v[87:88], 4, v[87:88]
	v_fma_f64 v[133:134], v[155:156], v[91:92], v[147:148]
	v_fma_f64 v[71:72], v[81:82], v[91:92], v[71:72]
	v_add_co_u32 v91, vcc_lo, s6, v87
	v_add_co_ci_u32_e64 v92, null, s7, v88, vcc_lo
	v_fma_f64 v[75:76], -v[75:76], v[93:94], v[89:90]
	v_cvt_f64_f32_e32 v[147:148], v115
	v_fma_f64 v[89:90], v[153:154], v[93:94], v[131:132]
	v_fma_f64 v[131:132], v[155:156], v[93:94], v[139:140]
	v_fma_f64 v[79:80], -v[79:80], v[93:94], v[67:68]
	v_cvt_f64_f32_e32 v[139:140], v109
	v_fma_f64 v[81:82], -v[81:82], v[93:94], v[69:70]
	v_cvt_f64_f32_e32 v[109:110], v110
	v_cvt_f64_f32_e32 v[115:116], v116
	;; [unrolled: 1-line block ×4, first 2 shown]
	v_cmp_ge_i32_e32 vcc_lo, v30, v50
	s_or_b32 s8, vcc_lo, s8
	v_fma_f64 v[77:78], -v[77:78], v[93:94], v[133:134]
	v_fma_f64 v[133:134], v[141:142], v[93:94], v[137:138]
	v_fma_f64 v[93:94], v[73:74], v[93:94], v[71:72]
	global_load_dwordx4 v[67:70], v[91:92], off
	global_load_dwordx4 v[71:74], v[135:136], off offset:32
	v_cvt_f64_f32_e32 v[141:142], v111
	v_fma_f64 v[87:88], v[159:160], v[99:100], v[75:76]
	v_cvt_f64_f32_e32 v[111:112], v112
	v_fma_f64 v[89:90], v[83:84], v[99:100], v[89:90]
	v_fma_f64 v[131:132], v[85:86], v[99:100], v[131:132]
	;; [unrolled: 1-line block ×7, first 2 shown]
	global_load_dwordx4 v[75:78], v[135:136], off offset:48
	v_cvt_f64_f32_e32 v[99:100], v107
	v_cvt_f64_f32_e32 v[107:108], v108
	v_fma_f64 v[87:88], -v[83:84], v[101:102], v[87:88]
	v_fma_f64 v[89:90], v[159:160], v[101:102], v[89:90]
	v_fma_f64 v[131:132], v[161:162], v[101:102], v[131:132]
	v_fma_f64 v[95:96], -v[95:96], v[101:102], v[79:80]
	v_fma_f64 v[97:98], -v[97:98], v[101:102], v[81:82]
	;; [unrolled: 1-line block ×3, first 2 shown]
	v_fma_f64 v[133:134], v[163:164], v[101:102], v[133:134]
	v_fma_f64 v[93:94], v[165:166], v[101:102], v[93:94]
	global_load_dwordx4 v[79:82], v[91:92], off offset:16
	global_load_dwordx4 v[83:86], v[135:136], off offset:64
	s_waitcnt vmcnt(17)
	v_fma_f64 v[101:102], v[99:100], v[9:10], v[87:88]
	v_fma_f64 v[145:146], v[107:108], v[9:10], v[89:90]
	;; [unrolled: 1-line block ×4, first 2 shown]
	global_load_dwordx4 v[87:90], v[135:136], off offset:80
	v_fma_f64 v[97:98], v[143:144], v[9:10], v[97:98]
	v_fma_f64 v[137:138], v[139:140], v[9:10], v[137:138]
	;; [unrolled: 1-line block ×4, first 2 shown]
	v_fma_f64 v[101:102], -v[107:108], v[11:12], v[101:102]
	v_fma_f64 v[99:100], v[99:100], v[11:12], v[145:146]
	v_fma_f64 v[111:112], -v[111:112], v[11:12], v[95:96]
	v_fma_f64 v[113:114], -v[113:114], v[11:12], v[97:98]
	;; [unrolled: 1-line block ×3, first 2 shown]
	v_fma_f64 v[109:110], v[139:140], v[11:12], v[131:132]
	v_fma_f64 v[131:132], v[141:142], v[11:12], v[133:134]
	v_fma_f64 v[133:134], v[143:144], v[11:12], v[9:10]
	s_clause 0x1
	global_load_dwordx4 v[9:12], v[91:92], off offset:32
	global_load_dwordx4 v[91:94], v[91:92], off offset:48
	global_load_dwordx4 v[95:98], v[135:136], off offset:96
	v_cvt_f64_f32_e32 v[141:142], v123
	v_cvt_f64_f32_e32 v[123:124], v124
	;; [unrolled: 1-line block ×4, first 2 shown]
	s_waitcnt vmcnt(19)
	v_fma_f64 v[137:138], v[147:148], v[17:18], v[101:102]
	v_fma_f64 v[139:140], v[115:116], v[17:18], v[99:100]
	;; [unrolled: 1-line block ×8, first 2 shown]
	global_load_dwordx4 v[99:102], v[135:136], off offset:112
	v_cvt_f64_f32_e32 v[133:134], v103
	v_cvt_f64_f32_e32 v[103:104], v104
	;; [unrolled: 1-line block ×4, first 2 shown]
	v_fma_f64 v[115:116], -v[115:116], v[19:20], v[137:138]
	v_fma_f64 v[137:138], v[147:148], v[19:20], v[139:140]
	v_fma_f64 v[107:108], -v[117:118], v[19:20], v[107:108]
	v_fma_f64 v[109:110], v[149:150], v[19:20], v[109:110]
	;; [unrolled: 2-line block ×4, first 2 shown]
	v_cvt_f64_f32_e32 v[119:120], v128
	v_cvt_f64_f32_e32 v[121:122], v129
	v_cvt_f64_f32_e32 v[131:132], v15
	v_cvt_f64_f32_e32 v[15:16], v16
	s_waitcnt vmcnt(19)
	v_fma_f64 v[19:20], v[133:134], v[21:22], v[115:116]
	v_fma_f64 v[115:116], v[103:104], v[21:22], v[137:138]
	v_fma_f64 v[107:108], v[135:136], v[21:22], v[107:108]
	v_fma_f64 v[109:110], v[105:106], v[21:22], v[109:110]
	v_fma_f64 v[111:112], v[141:142], v[21:22], v[111:112]
	v_fma_f64 v[117:118], v[123:124], v[21:22], v[117:118]
	v_fma_f64 v[113:114], v[143:144], v[21:22], v[113:114]
	v_fma_f64 v[17:18], v[125:126], v[21:22], v[17:18]
	v_cvt_f64_f32_e32 v[21:22], v127
	v_cvt_f64_f32_e32 v[127:128], v130
	v_cvt_f64_f32_e32 v[129:130], v13
	v_cvt_f64_f32_e32 v[13:14], v14
	v_fma_f64 v[19:20], -v[103:104], v[23:24], v[19:20]
	v_fma_f64 v[103:104], v[133:134], v[23:24], v[115:116]
	v_fma_f64 v[105:106], -v[105:106], v[23:24], v[107:108]
	v_fma_f64 v[107:108], v[135:136], v[23:24], v[109:110]
	v_fma_f64 v[109:110], -v[123:124], v[23:24], v[111:112]
	v_fma_f64 v[111:112], v[141:142], v[23:24], v[117:118]
	v_fma_f64 v[113:114], -v[125:126], v[23:24], v[113:114]
	v_fma_f64 v[17:18], v[143:144], v[23:24], v[17:18]
	s_waitcnt vmcnt(17)
	v_cvt_f64_f32_e32 v[115:116], v34
	v_cvt_f64_f32_e32 v[34:35], v35
	v_cvt_f64_f32_e32 v[117:118], v36
	v_cvt_f64_f32_e32 v[36:37], v37
	s_waitcnt vmcnt(16)
	v_fma_f64 v[19:20], v[21:22], v[38:39], v[19:20]
	v_fma_f64 v[23:24], v[119:120], v[38:39], v[103:104]
	v_fma_f64 v[103:104], v[121:122], v[38:39], v[105:106]
	v_fma_f64 v[105:106], v[127:128], v[38:39], v[107:108]
	v_fma_f64 v[107:108], v[129:130], v[38:39], v[109:110]
	v_fma_f64 v[109:110], v[13:14], v[38:39], v[111:112]
	v_fma_f64 v[111:112], v[131:132], v[38:39], v[113:114]
	v_fma_f64 v[17:18], v[15:16], v[38:39], v[17:18]
	v_cvt_f64_f32_e32 v[38:39], v25
	v_cvt_f64_f32_e32 v[25:26], v26
	v_cvt_f64_f32_e32 v[113:114], v27
	v_cvt_f64_f32_e32 v[27:28], v28
	v_fma_f64 v[19:20], -v[119:120], v[40:41], v[19:20]
	v_fma_f64 v[21:22], v[21:22], v[40:41], v[23:24]
	v_fma_f64 v[23:24], -v[127:128], v[40:41], v[103:104]
	v_fma_f64 v[103:104], v[121:122], v[40:41], v[105:106]
	v_fma_f64 v[13:14], -v[13:14], v[40:41], v[107:108]
	v_fma_f64 v[105:106], v[129:130], v[40:41], v[109:110]
	v_fma_f64 v[15:16], -v[15:16], v[40:41], v[111:112]
	v_fma_f64 v[17:18], v[131:132], v[40:41], v[17:18]
	s_waitcnt vmcnt(14)
	;; [unrolled: 26-line block ×3, first 2 shown]
	v_cvt_f64_f32_e32 v[34:35], v55
	v_cvt_f64_f32_e32 v[36:37], v56
	;; [unrolled: 1-line block ×4, first 2 shown]
	s_waitcnt vmcnt(11)
	v_cvt_f64_f32_e32 v[53:54], v59
	v_cvt_f64_f32_e32 v[55:56], v60
	;; [unrolled: 1-line block ×4, first 2 shown]
	s_waitcnt vmcnt(10)
	v_fma_f64 v[19:20], v[51:52], v[63:64], v[19:20]
	v_fma_f64 v[21:22], v[42:43], v[63:64], v[21:22]
	;; [unrolled: 1-line block ×8, first 2 shown]
	v_fma_f64 v[19:20], -v[42:43], v[65:66], v[19:20]
	v_fma_f64 v[21:22], v[51:52], v[65:66], v[21:22]
	v_fma_f64 v[23:24], -v[44:45], v[65:66], v[23:24]
	v_fma_f64 v[25:26], v[105:106], v[65:66], v[25:26]
	;; [unrolled: 2-line block ×4, first 2 shown]
	s_waitcnt vmcnt(8)
	v_cvt_f64_f32_e32 v[42:43], v71
	v_cvt_f64_f32_e32 v[44:45], v72
	;; [unrolled: 1-line block ×4, first 2 shown]
	s_waitcnt vmcnt(7)
	v_cvt_f64_f32_e32 v[51:52], v75
	v_cvt_f64_f32_e32 v[61:62], v76
	;; [unrolled: 1-line block ×4, first 2 shown]
	v_fma_f64 v[19:20], v[34:35], v[67:68], v[19:20]
	v_fma_f64 v[21:22], v[36:37], v[67:68], v[21:22]
	;; [unrolled: 1-line block ×8, first 2 shown]
	v_fma_f64 v[19:20], -v[36:37], v[69:70], v[19:20]
	v_fma_f64 v[21:22], v[34:35], v[69:70], v[21:22]
	v_fma_f64 v[23:24], -v[40:41], v[69:70], v[23:24]
	v_fma_f64 v[25:26], v[38:39], v[69:70], v[25:26]
	v_fma_f64 v[13:14], -v[55:56], v[69:70], v[13:14]
	v_fma_f64 v[27:28], v[53:54], v[69:70], v[27:28]
	v_fma_f64 v[15:16], -v[59:60], v[69:70], v[15:16]
	v_fma_f64 v[17:18], v[57:58], v[69:70], v[17:18]
	s_waitcnt vmcnt(5)
	v_cvt_f64_f32_e32 v[34:35], v83
	v_cvt_f64_f32_e32 v[36:37], v84
	;; [unrolled: 1-line block ×4, first 2 shown]
	s_waitcnt vmcnt(4)
	v_cvt_f64_f32_e32 v[53:54], v87
	v_cvt_f64_f32_e32 v[55:56], v88
	;; [unrolled: 1-line block ×4, first 2 shown]
	v_fma_f64 v[19:20], v[42:43], v[79:80], v[19:20]
	v_fma_f64 v[21:22], v[44:45], v[79:80], v[21:22]
	;; [unrolled: 1-line block ×8, first 2 shown]
	v_fma_f64 v[19:20], -v[44:45], v[81:82], v[19:20]
	v_fma_f64 v[21:22], v[42:43], v[81:82], v[21:22]
	v_fma_f64 v[23:24], -v[48:49], v[81:82], v[23:24]
	v_fma_f64 v[25:26], v[46:47], v[81:82], v[25:26]
	;; [unrolled: 2-line block ×4, first 2 shown]
	s_waitcnt vmcnt(1)
	v_cvt_f64_f32_e32 v[42:43], v96
	v_cvt_f64_f32_e32 v[44:45], v97
	;; [unrolled: 1-line block ×3, first 2 shown]
	v_fma_f64 v[19:20], v[34:35], v[9:10], v[19:20]
	v_fma_f64 v[21:22], v[36:37], v[9:10], v[21:22]
	;; [unrolled: 1-line block ×8, first 2 shown]
	v_cvt_f64_f32_e32 v[17:18], v95
	s_waitcnt vmcnt(0)
	v_cvt_f64_f32_e32 v[51:52], v99
	v_cvt_f64_f32_e32 v[61:62], v100
	;; [unrolled: 1-line block ×4, first 2 shown]
	v_fma_f64 v[19:20], -v[36:37], v[11:12], v[19:20]
	v_fma_f64 v[21:22], v[34:35], v[11:12], v[21:22]
	v_fma_f64 v[23:24], -v[40:41], v[11:12], v[23:24]
	v_fma_f64 v[25:26], v[38:39], v[11:12], v[25:26]
	;; [unrolled: 2-line block ×4, first 2 shown]
	v_fma_f64 v[11:12], v[17:18], v[91:92], v[19:20]
	v_fma_f64 v[19:20], v[42:43], v[91:92], v[21:22]
	;; [unrolled: 1-line block ×8, first 2 shown]
	v_fma_f64 v[48:49], -v[42:43], v[93:94], v[11:12]
	v_fma_f64 v[36:37], v[17:18], v[93:94], v[19:20]
	v_fma_f64 v[46:47], -v[46:47], v[93:94], v[21:22]
	v_fma_f64 v[42:43], v[44:45], v[93:94], v[23:24]
	;; [unrolled: 2-line block ×4, first 2 shown]
	s_andn2_b32 exec_lo, exec_lo, s8
	s_cbranch_execnz .LBB167_31
; %bb.32:
	s_or_b32 exec_lo, exec_lo, s8
.LBB167_33:
	s_or_b32 exec_lo, exec_lo, s3
.LBB167_34:
	s_or_b32 exec_lo, exec_lo, s1
.LBB167_35:
	v_mbcnt_lo_u32_b32 v50, -1, 0
	v_xor_b32_e32 v9, 8, v50
	v_xor_b32_e32 v25, 4, v50
	v_cmp_gt_i32_e32 vcc_lo, 32, v9
	v_cndmask_b32_e32 v9, v50, v9, vcc_lo
	v_cmp_gt_i32_e32 vcc_lo, 32, v25
	v_lshlrev_b32_e32 v24, 2, v9
	v_cndmask_b32_e32 v25, v50, v25, vcc_lo
	ds_bpermute_b32 v9, v24, v48
	ds_bpermute_b32 v10, v24, v49
	;; [unrolled: 1-line block ×16, first 2 shown]
	s_waitcnt lgkmcnt(14)
	v_add_f64 v[9:10], v[48:49], v[9:10]
	s_waitcnt lgkmcnt(12)
	v_add_f64 v[11:12], v[36:37], v[11:12]
	;; [unrolled: 2-line block ×6, first 2 shown]
	v_lshlrev_b32_e32 v41, 2, v25
	s_waitcnt lgkmcnt(2)
	v_add_f64 v[21:22], v[34:35], v[21:22]
	s_waitcnt lgkmcnt(0)
	v_add_f64 v[23:24], v[38:39], v[23:24]
	ds_bpermute_b32 v25, v41, v9
	ds_bpermute_b32 v26, v41, v10
	;; [unrolled: 1-line block ×16, first 2 shown]
	s_waitcnt lgkmcnt(14)
	v_add_f64 v[9:10], v[9:10], v[25:26]
	v_xor_b32_e32 v25, 2, v50
	s_waitcnt lgkmcnt(12)
	v_add_f64 v[11:12], v[11:12], v[27:28]
	s_waitcnt lgkmcnt(10)
	v_add_f64 v[13:14], v[13:14], v[30:31]
	v_cmp_gt_i32_e32 vcc_lo, 32, v25
	s_waitcnt lgkmcnt(8)
	v_add_f64 v[15:16], v[15:16], v[32:33]
	s_waitcnt lgkmcnt(6)
	v_add_f64 v[17:18], v[17:18], v[34:35]
	;; [unrolled: 2-line block ×3, first 2 shown]
	v_cndmask_b32_e32 v27, v50, v25, vcc_lo
	s_waitcnt lgkmcnt(2)
	v_add_f64 v[21:22], v[21:22], v[38:39]
	s_waitcnt lgkmcnt(0)
	v_add_f64 v[25:26], v[23:24], v[40:41]
	v_lshlrev_b32_e32 v41, 2, v27
	ds_bpermute_b32 v23, v41, v9
	ds_bpermute_b32 v24, v41, v10
	ds_bpermute_b32 v27, v41, v11
	ds_bpermute_b32 v28, v41, v12
	ds_bpermute_b32 v30, v41, v13
	ds_bpermute_b32 v31, v41, v14
	ds_bpermute_b32 v32, v41, v15
	ds_bpermute_b32 v33, v41, v16
	ds_bpermute_b32 v34, v41, v17
	ds_bpermute_b32 v35, v41, v18
	ds_bpermute_b32 v36, v41, v19
	ds_bpermute_b32 v37, v41, v20
	ds_bpermute_b32 v38, v41, v21
	ds_bpermute_b32 v39, v41, v22
	ds_bpermute_b32 v40, v41, v25
	ds_bpermute_b32 v41, v41, v26
	s_waitcnt lgkmcnt(14)
	v_add_f64 v[9:10], v[9:10], v[23:24]
	s_waitcnt lgkmcnt(12)
	v_add_f64 v[27:28], v[11:12], v[27:28]
	s_waitcnt lgkmcnt(10)
	v_add_f64 v[11:12], v[13:14], v[30:31]
	v_xor_b32_e32 v30, 1, v50
	s_waitcnt lgkmcnt(8)
	v_add_f64 v[23:24], v[15:16], v[32:33]
	s_waitcnt lgkmcnt(6)
	v_add_f64 v[13:14], v[17:18], v[34:35]
	v_cmp_gt_i32_e32 vcc_lo, 32, v30
	s_waitcnt lgkmcnt(4)
	v_add_f64 v[17:18], v[19:20], v[36:37]
	s_waitcnt lgkmcnt(2)
	v_add_f64 v[15:16], v[21:22], v[38:39]
	s_waitcnt lgkmcnt(0)
	v_add_f64 v[19:20], v[25:26], v[40:41]
	v_cndmask_b32_e32 v30, v50, v30, vcc_lo
	v_cmp_eq_u32_e32 vcc_lo, 15, v0
	v_lshlrev_b32_e32 v35, 2, v30
	ds_bpermute_b32 v21, v35, v9
	ds_bpermute_b32 v22, v35, v10
	ds_bpermute_b32 v40, v35, v27
	ds_bpermute_b32 v41, v35, v28
	ds_bpermute_b32 v25, v35, v11
	ds_bpermute_b32 v26, v35, v12
	ds_bpermute_b32 v38, v35, v23
	ds_bpermute_b32 v39, v35, v24
	ds_bpermute_b32 v30, v35, v13
	ds_bpermute_b32 v31, v35, v14
	ds_bpermute_b32 v36, v35, v17
	ds_bpermute_b32 v37, v35, v18
	ds_bpermute_b32 v32, v35, v15
	ds_bpermute_b32 v33, v35, v16
	ds_bpermute_b32 v34, v35, v19
	ds_bpermute_b32 v35, v35, v20
	s_and_b32 exec_lo, exec_lo, vcc_lo
	s_cbranch_execz .LBB167_8
; %bb.36:
	s_waitcnt lgkmcnt(12)
	v_add_f64 v[27:28], v[27:28], v[40:41]
	s_waitcnt lgkmcnt(8)
	v_add_f64 v[23:24], v[23:24], v[38:39]
	;; [unrolled: 2-line block ×4, first 2 shown]
	v_add_f64 v[9:10], v[9:10], v[21:22]
	v_add_f64 v[11:12], v[11:12], v[25:26]
	v_add_f64 v[21:22], v[13:14], v[30:31]
	v_add_f64 v[25:26], v[15:16], v[32:33]
	v_cmp_eq_f64_e32 vcc_lo, 0, v[1:2]
	v_cmp_eq_f64_e64 s0, 0, v[3:4]
	s_load_dwordx2 s[2:3], s[4:5], 0x60
	v_mul_f64 v[13:14], v[27:28], -v[7:8]
	v_mul_f64 v[15:16], v[5:6], v[27:28]
	v_mul_f64 v[27:28], v[23:24], -v[7:8]
	v_mul_f64 v[23:24], v[5:6], v[23:24]
	;; [unrolled: 2-line block ×4, first 2 shown]
	s_and_b32 s0, vcc_lo, s0
	v_fma_f64 v[17:18], v[5:6], v[9:10], v[13:14]
	v_fma_f64 v[19:20], v[7:8], v[9:10], v[15:16]
	;; [unrolled: 1-line block ×8, first 2 shown]
	v_lshlrev_b32_e32 v21, 2, v29
	s_and_saveexec_b32 s1, s0
	s_xor_b32 s0, exec_lo, s1
	s_cbranch_execz .LBB167_38
; %bb.37:
	v_ashrrev_i32_e32 v22, 31, v21
	v_lshlrev_b64 v[0:1], 4, v[21:22]
                                        ; implicit-def: $vgpr21
	s_waitcnt lgkmcnt(0)
	v_add_co_u32 v0, vcc_lo, s2, v0
	v_add_co_ci_u32_e64 v1, null, s3, v1, vcc_lo
	global_store_dwordx4 v[0:1], v[17:20], off
	global_store_dwordx4 v[0:1], v[13:16], off offset:16
	global_store_dwordx4 v[0:1], v[9:12], off offset:32
	;; [unrolled: 1-line block ×3, first 2 shown]
                                        ; implicit-def: $vgpr3_vgpr4
                                        ; implicit-def: $vgpr17_vgpr18
                                        ; implicit-def: $vgpr13_vgpr14
                                        ; implicit-def: $vgpr9_vgpr10
                                        ; implicit-def: $vgpr5_vgpr6
.LBB167_38:
	s_andn2_saveexec_b32 s0, s0
	s_cbranch_execz .LBB167_8
; %bb.39:
	v_ashrrev_i32_e32 v22, 31, v21
	v_lshlrev_b64 v[21:22], 4, v[21:22]
	s_waitcnt lgkmcnt(0)
	v_add_co_u32 v37, vcc_lo, s2, v21
	v_add_co_ci_u32_e64 v38, null, s3, v22, vcc_lo
	s_clause 0x3
	global_load_dwordx4 v[21:24], v[37:38], off
	global_load_dwordx4 v[25:28], v[37:38], off offset:16
	global_load_dwordx4 v[29:32], v[37:38], off offset:32
	;; [unrolled: 1-line block ×3, first 2 shown]
	s_waitcnt vmcnt(3)
	v_fma_f64 v[17:18], v[1:2], v[21:22], v[17:18]
	v_fma_f64 v[19:20], v[3:4], v[21:22], v[19:20]
	s_waitcnt vmcnt(2)
	v_fma_f64 v[13:14], v[1:2], v[25:26], v[13:14]
	v_fma_f64 v[15:16], v[3:4], v[25:26], v[15:16]
	;; [unrolled: 3-line block ×4, first 2 shown]
	v_fma_f64 v[5:6], -v[3:4], v[23:24], v[17:18]
	v_fma_f64 v[7:8], v[1:2], v[23:24], v[19:20]
	v_fma_f64 v[9:10], -v[3:4], v[27:28], v[13:14]
	v_fma_f64 v[11:12], v[1:2], v[27:28], v[15:16]
	;; [unrolled: 2-line block ×4, first 2 shown]
	global_store_dwordx4 v[37:38], v[5:8], off
	global_store_dwordx4 v[37:38], v[9:12], off offset:16
	global_store_dwordx4 v[37:38], v[13:16], off offset:32
	global_store_dwordx4 v[37:38], v[17:20], off offset:48
	s_endpgm
	.section	.rodata,"a",@progbits
	.p2align	6, 0x0
	.amdhsa_kernel _ZN9rocsparseL18bsrxmvn_4x4_kernelILj128ELj16E21rocsparse_complex_numIdEiiS1_IfES2_S2_EEvT3_20rocsparse_direction_NS_24const_host_device_scalarIT1_EES4_PKS4_PKT2_SD_SA_PKT4_PKT5_S8_PT6_21rocsparse_index_base_b
		.amdhsa_group_segment_fixed_size 0
		.amdhsa_private_segment_fixed_size 0
		.amdhsa_kernarg_size 112
		.amdhsa_user_sgpr_count 6
		.amdhsa_user_sgpr_private_segment_buffer 1
		.amdhsa_user_sgpr_dispatch_ptr 0
		.amdhsa_user_sgpr_queue_ptr 0
		.amdhsa_user_sgpr_kernarg_segment_ptr 1
		.amdhsa_user_sgpr_dispatch_id 0
		.amdhsa_user_sgpr_flat_scratch_init 0
		.amdhsa_user_sgpr_private_segment_size 0
		.amdhsa_wavefront_size32 1
		.amdhsa_uses_dynamic_stack 0
		.amdhsa_system_sgpr_private_segment_wavefront_offset 0
		.amdhsa_system_sgpr_workgroup_id_x 1
		.amdhsa_system_sgpr_workgroup_id_y 0
		.amdhsa_system_sgpr_workgroup_id_z 0
		.amdhsa_system_sgpr_workgroup_info 0
		.amdhsa_system_vgpr_workitem_id 0
		.amdhsa_next_free_vgpr 199
		.amdhsa_next_free_sgpr 16
		.amdhsa_reserve_vcc 1
		.amdhsa_reserve_flat_scratch 0
		.amdhsa_float_round_mode_32 0
		.amdhsa_float_round_mode_16_64 0
		.amdhsa_float_denorm_mode_32 3
		.amdhsa_float_denorm_mode_16_64 3
		.amdhsa_dx10_clamp 1
		.amdhsa_ieee_mode 1
		.amdhsa_fp16_overflow 0
		.amdhsa_workgroup_processor_mode 1
		.amdhsa_memory_ordered 1
		.amdhsa_forward_progress 1
		.amdhsa_shared_vgpr_count 0
		.amdhsa_exception_fp_ieee_invalid_op 0
		.amdhsa_exception_fp_denorm_src 0
		.amdhsa_exception_fp_ieee_div_zero 0
		.amdhsa_exception_fp_ieee_overflow 0
		.amdhsa_exception_fp_ieee_underflow 0
		.amdhsa_exception_fp_ieee_inexact 0
		.amdhsa_exception_int_div_zero 0
	.end_amdhsa_kernel
	.section	.text._ZN9rocsparseL18bsrxmvn_4x4_kernelILj128ELj16E21rocsparse_complex_numIdEiiS1_IfES2_S2_EEvT3_20rocsparse_direction_NS_24const_host_device_scalarIT1_EES4_PKS4_PKT2_SD_SA_PKT4_PKT5_S8_PT6_21rocsparse_index_base_b,"axG",@progbits,_ZN9rocsparseL18bsrxmvn_4x4_kernelILj128ELj16E21rocsparse_complex_numIdEiiS1_IfES2_S2_EEvT3_20rocsparse_direction_NS_24const_host_device_scalarIT1_EES4_PKS4_PKT2_SD_SA_PKT4_PKT5_S8_PT6_21rocsparse_index_base_b,comdat
.Lfunc_end167:
	.size	_ZN9rocsparseL18bsrxmvn_4x4_kernelILj128ELj16E21rocsparse_complex_numIdEiiS1_IfES2_S2_EEvT3_20rocsparse_direction_NS_24const_host_device_scalarIT1_EES4_PKS4_PKT2_SD_SA_PKT4_PKT5_S8_PT6_21rocsparse_index_base_b, .Lfunc_end167-_ZN9rocsparseL18bsrxmvn_4x4_kernelILj128ELj16E21rocsparse_complex_numIdEiiS1_IfES2_S2_EEvT3_20rocsparse_direction_NS_24const_host_device_scalarIT1_EES4_PKS4_PKT2_SD_SA_PKT4_PKT5_S8_PT6_21rocsparse_index_base_b
                                        ; -- End function
	.set _ZN9rocsparseL18bsrxmvn_4x4_kernelILj128ELj16E21rocsparse_complex_numIdEiiS1_IfES2_S2_EEvT3_20rocsparse_direction_NS_24const_host_device_scalarIT1_EES4_PKS4_PKT2_SD_SA_PKT4_PKT5_S8_PT6_21rocsparse_index_base_b.num_vgpr, 199
	.set _ZN9rocsparseL18bsrxmvn_4x4_kernelILj128ELj16E21rocsparse_complex_numIdEiiS1_IfES2_S2_EEvT3_20rocsparse_direction_NS_24const_host_device_scalarIT1_EES4_PKS4_PKT2_SD_SA_PKT4_PKT5_S8_PT6_21rocsparse_index_base_b.num_agpr, 0
	.set _ZN9rocsparseL18bsrxmvn_4x4_kernelILj128ELj16E21rocsparse_complex_numIdEiiS1_IfES2_S2_EEvT3_20rocsparse_direction_NS_24const_host_device_scalarIT1_EES4_PKS4_PKT2_SD_SA_PKT4_PKT5_S8_PT6_21rocsparse_index_base_b.numbered_sgpr, 16
	.set _ZN9rocsparseL18bsrxmvn_4x4_kernelILj128ELj16E21rocsparse_complex_numIdEiiS1_IfES2_S2_EEvT3_20rocsparse_direction_NS_24const_host_device_scalarIT1_EES4_PKS4_PKT2_SD_SA_PKT4_PKT5_S8_PT6_21rocsparse_index_base_b.num_named_barrier, 0
	.set _ZN9rocsparseL18bsrxmvn_4x4_kernelILj128ELj16E21rocsparse_complex_numIdEiiS1_IfES2_S2_EEvT3_20rocsparse_direction_NS_24const_host_device_scalarIT1_EES4_PKS4_PKT2_SD_SA_PKT4_PKT5_S8_PT6_21rocsparse_index_base_b.private_seg_size, 0
	.set _ZN9rocsparseL18bsrxmvn_4x4_kernelILj128ELj16E21rocsparse_complex_numIdEiiS1_IfES2_S2_EEvT3_20rocsparse_direction_NS_24const_host_device_scalarIT1_EES4_PKS4_PKT2_SD_SA_PKT4_PKT5_S8_PT6_21rocsparse_index_base_b.uses_vcc, 1
	.set _ZN9rocsparseL18bsrxmvn_4x4_kernelILj128ELj16E21rocsparse_complex_numIdEiiS1_IfES2_S2_EEvT3_20rocsparse_direction_NS_24const_host_device_scalarIT1_EES4_PKS4_PKT2_SD_SA_PKT4_PKT5_S8_PT6_21rocsparse_index_base_b.uses_flat_scratch, 0
	.set _ZN9rocsparseL18bsrxmvn_4x4_kernelILj128ELj16E21rocsparse_complex_numIdEiiS1_IfES2_S2_EEvT3_20rocsparse_direction_NS_24const_host_device_scalarIT1_EES4_PKS4_PKT2_SD_SA_PKT4_PKT5_S8_PT6_21rocsparse_index_base_b.has_dyn_sized_stack, 0
	.set _ZN9rocsparseL18bsrxmvn_4x4_kernelILj128ELj16E21rocsparse_complex_numIdEiiS1_IfES2_S2_EEvT3_20rocsparse_direction_NS_24const_host_device_scalarIT1_EES4_PKS4_PKT2_SD_SA_PKT4_PKT5_S8_PT6_21rocsparse_index_base_b.has_recursion, 0
	.set _ZN9rocsparseL18bsrxmvn_4x4_kernelILj128ELj16E21rocsparse_complex_numIdEiiS1_IfES2_S2_EEvT3_20rocsparse_direction_NS_24const_host_device_scalarIT1_EES4_PKS4_PKT2_SD_SA_PKT4_PKT5_S8_PT6_21rocsparse_index_base_b.has_indirect_call, 0
	.section	.AMDGPU.csdata,"",@progbits
; Kernel info:
; codeLenInByte = 11308
; TotalNumSgprs: 18
; NumVgprs: 199
; ScratchSize: 0
; MemoryBound: 0
; FloatMode: 240
; IeeeMode: 1
; LDSByteSize: 0 bytes/workgroup (compile time only)
; SGPRBlocks: 0
; VGPRBlocks: 24
; NumSGPRsForWavesPerEU: 18
; NumVGPRsForWavesPerEU: 199
; Occupancy: 4
; WaveLimiterHint : 1
; COMPUTE_PGM_RSRC2:SCRATCH_EN: 0
; COMPUTE_PGM_RSRC2:USER_SGPR: 6
; COMPUTE_PGM_RSRC2:TRAP_HANDLER: 0
; COMPUTE_PGM_RSRC2:TGID_X_EN: 1
; COMPUTE_PGM_RSRC2:TGID_Y_EN: 0
; COMPUTE_PGM_RSRC2:TGID_Z_EN: 0
; COMPUTE_PGM_RSRC2:TIDIG_COMP_CNT: 0
	.section	.text._ZN9rocsparseL18bsrxmvn_4x4_kernelILj128ELj32E21rocsparse_complex_numIdEiiS1_IfES2_S2_EEvT3_20rocsparse_direction_NS_24const_host_device_scalarIT1_EES4_PKS4_PKT2_SD_SA_PKT4_PKT5_S8_PT6_21rocsparse_index_base_b,"axG",@progbits,_ZN9rocsparseL18bsrxmvn_4x4_kernelILj128ELj32E21rocsparse_complex_numIdEiiS1_IfES2_S2_EEvT3_20rocsparse_direction_NS_24const_host_device_scalarIT1_EES4_PKS4_PKT2_SD_SA_PKT4_PKT5_S8_PT6_21rocsparse_index_base_b,comdat
	.globl	_ZN9rocsparseL18bsrxmvn_4x4_kernelILj128ELj32E21rocsparse_complex_numIdEiiS1_IfES2_S2_EEvT3_20rocsparse_direction_NS_24const_host_device_scalarIT1_EES4_PKS4_PKT2_SD_SA_PKT4_PKT5_S8_PT6_21rocsparse_index_base_b ; -- Begin function _ZN9rocsparseL18bsrxmvn_4x4_kernelILj128ELj32E21rocsparse_complex_numIdEiiS1_IfES2_S2_EEvT3_20rocsparse_direction_NS_24const_host_device_scalarIT1_EES4_PKS4_PKT2_SD_SA_PKT4_PKT5_S8_PT6_21rocsparse_index_base_b
	.p2align	8
	.type	_ZN9rocsparseL18bsrxmvn_4x4_kernelILj128ELj32E21rocsparse_complex_numIdEiiS1_IfES2_S2_EEvT3_20rocsparse_direction_NS_24const_host_device_scalarIT1_EES4_PKS4_PKT2_SD_SA_PKT4_PKT5_S8_PT6_21rocsparse_index_base_b,@function
_ZN9rocsparseL18bsrxmvn_4x4_kernelILj128ELj32E21rocsparse_complex_numIdEiiS1_IfES2_S2_EEvT3_20rocsparse_direction_NS_24const_host_device_scalarIT1_EES4_PKS4_PKT2_SD_SA_PKT4_PKT5_S8_PT6_21rocsparse_index_base_b: ; @_ZN9rocsparseL18bsrxmvn_4x4_kernelILj128ELj32E21rocsparse_complex_numIdEiiS1_IfES2_S2_EEvT3_20rocsparse_direction_NS_24const_host_device_scalarIT1_EES4_PKS4_PKT2_SD_SA_PKT4_PKT5_S8_PT6_21rocsparse_index_base_b
; %bb.0:
	s_clause 0x1
	s_load_dwordx2 s[2:3], s[4:5], 0x68
	s_load_dwordx2 s[0:1], s[4:5], 0x8
	s_add_u32 s7, s4, 8
	s_addc_u32 s10, s5, 0
	s_add_u32 s11, s4, 0x50
	s_addc_u32 s12, s5, 0
	s_load_dwordx2 s[8:9], s[4:5], 0x50
	s_waitcnt lgkmcnt(0)
	s_bitcmp1_b32 s3, 0
	s_cselect_b32 s0, s7, s0
	s_cselect_b32 s1, s10, s1
	v_mov_b32_e32 v1, s0
	v_mov_b32_e32 v2, s1
	s_cselect_b32 s0, s11, s8
	s_cselect_b32 s1, s12, s9
	flat_load_dwordx4 v[5:8], v[1:2]
	v_mov_b32_e32 v1, s0
	v_mov_b32_e32 v2, s1
	flat_load_dwordx4 v[1:4], v[1:2]
	s_waitcnt vmcnt(1) lgkmcnt(1)
	v_cmp_eq_f64_e32 vcc_lo, 0, v[5:6]
	v_cmp_eq_f64_e64 s0, 0, v[7:8]
	s_and_b32 s3, vcc_lo, s0
	s_mov_b32 s0, -1
	s_and_saveexec_b32 s1, s3
	s_cbranch_execz .LBB168_2
; %bb.1:
	s_waitcnt vmcnt(0) lgkmcnt(0)
	v_cmp_neq_f64_e32 vcc_lo, 1.0, v[1:2]
	v_cmp_neq_f64_e64 s0, 0, v[3:4]
	s_or_b32 s0, vcc_lo, s0
	s_orn2_b32 s0, s0, exec_lo
.LBB168_2:
	s_or_b32 exec_lo, exec_lo, s1
	s_and_saveexec_b32 s1, s0
	s_cbranch_execz .LBB168_8
; %bb.3:
	s_clause 0x1
	s_load_dwordx2 s[8:9], s[4:5], 0x20
	s_load_dwordx2 s[0:1], s[4:5], 0x0
	v_lshrrev_b32_e32 v9, 5, v0
	v_lshl_or_b32 v29, s6, 2, v9
	s_waitcnt lgkmcnt(0)
	s_cmp_lg_u64 s[8:9], 0
	s_cbranch_scc0 .LBB168_9
; %bb.4:
	s_load_dword s3, s[4:5], 0x18
	s_mov_b32 s6, 0
                                        ; implicit-def: $vgpr9
	s_waitcnt lgkmcnt(0)
	v_cmp_gt_i32_e32 vcc_lo, s3, v29
	s_mov_b32 s3, 0
	s_and_saveexec_b32 s7, vcc_lo
	s_xor_b32 s7, exec_lo, s7
	s_cbranch_execz .LBB168_6
; %bb.5:
	v_ashrrev_i32_e32 v30, 31, v29
	s_mov_b32 s3, exec_lo
	v_lshlrev_b64 v[9:10], 2, v[29:30]
	v_add_co_u32 v9, vcc_lo, s8, v9
	v_add_co_ci_u32_e64 v10, null, s9, v10, vcc_lo
	global_load_dword v9, v[9:10], off
	s_waitcnt vmcnt(0)
	v_subrev_nc_u32_e32 v9, s2, v9
.LBB168_6:
	s_or_b32 exec_lo, exec_lo, s7
	s_and_b32 vcc_lo, exec_lo, s6
	s_cbranch_vccz .LBB168_10
.LBB168_7:
	v_cmp_gt_i32_e32 vcc_lo, s0, v29
	s_andn2_b32 s0, s3, exec_lo
	s_and_b32 s3, vcc_lo, exec_lo
	s_or_b32 s3, s0, s3
	s_and_b32 exec_lo, exec_lo, s3
	s_cbranch_execnz .LBB168_11
.LBB168_8:
	s_endpgm
.LBB168_9:
	s_mov_b32 s3, 0
                                        ; implicit-def: $vgpr9
	s_cbranch_execnz .LBB168_7
.LBB168_10:
	v_mov_b32_e32 v29, v9
	s_and_b32 exec_lo, exec_lo, s3
	s_cbranch_execz .LBB168_8
.LBB168_11:
	s_load_dwordx8 s[8:15], s[4:5], 0x28
	v_ashrrev_i32_e32 v30, 31, v29
	v_and_b32_e32 v0, 31, v0
	s_load_dwordx2 s[6:7], s[4:5], 0x48
	v_lshlrev_b64 v[9:10], 2, v[29:30]
	s_waitcnt lgkmcnt(0)
	v_add_co_u32 v11, vcc_lo, s8, v9
	v_add_co_ci_u32_e64 v12, null, s9, v10, vcc_lo
	v_add_co_u32 v9, vcc_lo, s10, v9
	v_add_co_ci_u32_e64 v10, null, s11, v10, vcc_lo
	global_load_dword v21, v[11:12], off
	v_add_co_u32 v11, vcc_lo, v11, 4
	v_add_co_ci_u32_e64 v12, null, 0, v12, vcc_lo
	s_cmp_eq_u64 s[10:11], 0
	s_cselect_b32 vcc_lo, -1, 0
	s_cmp_eq_u32 s1, 1
	v_cndmask_b32_e32 v10, v10, v12, vcc_lo
	v_cndmask_b32_e32 v9, v9, v11, vcc_lo
	global_load_dword v11, v[9:10], off
	s_waitcnt vmcnt(1)
	v_subrev_nc_u32_e32 v9, s2, v21
	v_add_nc_u32_e32 v30, v9, v0
	v_ashrrev_i32_e32 v31, 31, v30
	s_waitcnt vmcnt(0)
	v_subrev_nc_u32_e32 v50, s2, v11
	v_lshlrev_b64 v[9:10], 7, v[30:31]
	v_cmp_lt_i32_e64 s0, v30, v50
	v_add_co_u32 v32, vcc_lo, s14, v9
	v_add_co_ci_u32_e64 v33, null, s15, v10, vcc_lo
	s_cbranch_scc1 .LBB168_23
; %bb.12:
	v_mov_b32_e32 v36, 0
	v_mov_b32_e32 v48, 0
	;; [unrolled: 1-line block ×16, first 2 shown]
	s_and_saveexec_b32 s3, s0
	s_cbranch_execz .LBB168_22
; %bb.13:
	v_add_nc_u32_e32 v9, v21, v0
	v_not_b32_e32 v10, v21
	v_mov_b32_e32 v34, 0
	v_mov_b32_e32 v38, 0
	;; [unrolled: 1-line block ×3, first 2 shown]
	v_subrev_nc_u32_e32 v9, s2, v9
	v_mov_b32_e32 v40, 0
	v_mov_b32_e32 v46, 0
	;; [unrolled: 1-line block ×4, first 2 shown]
	v_add_nc_u32_e32 v9, 32, v9
	v_mov_b32_e32 v36, 0
	v_mov_b32_e32 v19, v32
	;; [unrolled: 1-line block ×4, first 2 shown]
	v_max_i32_e32 v9, v9, v50
	v_mov_b32_e32 v45, 0
	v_mov_b32_e32 v41, 0
	;; [unrolled: 1-line block ×4, first 2 shown]
	v_add3_u32 v9, s2, v9, v10
	v_mov_b32_e32 v49, 0
	v_mov_b32_e32 v37, 0
	;; [unrolled: 1-line block ×4, first 2 shown]
	v_sub_nc_u32_e32 v9, v9, v0
	s_mov_b32 s1, exec_lo
	v_and_b32_e32 v10, 0x60, v9
	v_cmpx_ne_u32_e32 0x60, v10
	s_cbranch_execz .LBB168_17
; %bb.14:
	v_lshrrev_b32_e32 v10, 5, v9
	v_mov_b32_e32 v36, 0
	v_mov_b32_e32 v48, 0
	;; [unrolled: 1-line block ×4, first 2 shown]
	v_add_nc_u32_e32 v10, 1, v10
	v_mov_b32_e32 v40, 0
	v_mov_b32_e32 v44, 0
	;; [unrolled: 1-line block ×4, first 2 shown]
	v_and_b32_e32 v10, 3, v10
	v_mov_b32_e32 v19, v32
	v_mov_b32_e32 v37, 0
	v_mov_b32_e32 v17, v30
	v_mov_b32_e32 v49, 0
	v_mov_b32_e32 v43, 0
	v_mov_b32_e32 v47, 0
	v_mov_b32_e32 v41, 0
	v_mov_b32_e32 v45, 0
	v_mov_b32_e32 v39, 0
	v_mov_b32_e32 v35, 0
	v_sub_nc_u32_e32 v10, 0, v10
	v_mov_b32_e32 v20, v33
	s_mov_b32 s8, 0
.LBB168_15:                             ; =>This Inner Loop Header: Depth=1
	v_ashrrev_i32_e32 v18, 31, v17
	v_add_co_u32 v10, s9, v10, 1
	s_or_b32 s8, s9, s8
	v_lshlrev_b64 v[11:12], 2, v[17:18]
	v_add_nc_u32_e32 v17, 32, v17
	v_add_co_u32 v11, vcc_lo, s12, v11
	v_add_co_ci_u32_e64 v12, null, s13, v12, vcc_lo
	global_load_dword v15, v[11:12], off
	s_clause 0x4
	global_load_dwordx4 v[11:14], v[19:20], off offset:32
	global_load_dwordx4 v[22:25], v[19:20], off offset:16
	global_load_dwordx4 v[51:54], v[19:20], off
	global_load_dwordx4 v[55:58], v[19:20], off offset:96
	global_load_dwordx4 v[59:62], v[19:20], off offset:64
	s_waitcnt vmcnt(5)
	v_subrev_nc_u32_e32 v15, s2, v15
	s_waitcnt vmcnt(4)
	v_cvt_f64_f32_e32 v[95:96], v13
	v_cvt_f64_f32_e32 v[13:14], v14
	s_waitcnt vmcnt(2)
	v_cvt_f64_f32_e32 v[26:27], v52
	s_waitcnt vmcnt(1)
	v_cvt_f64_f32_e32 v[93:94], v55
	v_lshlrev_b32_e32 v15, 2, v15
	s_waitcnt vmcnt(0)
	v_cvt_f64_f32_e32 v[91:92], v59
	v_cvt_f64_f32_e32 v[59:60], v60
	;; [unrolled: 1-line block ×4, first 2 shown]
	v_ashrrev_i32_e32 v16, 31, v15
	v_cvt_f64_f32_e32 v[61:62], v62
	v_cvt_f64_f32_e32 v[99:100], v57
	;; [unrolled: 1-line block ×3, first 2 shown]
	v_lshlrev_b64 v[15:16], 4, v[15:16]
	v_add_co_u32 v15, vcc_lo, s6, v15
	v_add_co_ci_u32_e64 v16, null, s7, v16, vcc_lo
	s_clause 0x1
	global_load_dwordx4 v[63:66], v[15:16], off
	global_load_dwordx4 v[67:70], v[15:16], off offset:16
	s_clause 0x2
	global_load_dwordx4 v[71:74], v[19:20], off offset:48
	global_load_dwordx4 v[75:78], v[19:20], off offset:80
	;; [unrolled: 1-line block ×3, first 2 shown]
	s_clause 0x1
	global_load_dwordx4 v[83:86], v[15:16], off offset:32
	global_load_dwordx4 v[87:90], v[15:16], off offset:48
	v_cvt_f64_f32_e32 v[15:16], v51
	v_cvt_f64_f32_e32 v[51:52], v11
	;; [unrolled: 1-line block ×3, first 2 shown]
	v_add_co_u32 v19, vcc_lo, 0x1000, v19
	v_add_co_ci_u32_e64 v20, null, 0, v20, vcc_lo
	s_waitcnt vmcnt(6)
	v_fma_f64 v[48:49], v[15:16], v[63:64], v[48:49]
	v_fma_f64 v[36:37], v[26:27], v[63:64], v[36:37]
	;; [unrolled: 1-line block ×8, first 2 shown]
	v_cvt_f64_f32_e32 v[63:64], v53
	v_cvt_f64_f32_e32 v[53:54], v54
	v_fma_f64 v[26:27], -v[26:27], v[65:66], v[48:49]
	v_fma_f64 v[15:16], v[15:16], v[65:66], v[36:37]
	v_fma_f64 v[11:12], -v[11:12], v[65:66], v[46:47]
	v_fma_f64 v[36:37], v[51:52], v[65:66], v[42:43]
	;; [unrolled: 2-line block ×4, first 2 shown]
	v_cvt_f64_f32_e32 v[44:45], v22
	v_cvt_f64_f32_e32 v[22:23], v23
	s_waitcnt vmcnt(4)
	v_cvt_f64_f32_e32 v[46:47], v71
	v_cvt_f64_f32_e32 v[48:49], v72
	s_waitcnt vmcnt(3)
	;; [unrolled: 3-line block ×3, first 2 shown]
	v_cvt_f64_f32_e32 v[59:60], v79
	v_cvt_f64_f32_e32 v[65:66], v80
	v_fma_f64 v[26:27], v[63:64], v[67:68], v[26:27]
	v_fma_f64 v[15:16], v[53:54], v[67:68], v[15:16]
	;; [unrolled: 1-line block ×8, first 2 shown]
	v_cvt_f64_f32_e32 v[67:68], v81
	v_fma_f64 v[26:27], -v[53:54], v[69:70], v[26:27]
	v_fma_f64 v[15:16], v[63:64], v[69:70], v[15:16]
	v_fma_f64 v[11:12], -v[13:14], v[69:70], v[11:12]
	v_fma_f64 v[13:14], v[95:96], v[69:70], v[36:37]
	;; [unrolled: 2-line block ×4, first 2 shown]
	v_cvt_f64_f32_e32 v[42:43], v24
	v_cvt_f64_f32_e32 v[24:25], v25
	;; [unrolled: 1-line block ×7, first 2 shown]
	s_waitcnt vmcnt(1)
	v_fma_f64 v[26:27], v[44:45], v[83:84], v[26:27]
	v_fma_f64 v[15:16], v[22:23], v[83:84], v[15:16]
	;; [unrolled: 1-line block ×8, first 2 shown]
	v_fma_f64 v[22:23], -v[22:23], v[85:86], v[26:27]
	v_fma_f64 v[15:16], v[44:45], v[85:86], v[15:16]
	v_fma_f64 v[11:12], -v[48:49], v[85:86], v[11:12]
	v_fma_f64 v[13:14], v[46:47], v[85:86], v[13:14]
	v_fma_f64 v[26:27], -v[55:56], v[85:86], v[36:37]
	v_fma_f64 v[36:37], v[51:52], v[85:86], v[40:41]
	v_fma_f64 v[34:35], -v[65:66], v[85:86], v[34:35]
	v_fma_f64 v[38:39], v[59:60], v[85:86], v[38:39]
	s_waitcnt vmcnt(0)
	v_fma_f64 v[22:23], v[42:43], v[87:88], v[22:23]
	v_fma_f64 v[15:16], v[24:25], v[87:88], v[15:16]
	;; [unrolled: 1-line block ×8, first 2 shown]
	v_fma_f64 v[48:49], -v[24:25], v[89:90], v[22:23]
	v_fma_f64 v[36:37], v[42:43], v[89:90], v[15:16]
	v_fma_f64 v[46:47], -v[57:58], v[89:90], v[11:12]
	v_fma_f64 v[42:43], v[53:54], v[89:90], v[13:14]
	;; [unrolled: 2-line block ×4, first 2 shown]
	s_andn2_b32 exec_lo, exec_lo, s8
	s_cbranch_execnz .LBB168_15
; %bb.16:
	s_or_b32 exec_lo, exec_lo, s8
.LBB168_17:
	s_or_b32 exec_lo, exec_lo, s1
	s_mov_b32 s8, exec_lo
	v_cmpx_lt_u32_e32 0x5f, v9
	s_cbranch_execz .LBB168_21
; %bb.18:
	s_mov_b32 s9, 0
.LBB168_19:                             ; =>This Inner Loop Header: Depth=1
	v_ashrrev_i32_e32 v18, 31, v17
	v_lshlrev_b64 v[9:10], 2, v[17:18]
	v_add_nc_u32_e32 v17, 0x80, v17
	v_add_co_u32 v9, vcc_lo, s12, v9
	v_add_co_ci_u32_e64 v10, null, s13, v10, vcc_lo
	s_clause 0x1
	global_load_dword v11, v[9:10], off
	global_load_dword v13, v[9:10], off offset:128
	s_clause 0x3
	global_load_dwordx4 v[22:25], v[19:20], off
	global_load_dwordx4 v[51:54], v[19:20], off offset:32
	global_load_dwordx4 v[55:58], v[19:20], off offset:64
	;; [unrolled: 1-line block ×3, first 2 shown]
	s_clause 0x1
	global_load_dword v18, v[9:10], off offset:256
	global_load_dword v28, v[9:10], off offset:384
	s_waitcnt vmcnt(7)
	v_subrev_nc_u32_e32 v9, s2, v11
	s_waitcnt vmcnt(5)
	v_cvt_f64_f32_e32 v[177:178], v22
	v_cvt_f64_f32_e32 v[179:180], v23
	s_waitcnt vmcnt(4)
	v_cvt_f64_f32_e32 v[185:186], v51
	v_lshlrev_b32_e32 v9, 2, v9
	v_cvt_f64_f32_e32 v[51:52], v52
	s_waitcnt vmcnt(3)
	v_cvt_f64_f32_e32 v[189:190], v55
	v_cvt_f64_f32_e32 v[55:56], v56
	s_waitcnt vmcnt(2)
	v_cvt_f64_f32_e32 v[193:194], v59
	v_ashrrev_i32_e32 v10, 31, v9
	v_cvt_f64_f32_e32 v[59:60], v60
	v_cvt_f64_f32_e32 v[181:182], v24
	;; [unrolled: 1-line block ×3, first 2 shown]
	s_waitcnt vmcnt(1)
	v_subrev_nc_u32_e32 v18, s2, v18
	v_lshlrev_b64 v[9:10], 4, v[9:10]
	v_cvt_f64_f32_e32 v[187:188], v53
	v_cvt_f64_f32_e32 v[53:54], v54
	;; [unrolled: 1-line block ×3, first 2 shown]
	v_lshlrev_b32_e32 v197, 2, v18
	v_cvt_f64_f32_e32 v[57:58], v58
	v_add_co_u32 v9, vcc_lo, s6, v9
	v_add_co_ci_u32_e64 v10, null, s7, v10, vcc_lo
	v_add_co_u32 v11, vcc_lo, 0x1000, v19
	v_add_co_ci_u32_e64 v12, null, 0, v20, vcc_lo
	s_clause 0x1
	global_load_dwordx4 v[63:66], v[9:10], off
	global_load_dwordx4 v[67:70], v[9:10], off offset:16
	s_clause 0x3
	global_load_dwordx4 v[71:74], v[19:20], off offset:16
	global_load_dwordx4 v[75:78], v[19:20], off offset:48
	;; [unrolled: 1-line block ×5, first 2 shown]
	global_load_dwordx4 v[91:94], v[11:12], off
	global_load_dwordx4 v[95:98], v[9:10], off offset:48
	s_clause 0x2
	global_load_dwordx4 v[99:102], v[11:12], off offset:32
	global_load_dwordx4 v[103:106], v[11:12], off offset:64
	;; [unrolled: 1-line block ×3, first 2 shown]
	v_subrev_nc_u32_e32 v9, s2, v13
	v_ashrrev_i32_e32 v198, 31, v197
	v_cvt_f64_f32_e32 v[195:196], v61
	v_cvt_f64_f32_e32 v[61:62], v62
	s_waitcnt vmcnt(12)
	v_subrev_nc_u32_e32 v18, s2, v28
	v_lshlrev_b32_e32 v9, 2, v9
	v_ashrrev_i32_e32 v10, 31, v9
	v_lshlrev_b64 v[9:10], 4, v[9:10]
	v_add_co_u32 v26, vcc_lo, s6, v9
	v_add_co_ci_u32_e64 v27, null, s7, v10, vcc_lo
	s_clause 0x1
	global_load_dwordx4 v[111:114], v[26:27], off
	global_load_dwordx4 v[115:118], v[26:27], off offset:16
	s_clause 0x3
	global_load_dwordx4 v[119:122], v[11:12], off offset:16
	global_load_dwordx4 v[123:126], v[11:12], off offset:48
	;; [unrolled: 1-line block ×5, first 2 shown]
	v_add_co_u32 v9, vcc_lo, 0x2000, v19
	v_add_co_ci_u32_e64 v10, null, 0, v20, vcc_lo
	v_add_co_u32 v175, vcc_lo, 0x3000, v19
	v_add_co_ci_u32_e64 v176, null, 0, v20, vcc_lo
	s_clause 0xa
	global_load_dwordx4 v[139:142], v[9:10], off
	global_load_dwordx4 v[143:146], v[9:10], off offset:16
	global_load_dwordx4 v[147:150], v[9:10], off offset:32
	;; [unrolled: 1-line block ×7, first 2 shown]
	global_load_dwordx4 v[13:16], v[175:176], off
	global_load_dwordx4 v[9:12], v[175:176], off offset:48
	global_load_dwordx4 v[171:174], v[175:176], off offset:32
	;; [unrolled: 1-line block ×3, first 2 shown]
	v_add_co_u32 v19, s1, 0x4000, v19
	v_add_co_ci_u32_e64 v20, null, 0, v20, s1
	s_waitcnt vmcnt(30)
	v_fma_f64 v[26:27], v[177:178], v[63:64], v[48:49]
	v_fma_f64 v[36:37], v[179:180], v[63:64], v[36:37]
	;; [unrolled: 1-line block ×8, first 2 shown]
	v_lshlrev_b64 v[48:49], 4, v[197:198]
	v_add_co_u32 v63, vcc_lo, s6, v48
	v_add_co_ci_u32_e64 v64, null, s7, v49, vcc_lo
	v_fma_f64 v[26:27], -v[179:180], v[65:66], v[26:27]
	v_fma_f64 v[177:178], v[177:178], v[65:66], v[36:37]
	v_fma_f64 v[46:47], -v[51:52], v[65:66], v[46:47]
	v_fma_f64 v[42:43], v[185:186], v[65:66], v[42:43]
	;; [unrolled: 2-line block ×4, first 2 shown]
	global_load_dwordx4 v[34:37], v[63:64], off
	s_waitcnt vmcnt(28)
	v_cvt_f64_f32_e32 v[179:180], v75
	v_cvt_f64_f32_e32 v[75:76], v76
	s_waitcnt vmcnt(27)
	v_cvt_f64_f32_e32 v[185:186], v79
	v_cvt_f64_f32_e32 v[79:80], v80
	;; [unrolled: 3-line block ×3, first 2 shown]
	v_fma_f64 v[26:27], v[181:182], v[67:68], v[26:27]
	v_fma_f64 v[48:49], v[183:184], v[67:68], v[177:178]
	;; [unrolled: 1-line block ×8, first 2 shown]
	v_cvt_f64_f32_e32 v[177:178], v71
	v_cvt_f64_f32_e32 v[71:72], v72
	s_clause 0x1
	global_load_dwordx4 v[38:41], v[175:176], off offset:96
	global_load_dwordx4 v[42:45], v[175:176], off offset:64
	v_fma_f64 v[26:27], -v[183:184], v[69:70], v[26:27]
	v_fma_f64 v[181:182], v[181:182], v[69:70], v[48:49]
	v_fma_f64 v[53:54], -v[53:54], v[69:70], v[46:47]
	v_fma_f64 v[55:56], v[187:188], v[69:70], v[55:56]
	;; [unrolled: 2-line block ×4, first 2 shown]
	global_load_dwordx4 v[46:49], v[63:64], off offset:16
	v_cvt_f64_f32_e32 v[65:66], v73
	v_cvt_f64_f32_e32 v[67:68], v74
	;; [unrolled: 1-line block ×4, first 2 shown]
	s_waitcnt vmcnt(27)
	v_cvt_f64_f32_e32 v[183:184], v91
	v_cvt_f64_f32_e32 v[91:92], v92
	;; [unrolled: 1-line block ×4, first 2 shown]
	v_fma_f64 v[26:27], v[177:178], v[87:88], v[26:27]
	v_fma_f64 v[69:70], v[71:72], v[87:88], v[181:182]
	v_fma_f64 v[53:54], v[179:180], v[87:88], v[53:54]
	v_fma_f64 v[55:56], v[75:76], v[87:88], v[55:56]
	v_fma_f64 v[57:58], v[185:186], v[87:88], v[57:58]
	v_fma_f64 v[59:60], v[79:80], v[87:88], v[59:60]
	v_fma_f64 v[51:52], v[189:190], v[87:88], v[51:52]
	v_fma_f64 v[61:62], v[83:84], v[87:88], v[61:62]
	v_cvt_f64_f32_e32 v[87:88], v81
	v_cvt_f64_f32_e32 v[81:82], v82
	;; [unrolled: 1-line block ×4, first 2 shown]
	v_fma_f64 v[26:27], -v[71:72], v[89:90], v[26:27]
	v_fma_f64 v[69:70], v[177:178], v[89:90], v[69:70]
	v_fma_f64 v[71:72], -v[75:76], v[89:90], v[53:54]
	v_fma_f64 v[55:56], v[179:180], v[89:90], v[55:56]
	;; [unrolled: 2-line block ×4, first 2 shown]
	global_load_dwordx4 v[51:54], v[63:64], off offset:32
	s_waitcnt vmcnt(26)
	v_cvt_f64_f32_e32 v[79:80], v99
	v_cvt_f64_f32_e32 v[83:84], v100
	;; [unrolled: 1-line block ×3, first 2 shown]
	s_waitcnt vmcnt(25)
	v_cvt_f64_f32_e32 v[99:100], v103
	s_waitcnt vmcnt(24)
	v_cvt_f64_f32_e32 v[177:178], v107
	v_cvt_f64_f32_e32 v[107:108], v108
	;; [unrolled: 1-line block ×4, first 2 shown]
	v_fma_f64 v[26:27], v[65:66], v[95:96], v[26:27]
	v_fma_f64 v[69:70], v[67:68], v[95:96], v[69:70]
	;; [unrolled: 1-line block ×8, first 2 shown]
	v_cvt_f64_f32_e32 v[95:96], v102
	v_cvt_f64_f32_e32 v[101:102], v104
	v_cvt_f64_f32_e32 v[103:104], v105
	v_cvt_f64_f32_e32 v[105:106], v106
	v_fma_f64 v[26:27], -v[67:68], v[97:98], v[26:27]
	v_fma_f64 v[65:66], v[65:66], v[97:98], v[69:70]
	v_fma_f64 v[67:68], -v[77:78], v[97:98], v[71:72]
	v_fma_f64 v[69:70], v[73:74], v[97:98], v[55:56]
	;; [unrolled: 2-line block ×4, first 2 shown]
	global_load_dwordx4 v[55:58], v[63:64], off offset:48
	v_lshlrev_b32_e32 v75, 2, v18
	s_waitcnt vmcnt(22)
	v_cvt_f64_f32_e32 v[81:82], v120
	s_waitcnt vmcnt(21)
	v_cvt_f64_f32_e32 v[87:88], v124
	;; [unrolled: 2-line block ×3, first 2 shown]
	v_ashrrev_i32_e32 v76, 31, v75
	v_fma_f64 v[26:27], v[183:184], v[111:112], v[26:27]
	v_fma_f64 v[63:64], v[91:92], v[111:112], v[65:66]
	;; [unrolled: 1-line block ×8, first 2 shown]
	v_lshlrev_b64 v[73:74], 4, v[75:76]
	v_cvt_f64_f32_e32 v[111:112], v121
	v_add_co_u32 v85, vcc_lo, s6, v73
	v_add_co_ci_u32_e64 v86, null, s7, v74, vcc_lo
	v_cmp_ge_i32_e32 vcc_lo, v17, v50
	v_fma_f64 v[26:27], -v[91:92], v[113:114], v[26:27]
	v_fma_f64 v[63:64], v[183:184], v[113:114], v[63:64]
	v_fma_f64 v[65:66], -v[83:84], v[113:114], v[65:66]
	v_fma_f64 v[67:68], v[79:80], v[113:114], v[67:68]
	v_fma_f64 v[69:70], -v[101:102], v[113:114], v[69:70]
	v_fma_f64 v[75:76], v[99:100], v[113:114], v[59:60]
	v_fma_f64 v[71:72], -v[107:108], v[113:114], v[71:72]
	v_fma_f64 v[77:78], v[177:178], v[113:114], v[61:62]
	global_load_dwordx4 v[59:62], v[85:86], off
	v_cvt_f64_f32_e32 v[79:80], v119
	v_cvt_f64_f32_e32 v[83:84], v123
	;; [unrolled: 1-line block ×3, first 2 shown]
	s_waitcnt vmcnt(20)
	v_cvt_f64_f32_e32 v[99:100], v131
	v_cvt_f64_f32_e32 v[101:102], v132
	;; [unrolled: 1-line block ×6, first 2 shown]
	s_waitcnt vmcnt(14)
	v_cvt_f64_f32_e32 v[127:128], v156
	s_or_b32 s9, vcc_lo, s9
	v_fma_f64 v[26:27], v[187:188], v[115:116], v[26:27]
	v_fma_f64 v[63:64], v[93:94], v[115:116], v[63:64]
	;; [unrolled: 1-line block ×8, first 2 shown]
	v_cvt_f64_f32_e32 v[115:116], v125
	v_fma_f64 v[26:27], -v[93:94], v[117:118], v[26:27]
	v_fma_f64 v[77:78], v[187:188], v[117:118], v[63:64]
	v_fma_f64 v[93:94], -v[95:96], v[117:118], v[65:66]
	v_fma_f64 v[89:90], v[89:90], v[117:118], v[67:68]
	;; [unrolled: 2-line block ×4, first 2 shown]
	global_load_dwordx4 v[63:66], v[85:86], off offset:16
	s_clause 0x1
	global_load_dwordx4 v[67:70], v[175:176], off offset:80
	global_load_dwordx4 v[71:74], v[175:176], off offset:16
	v_cvt_f64_f32_e32 v[117:118], v126
	v_cvt_f64_f32_e32 v[125:126], v134
	v_fma_f64 v[26:27], v[79:80], v[135:136], v[26:27]
	v_fma_f64 v[107:108], v[81:82], v[135:136], v[77:78]
	;; [unrolled: 1-line block ×8, first 2 shown]
	global_load_dwordx4 v[75:78], v[175:176], off offset:112
	v_fma_f64 v[26:27], -v[81:82], v[137:138], v[26:27]
	v_fma_f64 v[107:108], v[79:80], v[137:138], v[107:108]
	v_fma_f64 v[87:88], -v[87:88], v[137:138], v[93:94]
	v_fma_f64 v[83:84], v[83:84], v[137:138], v[89:90]
	;; [unrolled: 2-line block ×4, first 2 shown]
	global_load_dwordx4 v[79:82], v[85:86], off offset:32
	v_cvt_f64_f32_e32 v[99:100], v140
	v_cvt_f64_f32_e32 v[101:102], v147
	;; [unrolled: 1-line block ×3, first 2 shown]
	s_waitcnt vmcnt(17)
	v_cvt_f64_f32_e32 v[105:106], v163
	v_cvt_f64_f32_e32 v[109:110], v155
	s_waitcnt vmcnt(12)
	v_fma_f64 v[26:27], v[111:112], v[22:23], v[26:27]
	v_fma_f64 v[97:98], v[113:114], v[22:23], v[107:108]
	;; [unrolled: 1-line block ×8, first 2 shown]
	v_cvt_f64_f32_e32 v[95:96], v139
	v_cvt_f64_f32_e32 v[107:108], v164
	v_fma_f64 v[26:27], -v[113:114], v[24:25], v[26:27]
	v_fma_f64 v[97:98], v[111:112], v[24:25], v[97:98]
	v_fma_f64 v[87:88], -v[117:118], v[24:25], v[87:88]
	v_fma_f64 v[83:84], v[115:116], v[24:25], v[83:84]
	;; [unrolled: 2-line block ×4, first 2 shown]
	global_load_dwordx4 v[22:25], v[85:86], off offset:48
	v_cvt_f64_f32_e32 v[113:114], v149
	v_cvt_f64_f32_e32 v[115:116], v150
	;; [unrolled: 1-line block ×6, first 2 shown]
	s_waitcnt vmcnt(12)
	v_fma_f64 v[26:27], v[95:96], v[34:35], v[26:27]
	v_fma_f64 v[85:86], v[99:100], v[34:35], v[97:98]
	;; [unrolled: 1-line block ×8, first 2 shown]
	v_cvt_f64_f32_e32 v[97:98], v141
	v_cvt_f64_f32_e32 v[111:112], v142
	v_fma_f64 v[26:27], -v[99:100], v[36:37], v[26:27]
	v_fma_f64 v[85:86], v[95:96], v[36:37], v[85:86]
	v_fma_f64 v[87:88], -v[103:104], v[36:37], v[87:88]
	v_fma_f64 v[83:84], v[101:102], v[36:37], v[83:84]
	;; [unrolled: 2-line block ×4, first 2 shown]
	v_cvt_f64_f32_e32 v[95:96], v151
	v_cvt_f64_f32_e32 v[99:100], v152
	;; [unrolled: 1-line block ×7, first 2 shown]
	s_waitcnt vmcnt(9)
	v_fma_f64 v[26:27], v[97:98], v[46:47], v[26:27]
	v_fma_f64 v[36:37], v[111:112], v[46:47], v[85:86]
	;; [unrolled: 1-line block ×8, first 2 shown]
	v_cvt_f64_f32_e32 v[46:47], v143
	v_cvt_f64_f32_e32 v[93:94], v144
	v_fma_f64 v[26:27], -v[111:112], v[48:49], v[26:27]
	v_fma_f64 v[36:37], v[97:98], v[48:49], v[36:37]
	v_fma_f64 v[85:86], -v[115:116], v[48:49], v[85:86]
	v_fma_f64 v[83:84], v[113:114], v[48:49], v[83:84]
	;; [unrolled: 2-line block ×4, first 2 shown]
	v_cvt_f64_f32_e32 v[97:98], v153
	v_cvt_f64_f32_e32 v[111:112], v169
	;; [unrolled: 1-line block ×5, first 2 shown]
	s_waitcnt vmcnt(8)
	v_fma_f64 v[26:27], v[46:47], v[51:52], v[26:27]
	v_fma_f64 v[36:37], v[93:94], v[51:52], v[36:37]
	;; [unrolled: 1-line block ×8, first 2 shown]
	v_cvt_f64_f32_e32 v[51:52], v145
	v_cvt_f64_f32_e32 v[91:92], v146
	v_fma_f64 v[26:27], -v[93:94], v[53:54], v[26:27]
	v_fma_f64 v[36:37], v[46:47], v[53:54], v[36:37]
	v_fma_f64 v[46:47], -v[99:100], v[53:54], v[48:49]
	v_fma_f64 v[48:49], v[95:96], v[53:54], v[83:84]
	;; [unrolled: 2-line block ×4, first 2 shown]
	v_cvt_f64_f32_e32 v[89:90], v172
	v_cvt_f64_f32_e32 v[93:94], v42
	;; [unrolled: 1-line block ×5, first 2 shown]
	s_waitcnt vmcnt(7)
	v_fma_f64 v[26:27], v[51:52], v[55:56], v[26:27]
	v_fma_f64 v[36:37], v[91:92], v[55:56], v[36:37]
	v_fma_f64 v[46:47], v[97:98], v[55:56], v[46:47]
	v_fma_f64 v[48:49], v[109:110], v[55:56], v[48:49]
	v_fma_f64 v[53:54], v[111:112], v[55:56], v[83:84]
	v_fma_f64 v[83:84], v[113:114], v[55:56], v[85:86]
	v_fma_f64 v[85:86], v[115:116], v[55:56], v[87:88]
	v_fma_f64 v[34:35], v[117:118], v[55:56], v[34:35]
	v_cvt_f64_f32_e32 v[55:56], v13
	v_cvt_f64_f32_e32 v[13:14], v14
	;; [unrolled: 1-line block ×3, first 2 shown]
	v_fma_f64 v[26:27], -v[91:92], v[57:58], v[26:27]
	v_fma_f64 v[36:37], v[51:52], v[57:58], v[36:37]
	v_fma_f64 v[46:47], -v[109:110], v[57:58], v[46:47]
	v_fma_f64 v[48:49], v[97:98], v[57:58], v[48:49]
	;; [unrolled: 2-line block ×4, first 2 shown]
	v_cvt_f64_f32_e32 v[85:86], v174
	v_cvt_f64_f32_e32 v[91:92], v44
	;; [unrolled: 1-line block ×5, first 2 shown]
	s_waitcnt vmcnt(6)
	v_fma_f64 v[26:27], v[55:56], v[59:60], v[26:27]
	v_fma_f64 v[36:37], v[13:14], v[59:60], v[36:37]
	;; [unrolled: 1-line block ×8, first 2 shown]
	v_cvt_f64_f32_e32 v[59:60], v15
	v_cvt_f64_f32_e32 v[15:16], v16
	;; [unrolled: 1-line block ×3, first 2 shown]
	v_fma_f64 v[13:14], -v[13:14], v[61:62], v[26:27]
	v_fma_f64 v[26:27], v[55:56], v[61:62], v[36:37]
	v_fma_f64 v[36:37], -v[89:90], v[61:62], v[46:47]
	v_fma_f64 v[46:47], v[87:88], v[61:62], v[48:49]
	;; [unrolled: 2-line block ×4, first 2 shown]
	v_cvt_f64_f32_e32 v[55:56], v9
	v_cvt_f64_f32_e32 v[9:10], v10
	s_waitcnt vmcnt(4)
	v_cvt_f64_f32_e32 v[57:58], v67
	s_waitcnt vmcnt(3)
	v_cvt_f64_f32_e32 v[51:52], v71
	v_cvt_f64_f32_e32 v[53:54], v72
	v_fma_f64 v[13:14], v[59:60], v[63:64], v[13:14]
	v_fma_f64 v[26:27], v[15:16], v[63:64], v[26:27]
	;; [unrolled: 1-line block ×8, first 2 shown]
	v_cvt_f64_f32_e32 v[61:62], v68
	s_waitcnt vmcnt(2)
	v_cvt_f64_f32_e32 v[63:64], v75
	v_cvt_f64_f32_e32 v[67:68], v76
	v_fma_f64 v[13:14], -v[15:16], v[65:66], v[13:14]
	v_fma_f64 v[15:16], v[59:60], v[65:66], v[26:27]
	v_fma_f64 v[26:27], -v[85:86], v[65:66], v[36:37]
	v_fma_f64 v[36:37], v[83:84], v[65:66], v[46:47]
	;; [unrolled: 2-line block ×4, first 2 shown]
	v_cvt_f64_f32_e32 v[46:47], v74
	v_cvt_f64_f32_e32 v[59:60], v11
	;; [unrolled: 1-line block ×6, first 2 shown]
	s_waitcnt vmcnt(1)
	v_fma_f64 v[13:14], v[51:52], v[79:80], v[13:14]
	v_fma_f64 v[15:16], v[53:54], v[79:80], v[15:16]
	;; [unrolled: 1-line block ×8, first 2 shown]
	v_cvt_f64_f32_e32 v[44:45], v73
	v_cvt_f64_f32_e32 v[73:74], v78
	v_fma_f64 v[13:14], -v[53:54], v[81:82], v[13:14]
	v_fma_f64 v[15:16], v[51:52], v[81:82], v[15:16]
	v_fma_f64 v[9:10], -v[9:10], v[81:82], v[26:27]
	v_fma_f64 v[26:27], v[55:56], v[81:82], v[36:37]
	;; [unrolled: 2-line block ×4, first 2 shown]
	s_waitcnt vmcnt(0)
	v_fma_f64 v[13:14], v[44:45], v[22:23], v[13:14]
	v_fma_f64 v[15:16], v[46:47], v[22:23], v[15:16]
	;; [unrolled: 1-line block ×8, first 2 shown]
	v_fma_f64 v[48:49], -v[46:47], v[24:25], v[13:14]
	v_fma_f64 v[36:37], v[44:45], v[24:25], v[15:16]
	v_fma_f64 v[46:47], -v[11:12], v[24:25], v[9:10]
	v_fma_f64 v[42:43], v[59:60], v[24:25], v[26:27]
	;; [unrolled: 2-line block ×4, first 2 shown]
	s_andn2_b32 exec_lo, exec_lo, s9
	s_cbranch_execnz .LBB168_19
; %bb.20:
	s_or_b32 exec_lo, exec_lo, s9
.LBB168_21:
	s_or_b32 exec_lo, exec_lo, s8
.LBB168_22:
	s_or_b32 exec_lo, exec_lo, s3
	s_cbranch_execz .LBB168_24
	s_branch .LBB168_35
.LBB168_23:
                                        ; implicit-def: $vgpr36_vgpr37
                                        ; implicit-def: $vgpr48_vgpr49
                                        ; implicit-def: $vgpr42_vgpr43
                                        ; implicit-def: $vgpr46_vgpr47
                                        ; implicit-def: $vgpr40_vgpr41
                                        ; implicit-def: $vgpr44_vgpr45
                                        ; implicit-def: $vgpr38_vgpr39
                                        ; implicit-def: $vgpr34_vgpr35
.LBB168_24:
	v_mov_b32_e32 v36, 0
	v_mov_b32_e32 v48, 0
	v_mov_b32_e32 v42, 0
	v_mov_b32_e32 v46, 0
	v_mov_b32_e32 v40, 0
	v_mov_b32_e32 v44, 0
	v_mov_b32_e32 v38, 0
	v_mov_b32_e32 v34, 0
	v_mov_b32_e32 v37, 0
	v_mov_b32_e32 v49, 0
	v_mov_b32_e32 v43, 0
	v_mov_b32_e32 v47, 0
	v_mov_b32_e32 v41, 0
	v_mov_b32_e32 v45, 0
	v_mov_b32_e32 v39, 0
	v_mov_b32_e32 v35, 0
	s_and_saveexec_b32 s1, s0
	s_cbranch_execz .LBB168_34
; %bb.25:
	v_add_nc_u32_e32 v9, v21, v0
	v_not_b32_e32 v10, v21
	v_mov_b32_e32 v34, 0
	v_mov_b32_e32 v38, 0
	;; [unrolled: 1-line block ×3, first 2 shown]
	v_subrev_nc_u32_e32 v9, s2, v9
	v_mov_b32_e32 v40, 0
	v_mov_b32_e32 v46, 0
	;; [unrolled: 1-line block ×4, first 2 shown]
	v_add_nc_u32_e32 v9, 32, v9
	v_mov_b32_e32 v36, 0
	v_mov_b32_e32 v35, 0
	;; [unrolled: 1-line block ×4, first 2 shown]
	v_max_i32_e32 v9, v9, v50
	v_mov_b32_e32 v41, 0
	v_mov_b32_e32 v47, 0
	;; [unrolled: 1-line block ×4, first 2 shown]
	v_add3_u32 v9, s2, v9, v10
	v_mov_b32_e32 v37, 0
	s_mov_b32 s0, exec_lo
	v_sub_nc_u32_e32 v9, v9, v0
	v_and_b32_e32 v10, 0x60, v9
	v_cmpx_ne_u32_e32 0x60, v10
	s_cbranch_execz .LBB168_29
; %bb.26:
	v_lshrrev_b32_e32 v10, 5, v9
	v_mov_b32_e32 v36, 0
	v_mov_b32_e32 v48, 0
	;; [unrolled: 1-line block ×4, first 2 shown]
	v_add_nc_u32_e32 v10, 1, v10
	v_mov_b32_e32 v40, 0
	v_mov_b32_e32 v44, 0
	;; [unrolled: 1-line block ×4, first 2 shown]
	v_and_b32_e32 v10, 3, v10
	v_mov_b32_e32 v37, 0
	v_mov_b32_e32 v49, 0
	;; [unrolled: 1-line block ×8, first 2 shown]
	v_sub_nc_u32_e32 v10, 0, v10
	s_mov_b32 s3, 0
.LBB168_27:                             ; =>This Inner Loop Header: Depth=1
	v_ashrrev_i32_e32 v31, 31, v30
	v_add_co_u32 v10, s8, v10, 1
	s_or_b32 s3, s8, s3
	v_lshlrev_b64 v[11:12], 2, v[30:31]
	v_add_nc_u32_e32 v30, 32, v30
	v_add_co_u32 v11, vcc_lo, s12, v11
	v_add_co_ci_u32_e64 v12, null, s13, v12, vcc_lo
	global_load_dword v19, v[11:12], off
	s_clause 0x1
	global_load_dwordx4 v[11:14], v[32:33], off offset:16
	global_load_dwordx4 v[15:18], v[32:33], off
	s_waitcnt vmcnt(2)
	v_subrev_nc_u32_e32 v19, s2, v19
	s_waitcnt vmcnt(1)
	v_cvt_f64_f32_e32 v[85:86], v11
	s_waitcnt vmcnt(0)
	v_cvt_f64_f32_e32 v[83:84], v17
	v_cvt_f64_f32_e32 v[17:18], v18
	;; [unrolled: 1-line block ×3, first 2 shown]
	v_lshlrev_b32_e32 v19, 2, v19
	v_cvt_f64_f32_e32 v[87:88], v13
	v_cvt_f64_f32_e32 v[13:14], v14
	v_ashrrev_i32_e32 v20, 31, v19
	v_lshlrev_b64 v[19:20], 4, v[19:20]
	v_add_co_u32 v27, vcc_lo, s6, v19
	v_add_co_ci_u32_e64 v28, null, s7, v20, vcc_lo
	s_clause 0x1
	global_load_dwordx4 v[19:22], v[27:28], off
	global_load_dwordx4 v[23:26], v[27:28], off offset:16
	s_clause 0x3
	global_load_dwordx4 v[51:54], v[32:33], off offset:32
	global_load_dwordx4 v[55:58], v[32:33], off offset:48
	;; [unrolled: 1-line block ×4, first 2 shown]
	s_clause 0x1
	global_load_dwordx4 v[67:70], v[27:28], off offset:32
	global_load_dwordx4 v[71:74], v[27:28], off offset:48
	s_clause 0x1
	global_load_dwordx4 v[75:78], v[32:33], off offset:96
	global_load_dwordx4 v[79:82], v[32:33], off offset:112
	v_cvt_f64_f32_e32 v[27:28], v15
	v_cvt_f64_f32_e32 v[15:16], v16
	v_add_co_u32 v32, vcc_lo, 0x1000, v32
	v_add_co_ci_u32_e64 v33, null, 0, v33, vcc_lo
	s_waitcnt vmcnt(9)
	v_fma_f64 v[48:49], v[27:28], v[19:20], v[48:49]
	v_fma_f64 v[36:37], v[15:16], v[19:20], v[36:37]
	v_fma_f64 v[46:47], v[83:84], v[19:20], v[46:47]
	v_fma_f64 v[42:43], v[17:18], v[19:20], v[42:43]
	v_fma_f64 v[44:45], v[85:86], v[19:20], v[44:45]
	v_fma_f64 v[40:41], v[11:12], v[19:20], v[40:41]
	v_fma_f64 v[34:35], v[87:88], v[19:20], v[34:35]
	v_fma_f64 v[19:20], v[13:14], v[19:20], v[38:39]
	s_waitcnt vmcnt(7)
	v_cvt_f64_f32_e32 v[38:39], v51
	v_cvt_f64_f32_e32 v[51:52], v52
	;; [unrolled: 1-line block ×4, first 2 shown]
	s_waitcnt vmcnt(6)
	v_cvt_f64_f32_e32 v[91:92], v55
	v_cvt_f64_f32_e32 v[55:56], v56
	;; [unrolled: 1-line block ×4, first 2 shown]
	v_fma_f64 v[15:16], -v[15:16], v[21:22], v[48:49]
	v_fma_f64 v[27:28], v[27:28], v[21:22], v[36:37]
	v_fma_f64 v[17:18], -v[17:18], v[21:22], v[46:47]
	v_fma_f64 v[36:37], v[83:84], v[21:22], v[42:43]
	;; [unrolled: 2-line block ×4, first 2 shown]
	s_waitcnt vmcnt(5)
	v_cvt_f64_f32_e32 v[42:43], v62
	s_waitcnt vmcnt(4)
	v_cvt_f64_f32_e32 v[44:45], v63
	v_cvt_f64_f32_e32 v[46:47], v64
	;; [unrolled: 1-line block ×3, first 2 shown]
	s_waitcnt vmcnt(0)
	v_cvt_f64_f32_e32 v[63:64], v82
	v_fma_f64 v[15:16], v[38:39], v[23:24], v[15:16]
	v_fma_f64 v[21:22], v[51:52], v[23:24], v[27:28]
	;; [unrolled: 1-line block ×8, first 2 shown]
	v_cvt_f64_f32_e32 v[23:24], v59
	v_cvt_f64_f32_e32 v[36:37], v60
	;; [unrolled: 1-line block ×5, first 2 shown]
	v_fma_f64 v[15:16], -v[51:52], v[25:26], v[15:16]
	v_fma_f64 v[21:22], v[38:39], v[25:26], v[21:22]
	v_fma_f64 v[17:18], -v[53:54], v[25:26], v[17:18]
	v_fma_f64 v[27:28], v[89:90], v[25:26], v[27:28]
	;; [unrolled: 2-line block ×4, first 2 shown]
	v_cvt_f64_f32_e32 v[38:39], v76
	v_cvt_f64_f32_e32 v[51:52], v77
	;; [unrolled: 1-line block ×5, first 2 shown]
	v_fma_f64 v[15:16], v[23:24], v[67:68], v[15:16]
	v_fma_f64 v[21:22], v[36:37], v[67:68], v[21:22]
	;; [unrolled: 1-line block ×8, first 2 shown]
	v_cvt_f64_f32_e32 v[34:35], v75
	v_fma_f64 v[15:16], -v[36:37], v[69:70], v[15:16]
	v_fma_f64 v[21:22], v[23:24], v[69:70], v[21:22]
	v_fma_f64 v[17:18], -v[42:43], v[69:70], v[17:18]
	v_fma_f64 v[23:24], v[40:41], v[69:70], v[25:26]
	;; [unrolled: 2-line block ×4, first 2 shown]
	v_fma_f64 v[15:16], v[34:35], v[71:72], v[15:16]
	v_fma_f64 v[21:22], v[38:39], v[71:72], v[21:22]
	;; [unrolled: 1-line block ×8, first 2 shown]
	v_fma_f64 v[48:49], -v[38:39], v[73:74], v[15:16]
	v_fma_f64 v[36:37], v[34:35], v[73:74], v[21:22]
	v_fma_f64 v[46:47], -v[53:54], v[73:74], v[17:18]
	v_fma_f64 v[42:43], v[51:52], v[73:74], v[23:24]
	;; [unrolled: 2-line block ×4, first 2 shown]
	s_andn2_b32 exec_lo, exec_lo, s3
	s_cbranch_execnz .LBB168_27
; %bb.28:
	s_or_b32 exec_lo, exec_lo, s3
.LBB168_29:
	s_or_b32 exec_lo, exec_lo, s0
	s_mov_b32 s3, exec_lo
	v_cmpx_lt_u32_e32 0x5f, v9
	s_cbranch_execz .LBB168_33
; %bb.30:
	s_mov_b32 s8, 0
.LBB168_31:                             ; =>This Inner Loop Header: Depth=1
	v_ashrrev_i32_e32 v31, 31, v30
	v_lshlrev_b64 v[9:10], 2, v[30:31]
	v_add_nc_u32_e32 v30, 0x80, v30
	v_add_co_u32 v51, vcc_lo, s12, v9
	v_add_co_ci_u32_e64 v52, null, s13, v10, vcc_lo
	s_clause 0x1
	global_load_dword v53, v[51:52], off
	global_load_dword v89, v[51:52], off offset:128
	s_clause 0x4
	global_load_dwordx4 v[25:28], v[32:33], off
	global_load_dwordx4 v[21:24], v[32:33], off offset:16
	global_load_dwordx4 v[17:20], v[32:33], off offset:32
	;; [unrolled: 1-line block ×4, first 2 shown]
	s_clause 0x1
	global_load_dword v169, v[51:52], off offset:256
	global_load_dword v31, v[51:52], off offset:384
	s_waitcnt vmcnt(8)
	v_subrev_nc_u32_e32 v51, s2, v53
	s_waitcnt vmcnt(7)
	v_subrev_nc_u32_e32 v89, s2, v89
	s_waitcnt vmcnt(6)
	v_cvt_f64_f32_e32 v[137:138], v25
	v_cvt_f64_f32_e32 v[25:26], v26
	;; [unrolled: 1-line block ×3, first 2 shown]
	v_lshlrev_b32_e32 v51, 2, v51
	v_lshlrev_b32_e32 v89, 2, v89
	s_waitcnt vmcnt(4)
	v_cvt_f64_f32_e32 v[145:146], v17
	v_cvt_f64_f32_e32 v[147:148], v18
	s_waitcnt vmcnt(2)
	v_cvt_f64_f32_e32 v[161:162], v9
	v_ashrrev_i32_e32 v52, 31, v51
	v_ashrrev_i32_e32 v90, 31, v89
	v_cvt_f64_f32_e32 v[163:164], v10
	v_cvt_f64_f32_e32 v[165:166], v11
	;; [unrolled: 1-line block ×3, first 2 shown]
	v_lshlrev_b64 v[51:52], 4, v[51:52]
	v_lshlrev_b64 v[90:91], 4, v[89:90]
	v_cvt_f64_f32_e32 v[27:28], v28
	v_cvt_f64_f32_e32 v[141:142], v21
	;; [unrolled: 1-line block ×4, first 2 shown]
	v_add_co_u32 v87, vcc_lo, s6, v51
	v_add_co_ci_u32_e64 v88, null, s7, v52, vcc_lo
	v_add_co_u32 v115, vcc_lo, 0x1000, v32
	v_add_co_ci_u32_e64 v116, null, 0, v33, vcc_lo
	s_clause 0x1
	global_load_dwordx4 v[51:54], v[87:88], off
	global_load_dwordx4 v[55:58], v[87:88], off offset:16
	s_clause 0x2
	global_load_dwordx4 v[59:62], v[32:33], off offset:80
	global_load_dwordx4 v[63:66], v[32:33], off offset:96
	;; [unrolled: 1-line block ×4, first 2 shown]
	s_clause 0x2
	global_load_dwordx4 v[75:78], v[115:116], off
	global_load_dwordx4 v[79:82], v[115:116], off offset:16
	global_load_dwordx4 v[83:86], v[115:116], off offset:32
	v_add_co_u32 v131, vcc_lo, s6, v90
	global_load_dwordx4 v[87:90], v[87:88], off offset:48
	v_add_co_ci_u32_e64 v132, null, s7, v91, vcc_lo
	global_load_dwordx4 v[91:94], v[131:132], off
	global_load_dwordx4 v[95:98], v[115:116], off offset:48
	v_add_co_u32 v133, vcc_lo, 0x2000, v32
	v_add_co_ci_u32_e64 v134, null, 0, v33, vcc_lo
	global_load_dwordx4 v[99:102], v[131:132], off offset:16
	s_clause 0x6
	global_load_dwordx4 v[103:106], v[115:116], off offset:64
	global_load_dwordx4 v[107:110], v[115:116], off offset:80
	;; [unrolled: 1-line block ×4, first 2 shown]
	global_load_dwordx4 v[119:122], v[133:134], off
	global_load_dwordx4 v[123:126], v[133:134], off offset:16
	global_load_dwordx4 v[127:130], v[133:134], off offset:32
	;; [unrolled: 1-line block ×3, first 2 shown]
	v_cvt_f64_f32_e32 v[23:24], v24
	v_cvt_f64_f32_e32 v[149:150], v19
	;; [unrolled: 1-line block ×7, first 2 shown]
	v_add_co_u32 v135, vcc_lo, 0x3000, v32
	v_add_co_ci_u32_e64 v136, null, 0, v33, vcc_lo
	s_waitcnt vmcnt(21)
	v_subrev_nc_u32_e32 v31, s2, v31
	v_add_co_u32 v32, s0, 0x4000, v32
	v_add_co_ci_u32_e64 v33, null, 0, v33, s0
	s_waitcnt vmcnt(20)
	v_fma_f64 v[17:18], v[25:26], v[51:52], v[36:37]
	v_fma_f64 v[42:43], v[27:28], v[51:52], v[42:43]
	;; [unrolled: 1-line block ×9, first 2 shown]
	v_subrev_nc_u32_e32 v46, s2, v169
	v_fma_f64 v[25:26], -v[25:26], v[53:54], v[13:14]
	v_fma_f64 v[42:43], v[139:140], v[53:54], v[42:43]
	v_fma_f64 v[44:45], -v[21:22], v[53:54], v[44:45]
	v_fma_f64 v[40:41], v[141:142], v[53:54], v[40:41]
	v_lshlrev_b32_e32 v46, 2, v46
	v_fma_f64 v[34:35], -v[23:24], v[53:54], v[34:35]
	v_fma_f64 v[38:39], v[143:144], v[53:54], v[38:39]
	global_load_dwordx4 v[13:16], v[133:134], off offset:48
	s_waitcnt vmcnt(19)
	v_cvt_f64_f32_e32 v[137:138], v59
	v_ashrrev_i32_e32 v47, 31, v46
	v_cvt_f64_f32_e32 v[59:60], v60
	s_waitcnt vmcnt(18)
	v_cvt_f64_f32_e32 v[139:140], v65
	v_cvt_f64_f32_e32 v[65:66], v66
	v_lshlrev_b64 v[46:47], 4, v[46:47]
	v_fma_f64 v[36:37], v[147:148], v[55:56], v[36:37]
	v_fma_f64 v[27:28], -v[27:28], v[53:54], v[17:18]
	global_load_dwordx4 v[17:20], v[131:132], off offset:48
	v_add_co_u32 v131, vcc_lo, s6, v46
	v_add_co_ci_u32_e64 v132, null, s7, v47, vcc_lo
	v_fma_f64 v[46:47], v[145:146], v[55:56], v[25:26]
	v_fma_f64 v[42:43], v[151:152], v[55:56], v[42:43]
	;; [unrolled: 1-line block ×3, first 2 shown]
	global_load_dwordx4 v[21:24], v[131:132], off
	v_fma_f64 v[40:41], v[155:156], v[55:56], v[40:41]
	v_fma_f64 v[51:52], v[157:158], v[55:56], v[34:35]
	;; [unrolled: 1-line block ×3, first 2 shown]
	v_cvt_f64_f32_e32 v[53:54], v61
	v_fma_f64 v[141:142], v[145:146], v[57:58], v[36:37]
	v_fma_f64 v[48:49], v[149:150], v[55:56], v[27:28]
	v_cvt_f64_f32_e32 v[55:56], v62
	s_clause 0x1
	global_load_dwordx4 v[25:28], v[133:134], off offset:64
	global_load_dwordx4 v[34:37], v[133:134], off offset:80
	v_cvt_f64_f32_e32 v[61:62], v63
	v_cvt_f64_f32_e32 v[63:64], v64
	v_fma_f64 v[46:47], -v[147:148], v[57:58], v[46:47]
	v_fma_f64 v[42:43], v[149:150], v[57:58], v[42:43]
	v_fma_f64 v[44:45], -v[155:156], v[57:58], v[44:45]
	s_waitcnt vmcnt(21)
	v_cvt_f64_f32_e32 v[145:146], v67
	v_fma_f64 v[143:144], v[153:154], v[57:58], v[40:41]
	v_fma_f64 v[51:52], -v[159:160], v[57:58], v[51:52]
	v_cvt_f64_f32_e32 v[67:68], v68
	s_waitcnt vmcnt(19)
	v_cvt_f64_f32_e32 v[153:154], v75
	v_cvt_f64_f32_e32 v[75:76], v76
	;; [unrolled: 1-line block ×4, first 2 shown]
	s_waitcnt vmcnt(17)
	v_cvt_f64_f32_e32 v[159:160], v83
	v_cvt_f64_f32_e32 v[83:84], v84
	v_fma_f64 v[141:142], v[163:164], v[71:72], v[141:142]
	v_fma_f64 v[48:49], -v[151:152], v[57:58], v[48:49]
	v_fma_f64 v[57:58], v[157:158], v[57:58], v[38:39]
	global_load_dwordx4 v[38:41], v[131:132], off offset:16
	v_fma_f64 v[46:47], v[161:162], v[71:72], v[46:47]
	v_fma_f64 v[149:150], v[167:168], v[71:72], v[42:43]
	;; [unrolled: 1-line block ×3, first 2 shown]
	global_load_dwordx4 v[42:45], v[133:134], off offset:96
	v_fma_f64 v[143:144], v[59:60], v[71:72], v[143:144]
	v_fma_f64 v[51:52], v[53:54], v[71:72], v[51:52]
	;; [unrolled: 1-line block ×4, first 2 shown]
	v_cvt_f64_f32_e32 v[71:72], v69
	v_cvt_f64_f32_e32 v[69:70], v70
	v_fma_f64 v[157:158], -v[163:164], v[73:74], v[46:47]
	global_load_dwordx4 v[46:49], v[133:134], off offset:112
	v_fma_f64 v[133:134], v[161:162], v[73:74], v[141:142]
	v_fma_f64 v[149:150], v[165:166], v[73:74], v[149:150]
	v_fma_f64 v[59:60], -v[59:60], v[73:74], v[151:152]
	v_fma_f64 v[137:138], v[137:138], v[73:74], v[143:144]
	v_fma_f64 v[55:56], -v[55:56], v[73:74], v[51:52]
	v_cvt_f64_f32_e32 v[141:142], v79
	v_cvt_f64_f32_e32 v[79:80], v80
	;; [unrolled: 1-line block ×4, first 2 shown]
	s_waitcnt vmcnt(17)
	v_cvt_f64_f32_e32 v[163:164], v95
	v_cvt_f64_f32_e32 v[95:96], v96
	;; [unrolled: 1-line block ×4, first 2 shown]
	v_fma_f64 v[147:148], -v[167:168], v[73:74], v[147:148]
	v_fma_f64 v[57:58], v[53:54], v[73:74], v[57:58]
	global_load_dwordx4 v[51:54], v[131:132], off offset:32
	v_cvt_f64_f32_e32 v[73:74], v81
	v_cvt_f64_f32_e32 v[81:82], v82
	v_fma_f64 v[143:144], v[61:62], v[87:88], v[157:158]
	v_fma_f64 v[133:134], v[63:64], v[87:88], v[133:134]
	;; [unrolled: 1-line block ×8, first 2 shown]
	global_load_dwordx4 v[55:58], v[135:136], off
	v_fma_f64 v[143:144], -v[63:64], v[89:90], v[143:144]
	v_fma_f64 v[133:134], v[61:62], v[89:90], v[133:134]
	v_fma_f64 v[139:140], v[139:140], v[89:90], v[149:150]
	v_fma_f64 v[67:68], -v[67:68], v[89:90], v[151:152]
	v_fma_f64 v[137:138], v[145:146], v[89:90], v[137:138]
	v_fma_f64 v[69:70], -v[69:70], v[89:90], v[157:158]
	global_load_dwordx4 v[59:62], v[135:136], off offset:16
	s_waitcnt vmcnt(16)
	v_cvt_f64_f32_e32 v[149:150], v113
	v_cvt_f64_f32_e32 v[113:114], v114
	s_waitcnt vmcnt(15)
	v_cvt_f64_f32_e32 v[151:152], v115
	v_cvt_f64_f32_e32 v[115:116], v116
	v_fma_f64 v[147:148], -v[65:66], v[89:90], v[147:148]
	v_fma_f64 v[71:72], v[71:72], v[89:90], v[87:88]
	global_load_dwordx4 v[63:66], v[131:132], off offset:48
	v_lshlrev_b32_e32 v87, 2, v31
	v_fma_f64 v[89:90], v[153:154], v[91:92], v[143:144]
	v_cvt_f64_f32_e32 v[143:144], v109
	v_fma_f64 v[131:132], v[75:76], v[91:92], v[133:134]
	v_fma_f64 v[139:140], v[77:78], v[91:92], v[139:140]
	;; [unrolled: 1-line block ×5, first 2 shown]
	v_ashrrev_i32_e32 v88, 31, v87
	v_cvt_f64_f32_e32 v[109:110], v110
	v_lshlrev_b64 v[87:88], 4, v[87:88]
	v_fma_f64 v[133:134], v[155:156], v[91:92], v[147:148]
	v_fma_f64 v[71:72], v[81:82], v[91:92], v[71:72]
	v_add_co_u32 v91, vcc_lo, s6, v87
	v_add_co_ci_u32_e64 v92, null, s7, v88, vcc_lo
	v_fma_f64 v[75:76], -v[75:76], v[93:94], v[89:90]
	v_cvt_f64_f32_e32 v[147:148], v111
	v_fma_f64 v[89:90], v[153:154], v[93:94], v[131:132]
	v_fma_f64 v[131:132], v[155:156], v[93:94], v[139:140]
	v_fma_f64 v[79:80], -v[79:80], v[93:94], v[67:68]
	v_cvt_f64_f32_e32 v[139:140], v105
	v_fma_f64 v[81:82], -v[81:82], v[93:94], v[69:70]
	v_cvt_f64_f32_e32 v[105:106], v106
	v_cvt_f64_f32_e32 v[111:112], v112
	;; [unrolled: 1-line block ×4, first 2 shown]
	v_cmp_ge_i32_e32 vcc_lo, v30, v50
	s_or_b32 s8, vcc_lo, s8
	v_fma_f64 v[77:78], -v[77:78], v[93:94], v[133:134]
	v_fma_f64 v[133:134], v[141:142], v[93:94], v[137:138]
	v_fma_f64 v[93:94], v[73:74], v[93:94], v[71:72]
	global_load_dwordx4 v[67:70], v[91:92], off
	global_load_dwordx4 v[71:74], v[135:136], off offset:32
	v_cvt_f64_f32_e32 v[141:142], v107
	v_fma_f64 v[87:88], v[159:160], v[99:100], v[75:76]
	v_cvt_f64_f32_e32 v[107:108], v108
	v_fma_f64 v[89:90], v[83:84], v[99:100], v[89:90]
	v_fma_f64 v[131:132], v[85:86], v[99:100], v[131:132]
	;; [unrolled: 1-line block ×7, first 2 shown]
	global_load_dwordx4 v[75:78], v[135:136], off offset:48
	v_cvt_f64_f32_e32 v[99:100], v103
	v_cvt_f64_f32_e32 v[103:104], v104
	v_fma_f64 v[87:88], -v[83:84], v[101:102], v[87:88]
	v_fma_f64 v[89:90], v[159:160], v[101:102], v[89:90]
	v_fma_f64 v[131:132], v[161:162], v[101:102], v[131:132]
	v_fma_f64 v[95:96], -v[95:96], v[101:102], v[79:80]
	v_fma_f64 v[97:98], -v[97:98], v[101:102], v[81:82]
	;; [unrolled: 1-line block ×3, first 2 shown]
	v_fma_f64 v[133:134], v[163:164], v[101:102], v[133:134]
	v_fma_f64 v[93:94], v[165:166], v[101:102], v[93:94]
	global_load_dwordx4 v[79:82], v[91:92], off offset:16
	global_load_dwordx4 v[83:86], v[135:136], off offset:64
	s_waitcnt vmcnt(17)
	v_fma_f64 v[101:102], v[99:100], v[9:10], v[87:88]
	v_fma_f64 v[145:146], v[103:104], v[9:10], v[89:90]
	;; [unrolled: 1-line block ×4, first 2 shown]
	global_load_dwordx4 v[87:90], v[135:136], off offset:80
	v_fma_f64 v[97:98], v[143:144], v[9:10], v[97:98]
	v_fma_f64 v[137:138], v[139:140], v[9:10], v[137:138]
	;; [unrolled: 1-line block ×4, first 2 shown]
	v_fma_f64 v[101:102], -v[103:104], v[11:12], v[101:102]
	v_fma_f64 v[99:100], v[99:100], v[11:12], v[145:146]
	v_fma_f64 v[107:108], -v[107:108], v[11:12], v[95:96]
	v_fma_f64 v[109:110], -v[109:110], v[11:12], v[97:98]
	;; [unrolled: 1-line block ×3, first 2 shown]
	v_fma_f64 v[105:106], v[139:140], v[11:12], v[131:132]
	v_fma_f64 v[131:132], v[141:142], v[11:12], v[133:134]
	;; [unrolled: 1-line block ×3, first 2 shown]
	s_clause 0x1
	global_load_dwordx4 v[9:12], v[91:92], off offset:32
	global_load_dwordx4 v[91:94], v[91:92], off offset:48
	;; [unrolled: 1-line block ×3, first 2 shown]
	v_cvt_f64_f32_e32 v[141:142], v123
	v_cvt_f64_f32_e32 v[123:124], v124
	;; [unrolled: 1-line block ×4, first 2 shown]
	s_waitcnt vmcnt(19)
	v_fma_f64 v[137:138], v[147:148], v[17:18], v[101:102]
	v_fma_f64 v[139:140], v[111:112], v[17:18], v[99:100]
	;; [unrolled: 1-line block ×8, first 2 shown]
	global_load_dwordx4 v[99:102], v[135:136], off offset:112
	v_cvt_f64_f32_e32 v[133:134], v119
	v_cvt_f64_f32_e32 v[119:120], v120
	;; [unrolled: 1-line block ×4, first 2 shown]
	v_fma_f64 v[111:112], -v[111:112], v[19:20], v[137:138]
	v_fma_f64 v[137:138], v[147:148], v[19:20], v[139:140]
	v_fma_f64 v[103:104], -v[113:114], v[19:20], v[103:104]
	v_fma_f64 v[105:106], v[149:150], v[19:20], v[105:106]
	;; [unrolled: 2-line block ×4, first 2 shown]
	v_cvt_f64_f32_e32 v[115:116], v128
	v_cvt_f64_f32_e32 v[117:118], v129
	v_cvt_f64_f32_e32 v[131:132], v15
	v_cvt_f64_f32_e32 v[15:16], v16
	s_waitcnt vmcnt(19)
	v_fma_f64 v[19:20], v[133:134], v[21:22], v[111:112]
	v_fma_f64 v[111:112], v[119:120], v[21:22], v[137:138]
	v_fma_f64 v[103:104], v[135:136], v[21:22], v[103:104]
	v_fma_f64 v[105:106], v[121:122], v[21:22], v[105:106]
	v_fma_f64 v[107:108], v[141:142], v[21:22], v[107:108]
	v_fma_f64 v[113:114], v[123:124], v[21:22], v[113:114]
	v_fma_f64 v[109:110], v[143:144], v[21:22], v[109:110]
	v_fma_f64 v[17:18], v[125:126], v[21:22], v[17:18]
	v_cvt_f64_f32_e32 v[21:22], v127
	v_cvt_f64_f32_e32 v[127:128], v130
	v_cvt_f64_f32_e32 v[129:130], v13
	v_cvt_f64_f32_e32 v[13:14], v14
	v_fma_f64 v[19:20], -v[119:120], v[23:24], v[19:20]
	v_fma_f64 v[111:112], v[133:134], v[23:24], v[111:112]
	v_fma_f64 v[103:104], -v[121:122], v[23:24], v[103:104]
	v_fma_f64 v[105:106], v[135:136], v[23:24], v[105:106]
	v_fma_f64 v[107:108], -v[123:124], v[23:24], v[107:108]
	v_fma_f64 v[113:114], v[141:142], v[23:24], v[113:114]
	v_fma_f64 v[109:110], -v[125:126], v[23:24], v[109:110]
	v_fma_f64 v[17:18], v[143:144], v[23:24], v[17:18]
	s_waitcnt vmcnt(17)
	v_cvt_f64_f32_e32 v[119:120], v34
	v_cvt_f64_f32_e32 v[34:35], v35
	v_cvt_f64_f32_e32 v[121:122], v36
	v_cvt_f64_f32_e32 v[36:37], v37
	s_waitcnt vmcnt(16)
	v_fma_f64 v[19:20], v[21:22], v[38:39], v[19:20]
	v_fma_f64 v[23:24], v[115:116], v[38:39], v[111:112]
	v_fma_f64 v[103:104], v[117:118], v[38:39], v[103:104]
	v_fma_f64 v[105:106], v[127:128], v[38:39], v[105:106]
	v_fma_f64 v[107:108], v[129:130], v[38:39], v[107:108]
	v_fma_f64 v[111:112], v[13:14], v[38:39], v[113:114]
	v_fma_f64 v[109:110], v[131:132], v[38:39], v[109:110]
	v_fma_f64 v[17:18], v[15:16], v[38:39], v[17:18]
	v_cvt_f64_f32_e32 v[38:39], v25
	v_cvt_f64_f32_e32 v[25:26], v26
	v_cvt_f64_f32_e32 v[113:114], v27
	v_cvt_f64_f32_e32 v[27:28], v28
	v_fma_f64 v[19:20], -v[115:116], v[40:41], v[19:20]
	v_fma_f64 v[21:22], v[21:22], v[40:41], v[23:24]
	v_fma_f64 v[23:24], -v[127:128], v[40:41], v[103:104]
	v_fma_f64 v[103:104], v[117:118], v[40:41], v[105:106]
	v_fma_f64 v[13:14], -v[13:14], v[40:41], v[107:108]
	v_fma_f64 v[105:106], v[129:130], v[40:41], v[111:112]
	v_fma_f64 v[15:16], -v[15:16], v[40:41], v[109:110]
	v_fma_f64 v[17:18], v[131:132], v[40:41], v[17:18]
	s_waitcnt vmcnt(14)
	;; [unrolled: 26-line block ×3, first 2 shown]
	v_cvt_f64_f32_e32 v[34:35], v55
	v_cvt_f64_f32_e32 v[36:37], v56
	v_cvt_f64_f32_e32 v[38:39], v57
	v_cvt_f64_f32_e32 v[40:41], v58
	s_waitcnt vmcnt(11)
	v_cvt_f64_f32_e32 v[53:54], v59
	v_cvt_f64_f32_e32 v[55:56], v60
	;; [unrolled: 1-line block ×4, first 2 shown]
	s_waitcnt vmcnt(10)
	v_fma_f64 v[19:20], v[51:52], v[63:64], v[19:20]
	v_fma_f64 v[21:22], v[42:43], v[63:64], v[21:22]
	v_fma_f64 v[23:24], v[105:106], v[63:64], v[23:24]
	v_fma_f64 v[25:26], v[44:45], v[63:64], v[25:26]
	v_fma_f64 v[13:14], v[107:108], v[63:64], v[13:14]
	v_fma_f64 v[27:28], v[46:47], v[63:64], v[27:28]
	v_fma_f64 v[15:16], v[109:110], v[63:64], v[15:16]
	v_fma_f64 v[17:18], v[48:49], v[63:64], v[17:18]
	v_fma_f64 v[19:20], -v[42:43], v[65:66], v[19:20]
	v_fma_f64 v[21:22], v[51:52], v[65:66], v[21:22]
	v_fma_f64 v[23:24], -v[44:45], v[65:66], v[23:24]
	v_fma_f64 v[25:26], v[105:106], v[65:66], v[25:26]
	;; [unrolled: 2-line block ×4, first 2 shown]
	s_waitcnt vmcnt(8)
	v_cvt_f64_f32_e32 v[42:43], v71
	v_cvt_f64_f32_e32 v[44:45], v72
	;; [unrolled: 1-line block ×4, first 2 shown]
	s_waitcnt vmcnt(7)
	v_cvt_f64_f32_e32 v[51:52], v75
	v_cvt_f64_f32_e32 v[61:62], v76
	;; [unrolled: 1-line block ×4, first 2 shown]
	v_fma_f64 v[19:20], v[34:35], v[67:68], v[19:20]
	v_fma_f64 v[21:22], v[36:37], v[67:68], v[21:22]
	;; [unrolled: 1-line block ×8, first 2 shown]
	v_fma_f64 v[19:20], -v[36:37], v[69:70], v[19:20]
	v_fma_f64 v[21:22], v[34:35], v[69:70], v[21:22]
	v_fma_f64 v[23:24], -v[40:41], v[69:70], v[23:24]
	v_fma_f64 v[25:26], v[38:39], v[69:70], v[25:26]
	;; [unrolled: 2-line block ×4, first 2 shown]
	s_waitcnt vmcnt(5)
	v_cvt_f64_f32_e32 v[34:35], v83
	v_cvt_f64_f32_e32 v[36:37], v84
	;; [unrolled: 1-line block ×4, first 2 shown]
	s_waitcnt vmcnt(4)
	v_cvt_f64_f32_e32 v[53:54], v87
	v_cvt_f64_f32_e32 v[55:56], v88
	;; [unrolled: 1-line block ×4, first 2 shown]
	v_fma_f64 v[19:20], v[42:43], v[79:80], v[19:20]
	v_fma_f64 v[21:22], v[44:45], v[79:80], v[21:22]
	;; [unrolled: 1-line block ×8, first 2 shown]
	v_fma_f64 v[19:20], -v[44:45], v[81:82], v[19:20]
	v_fma_f64 v[21:22], v[42:43], v[81:82], v[21:22]
	v_fma_f64 v[23:24], -v[48:49], v[81:82], v[23:24]
	v_fma_f64 v[25:26], v[46:47], v[81:82], v[25:26]
	;; [unrolled: 2-line block ×4, first 2 shown]
	s_waitcnt vmcnt(1)
	v_cvt_f64_f32_e32 v[42:43], v96
	v_cvt_f64_f32_e32 v[44:45], v97
	;; [unrolled: 1-line block ×3, first 2 shown]
	v_fma_f64 v[19:20], v[34:35], v[9:10], v[19:20]
	v_fma_f64 v[21:22], v[36:37], v[9:10], v[21:22]
	v_fma_f64 v[23:24], v[38:39], v[9:10], v[23:24]
	v_fma_f64 v[25:26], v[40:41], v[9:10], v[25:26]
	v_fma_f64 v[13:14], v[53:54], v[9:10], v[13:14]
	v_fma_f64 v[27:28], v[55:56], v[9:10], v[27:28]
	v_fma_f64 v[15:16], v[57:58], v[9:10], v[15:16]
	v_fma_f64 v[9:10], v[59:60], v[9:10], v[17:18]
	v_cvt_f64_f32_e32 v[17:18], v95
	s_waitcnt vmcnt(0)
	v_cvt_f64_f32_e32 v[51:52], v99
	v_cvt_f64_f32_e32 v[61:62], v100
	v_cvt_f64_f32_e32 v[63:64], v101
	v_cvt_f64_f32_e32 v[65:66], v102
	v_fma_f64 v[19:20], -v[36:37], v[11:12], v[19:20]
	v_fma_f64 v[21:22], v[34:35], v[11:12], v[21:22]
	v_fma_f64 v[23:24], -v[40:41], v[11:12], v[23:24]
	v_fma_f64 v[25:26], v[38:39], v[11:12], v[25:26]
	;; [unrolled: 2-line block ×4, first 2 shown]
	v_fma_f64 v[11:12], v[17:18], v[91:92], v[19:20]
	v_fma_f64 v[19:20], v[42:43], v[91:92], v[21:22]
	;; [unrolled: 1-line block ×8, first 2 shown]
	v_fma_f64 v[48:49], -v[42:43], v[93:94], v[11:12]
	v_fma_f64 v[36:37], v[17:18], v[93:94], v[19:20]
	v_fma_f64 v[46:47], -v[46:47], v[93:94], v[21:22]
	v_fma_f64 v[42:43], v[44:45], v[93:94], v[23:24]
	;; [unrolled: 2-line block ×4, first 2 shown]
	s_andn2_b32 exec_lo, exec_lo, s8
	s_cbranch_execnz .LBB168_31
; %bb.32:
	s_or_b32 exec_lo, exec_lo, s8
.LBB168_33:
	s_or_b32 exec_lo, exec_lo, s3
.LBB168_34:
	s_or_b32 exec_lo, exec_lo, s1
.LBB168_35:
	v_mbcnt_lo_u32_b32 v50, -1, 0
	v_xor_b32_e32 v9, 16, v50
	v_xor_b32_e32 v25, 8, v50
	v_cmp_gt_i32_e32 vcc_lo, 32, v9
	v_cndmask_b32_e32 v9, v50, v9, vcc_lo
	v_cmp_gt_i32_e32 vcc_lo, 32, v25
	v_lshlrev_b32_e32 v24, 2, v9
	v_cndmask_b32_e32 v25, v50, v25, vcc_lo
	ds_bpermute_b32 v9, v24, v48
	ds_bpermute_b32 v10, v24, v49
	;; [unrolled: 1-line block ×16, first 2 shown]
	s_waitcnt lgkmcnt(14)
	v_add_f64 v[9:10], v[48:49], v[9:10]
	s_waitcnt lgkmcnt(12)
	v_add_f64 v[11:12], v[36:37], v[11:12]
	;; [unrolled: 2-line block ×6, first 2 shown]
	v_lshlrev_b32_e32 v41, 2, v25
	s_waitcnt lgkmcnt(2)
	v_add_f64 v[21:22], v[34:35], v[21:22]
	s_waitcnt lgkmcnt(0)
	v_add_f64 v[23:24], v[38:39], v[23:24]
	ds_bpermute_b32 v25, v41, v9
	ds_bpermute_b32 v26, v41, v10
	;; [unrolled: 1-line block ×16, first 2 shown]
	s_waitcnt lgkmcnt(14)
	v_add_f64 v[9:10], v[9:10], v[25:26]
	v_xor_b32_e32 v25, 4, v50
	s_waitcnt lgkmcnt(12)
	v_add_f64 v[11:12], v[11:12], v[27:28]
	s_waitcnt lgkmcnt(10)
	v_add_f64 v[13:14], v[13:14], v[30:31]
	v_cmp_gt_i32_e32 vcc_lo, 32, v25
	s_waitcnt lgkmcnt(8)
	v_add_f64 v[15:16], v[15:16], v[32:33]
	s_waitcnt lgkmcnt(6)
	v_add_f64 v[17:18], v[17:18], v[34:35]
	;; [unrolled: 2-line block ×3, first 2 shown]
	v_cndmask_b32_e32 v25, v50, v25, vcc_lo
	s_waitcnt lgkmcnt(2)
	v_add_f64 v[21:22], v[21:22], v[38:39]
	s_waitcnt lgkmcnt(0)
	v_add_f64 v[23:24], v[23:24], v[40:41]
	v_lshlrev_b32_e32 v41, 2, v25
	ds_bpermute_b32 v25, v41, v9
	ds_bpermute_b32 v26, v41, v10
	ds_bpermute_b32 v27, v41, v11
	ds_bpermute_b32 v28, v41, v12
	ds_bpermute_b32 v30, v41, v13
	ds_bpermute_b32 v31, v41, v14
	ds_bpermute_b32 v32, v41, v15
	ds_bpermute_b32 v33, v41, v16
	ds_bpermute_b32 v34, v41, v17
	ds_bpermute_b32 v35, v41, v18
	ds_bpermute_b32 v36, v41, v19
	ds_bpermute_b32 v37, v41, v20
	ds_bpermute_b32 v38, v41, v21
	ds_bpermute_b32 v39, v41, v22
	ds_bpermute_b32 v40, v41, v23
	ds_bpermute_b32 v41, v41, v24
	s_waitcnt lgkmcnt(14)
	v_add_f64 v[9:10], v[9:10], v[25:26]
	v_xor_b32_e32 v25, 2, v50
	s_waitcnt lgkmcnt(12)
	v_add_f64 v[11:12], v[11:12], v[27:28]
	s_waitcnt lgkmcnt(10)
	v_add_f64 v[13:14], v[13:14], v[30:31]
	v_cmp_gt_i32_e32 vcc_lo, 32, v25
	s_waitcnt lgkmcnt(8)
	v_add_f64 v[15:16], v[15:16], v[32:33]
	s_waitcnt lgkmcnt(6)
	v_add_f64 v[17:18], v[17:18], v[34:35]
	;; [unrolled: 2-line block ×3, first 2 shown]
	v_cndmask_b32_e32 v27, v50, v25, vcc_lo
	s_waitcnt lgkmcnt(2)
	v_add_f64 v[21:22], v[21:22], v[38:39]
	s_waitcnt lgkmcnt(0)
	v_add_f64 v[25:26], v[23:24], v[40:41]
	v_lshlrev_b32_e32 v41, 2, v27
	ds_bpermute_b32 v23, v41, v9
	ds_bpermute_b32 v24, v41, v10
	;; [unrolled: 1-line block ×16, first 2 shown]
	s_waitcnt lgkmcnt(14)
	v_add_f64 v[9:10], v[9:10], v[23:24]
	s_waitcnt lgkmcnt(12)
	v_add_f64 v[27:28], v[11:12], v[27:28]
	;; [unrolled: 2-line block ×3, first 2 shown]
	v_xor_b32_e32 v30, 1, v50
	s_waitcnt lgkmcnt(8)
	v_add_f64 v[23:24], v[15:16], v[32:33]
	s_waitcnt lgkmcnt(6)
	v_add_f64 v[13:14], v[17:18], v[34:35]
	v_cmp_gt_i32_e32 vcc_lo, 32, v30
	s_waitcnt lgkmcnt(4)
	v_add_f64 v[17:18], v[19:20], v[36:37]
	s_waitcnt lgkmcnt(2)
	v_add_f64 v[15:16], v[21:22], v[38:39]
	;; [unrolled: 2-line block ×3, first 2 shown]
	v_cndmask_b32_e32 v30, v50, v30, vcc_lo
	v_cmp_eq_u32_e32 vcc_lo, 31, v0
	v_lshlrev_b32_e32 v35, 2, v30
	ds_bpermute_b32 v21, v35, v9
	ds_bpermute_b32 v22, v35, v10
	;; [unrolled: 1-line block ×16, first 2 shown]
	s_and_b32 exec_lo, exec_lo, vcc_lo
	s_cbranch_execz .LBB168_8
; %bb.36:
	s_waitcnt lgkmcnt(12)
	v_add_f64 v[27:28], v[27:28], v[40:41]
	s_waitcnt lgkmcnt(8)
	v_add_f64 v[23:24], v[23:24], v[38:39]
	s_waitcnt lgkmcnt(4)
	v_add_f64 v[17:18], v[17:18], v[36:37]
	s_waitcnt lgkmcnt(0)
	v_add_f64 v[19:20], v[19:20], v[34:35]
	v_add_f64 v[9:10], v[9:10], v[21:22]
	v_add_f64 v[11:12], v[11:12], v[25:26]
	;; [unrolled: 1-line block ×4, first 2 shown]
	v_cmp_eq_f64_e32 vcc_lo, 0, v[1:2]
	v_cmp_eq_f64_e64 s0, 0, v[3:4]
	s_load_dwordx2 s[2:3], s[4:5], 0x60
	v_mul_f64 v[13:14], v[27:28], -v[7:8]
	v_mul_f64 v[15:16], v[5:6], v[27:28]
	v_mul_f64 v[27:28], v[23:24], -v[7:8]
	v_mul_f64 v[23:24], v[5:6], v[23:24]
	;; [unrolled: 2-line block ×4, first 2 shown]
	s_and_b32 s0, vcc_lo, s0
	v_fma_f64 v[17:18], v[5:6], v[9:10], v[13:14]
	v_fma_f64 v[19:20], v[7:8], v[9:10], v[15:16]
	;; [unrolled: 1-line block ×8, first 2 shown]
	v_lshlrev_b32_e32 v21, 2, v29
	s_and_saveexec_b32 s1, s0
	s_xor_b32 s0, exec_lo, s1
	s_cbranch_execz .LBB168_38
; %bb.37:
	v_ashrrev_i32_e32 v22, 31, v21
	v_lshlrev_b64 v[0:1], 4, v[21:22]
                                        ; implicit-def: $vgpr21
	s_waitcnt lgkmcnt(0)
	v_add_co_u32 v0, vcc_lo, s2, v0
	v_add_co_ci_u32_e64 v1, null, s3, v1, vcc_lo
	global_store_dwordx4 v[0:1], v[17:20], off
	global_store_dwordx4 v[0:1], v[13:16], off offset:16
	global_store_dwordx4 v[0:1], v[9:12], off offset:32
	;; [unrolled: 1-line block ×3, first 2 shown]
                                        ; implicit-def: $vgpr3_vgpr4
                                        ; implicit-def: $vgpr17_vgpr18
                                        ; implicit-def: $vgpr13_vgpr14
                                        ; implicit-def: $vgpr9_vgpr10
                                        ; implicit-def: $vgpr5_vgpr6
.LBB168_38:
	s_andn2_saveexec_b32 s0, s0
	s_cbranch_execz .LBB168_8
; %bb.39:
	v_ashrrev_i32_e32 v22, 31, v21
	v_lshlrev_b64 v[21:22], 4, v[21:22]
	s_waitcnt lgkmcnt(0)
	v_add_co_u32 v37, vcc_lo, s2, v21
	v_add_co_ci_u32_e64 v38, null, s3, v22, vcc_lo
	s_clause 0x3
	global_load_dwordx4 v[21:24], v[37:38], off
	global_load_dwordx4 v[25:28], v[37:38], off offset:16
	global_load_dwordx4 v[29:32], v[37:38], off offset:32
	;; [unrolled: 1-line block ×3, first 2 shown]
	s_waitcnt vmcnt(3)
	v_fma_f64 v[17:18], v[1:2], v[21:22], v[17:18]
	v_fma_f64 v[19:20], v[3:4], v[21:22], v[19:20]
	s_waitcnt vmcnt(2)
	v_fma_f64 v[13:14], v[1:2], v[25:26], v[13:14]
	v_fma_f64 v[15:16], v[3:4], v[25:26], v[15:16]
	;; [unrolled: 3-line block ×4, first 2 shown]
	v_fma_f64 v[5:6], -v[3:4], v[23:24], v[17:18]
	v_fma_f64 v[7:8], v[1:2], v[23:24], v[19:20]
	v_fma_f64 v[9:10], -v[3:4], v[27:28], v[13:14]
	v_fma_f64 v[11:12], v[1:2], v[27:28], v[15:16]
	;; [unrolled: 2-line block ×4, first 2 shown]
	global_store_dwordx4 v[37:38], v[5:8], off
	global_store_dwordx4 v[37:38], v[9:12], off offset:16
	global_store_dwordx4 v[37:38], v[13:16], off offset:32
	global_store_dwordx4 v[37:38], v[17:20], off offset:48
	s_endpgm
	.section	.rodata,"a",@progbits
	.p2align	6, 0x0
	.amdhsa_kernel _ZN9rocsparseL18bsrxmvn_4x4_kernelILj128ELj32E21rocsparse_complex_numIdEiiS1_IfES2_S2_EEvT3_20rocsparse_direction_NS_24const_host_device_scalarIT1_EES4_PKS4_PKT2_SD_SA_PKT4_PKT5_S8_PT6_21rocsparse_index_base_b
		.amdhsa_group_segment_fixed_size 0
		.amdhsa_private_segment_fixed_size 0
		.amdhsa_kernarg_size 112
		.amdhsa_user_sgpr_count 6
		.amdhsa_user_sgpr_private_segment_buffer 1
		.amdhsa_user_sgpr_dispatch_ptr 0
		.amdhsa_user_sgpr_queue_ptr 0
		.amdhsa_user_sgpr_kernarg_segment_ptr 1
		.amdhsa_user_sgpr_dispatch_id 0
		.amdhsa_user_sgpr_flat_scratch_init 0
		.amdhsa_user_sgpr_private_segment_size 0
		.amdhsa_wavefront_size32 1
		.amdhsa_uses_dynamic_stack 0
		.amdhsa_system_sgpr_private_segment_wavefront_offset 0
		.amdhsa_system_sgpr_workgroup_id_x 1
		.amdhsa_system_sgpr_workgroup_id_y 0
		.amdhsa_system_sgpr_workgroup_id_z 0
		.amdhsa_system_sgpr_workgroup_info 0
		.amdhsa_system_vgpr_workitem_id 0
		.amdhsa_next_free_vgpr 199
		.amdhsa_next_free_sgpr 16
		.amdhsa_reserve_vcc 1
		.amdhsa_reserve_flat_scratch 0
		.amdhsa_float_round_mode_32 0
		.amdhsa_float_round_mode_16_64 0
		.amdhsa_float_denorm_mode_32 3
		.amdhsa_float_denorm_mode_16_64 3
		.amdhsa_dx10_clamp 1
		.amdhsa_ieee_mode 1
		.amdhsa_fp16_overflow 0
		.amdhsa_workgroup_processor_mode 1
		.amdhsa_memory_ordered 1
		.amdhsa_forward_progress 1
		.amdhsa_shared_vgpr_count 0
		.amdhsa_exception_fp_ieee_invalid_op 0
		.amdhsa_exception_fp_denorm_src 0
		.amdhsa_exception_fp_ieee_div_zero 0
		.amdhsa_exception_fp_ieee_overflow 0
		.amdhsa_exception_fp_ieee_underflow 0
		.amdhsa_exception_fp_ieee_inexact 0
		.amdhsa_exception_int_div_zero 0
	.end_amdhsa_kernel
	.section	.text._ZN9rocsparseL18bsrxmvn_4x4_kernelILj128ELj32E21rocsparse_complex_numIdEiiS1_IfES2_S2_EEvT3_20rocsparse_direction_NS_24const_host_device_scalarIT1_EES4_PKS4_PKT2_SD_SA_PKT4_PKT5_S8_PT6_21rocsparse_index_base_b,"axG",@progbits,_ZN9rocsparseL18bsrxmvn_4x4_kernelILj128ELj32E21rocsparse_complex_numIdEiiS1_IfES2_S2_EEvT3_20rocsparse_direction_NS_24const_host_device_scalarIT1_EES4_PKS4_PKT2_SD_SA_PKT4_PKT5_S8_PT6_21rocsparse_index_base_b,comdat
.Lfunc_end168:
	.size	_ZN9rocsparseL18bsrxmvn_4x4_kernelILj128ELj32E21rocsparse_complex_numIdEiiS1_IfES2_S2_EEvT3_20rocsparse_direction_NS_24const_host_device_scalarIT1_EES4_PKS4_PKT2_SD_SA_PKT4_PKT5_S8_PT6_21rocsparse_index_base_b, .Lfunc_end168-_ZN9rocsparseL18bsrxmvn_4x4_kernelILj128ELj32E21rocsparse_complex_numIdEiiS1_IfES2_S2_EEvT3_20rocsparse_direction_NS_24const_host_device_scalarIT1_EES4_PKS4_PKT2_SD_SA_PKT4_PKT5_S8_PT6_21rocsparse_index_base_b
                                        ; -- End function
	.set _ZN9rocsparseL18bsrxmvn_4x4_kernelILj128ELj32E21rocsparse_complex_numIdEiiS1_IfES2_S2_EEvT3_20rocsparse_direction_NS_24const_host_device_scalarIT1_EES4_PKS4_PKT2_SD_SA_PKT4_PKT5_S8_PT6_21rocsparse_index_base_b.num_vgpr, 199
	.set _ZN9rocsparseL18bsrxmvn_4x4_kernelILj128ELj32E21rocsparse_complex_numIdEiiS1_IfES2_S2_EEvT3_20rocsparse_direction_NS_24const_host_device_scalarIT1_EES4_PKS4_PKT2_SD_SA_PKT4_PKT5_S8_PT6_21rocsparse_index_base_b.num_agpr, 0
	.set _ZN9rocsparseL18bsrxmvn_4x4_kernelILj128ELj32E21rocsparse_complex_numIdEiiS1_IfES2_S2_EEvT3_20rocsparse_direction_NS_24const_host_device_scalarIT1_EES4_PKS4_PKT2_SD_SA_PKT4_PKT5_S8_PT6_21rocsparse_index_base_b.numbered_sgpr, 16
	.set _ZN9rocsparseL18bsrxmvn_4x4_kernelILj128ELj32E21rocsparse_complex_numIdEiiS1_IfES2_S2_EEvT3_20rocsparse_direction_NS_24const_host_device_scalarIT1_EES4_PKS4_PKT2_SD_SA_PKT4_PKT5_S8_PT6_21rocsparse_index_base_b.num_named_barrier, 0
	.set _ZN9rocsparseL18bsrxmvn_4x4_kernelILj128ELj32E21rocsparse_complex_numIdEiiS1_IfES2_S2_EEvT3_20rocsparse_direction_NS_24const_host_device_scalarIT1_EES4_PKS4_PKT2_SD_SA_PKT4_PKT5_S8_PT6_21rocsparse_index_base_b.private_seg_size, 0
	.set _ZN9rocsparseL18bsrxmvn_4x4_kernelILj128ELj32E21rocsparse_complex_numIdEiiS1_IfES2_S2_EEvT3_20rocsparse_direction_NS_24const_host_device_scalarIT1_EES4_PKS4_PKT2_SD_SA_PKT4_PKT5_S8_PT6_21rocsparse_index_base_b.uses_vcc, 1
	.set _ZN9rocsparseL18bsrxmvn_4x4_kernelILj128ELj32E21rocsparse_complex_numIdEiiS1_IfES2_S2_EEvT3_20rocsparse_direction_NS_24const_host_device_scalarIT1_EES4_PKS4_PKT2_SD_SA_PKT4_PKT5_S8_PT6_21rocsparse_index_base_b.uses_flat_scratch, 0
	.set _ZN9rocsparseL18bsrxmvn_4x4_kernelILj128ELj32E21rocsparse_complex_numIdEiiS1_IfES2_S2_EEvT3_20rocsparse_direction_NS_24const_host_device_scalarIT1_EES4_PKS4_PKT2_SD_SA_PKT4_PKT5_S8_PT6_21rocsparse_index_base_b.has_dyn_sized_stack, 0
	.set _ZN9rocsparseL18bsrxmvn_4x4_kernelILj128ELj32E21rocsparse_complex_numIdEiiS1_IfES2_S2_EEvT3_20rocsparse_direction_NS_24const_host_device_scalarIT1_EES4_PKS4_PKT2_SD_SA_PKT4_PKT5_S8_PT6_21rocsparse_index_base_b.has_recursion, 0
	.set _ZN9rocsparseL18bsrxmvn_4x4_kernelILj128ELj32E21rocsparse_complex_numIdEiiS1_IfES2_S2_EEvT3_20rocsparse_direction_NS_24const_host_device_scalarIT1_EES4_PKS4_PKT2_SD_SA_PKT4_PKT5_S8_PT6_21rocsparse_index_base_b.has_indirect_call, 0
	.section	.AMDGPU.csdata,"",@progbits
; Kernel info:
; codeLenInByte = 11552
; TotalNumSgprs: 18
; NumVgprs: 199
; ScratchSize: 0
; MemoryBound: 0
; FloatMode: 240
; IeeeMode: 1
; LDSByteSize: 0 bytes/workgroup (compile time only)
; SGPRBlocks: 0
; VGPRBlocks: 24
; NumSGPRsForWavesPerEU: 18
; NumVGPRsForWavesPerEU: 199
; Occupancy: 4
; WaveLimiterHint : 1
; COMPUTE_PGM_RSRC2:SCRATCH_EN: 0
; COMPUTE_PGM_RSRC2:USER_SGPR: 6
; COMPUTE_PGM_RSRC2:TRAP_HANDLER: 0
; COMPUTE_PGM_RSRC2:TGID_X_EN: 1
; COMPUTE_PGM_RSRC2:TGID_Y_EN: 0
; COMPUTE_PGM_RSRC2:TGID_Z_EN: 0
; COMPUTE_PGM_RSRC2:TIDIG_COMP_CNT: 0
	.section	.text._ZN9rocsparseL18bsrxmvn_4x4_kernelILj128ELj64E21rocsparse_complex_numIdEiiS1_IfES2_S2_EEvT3_20rocsparse_direction_NS_24const_host_device_scalarIT1_EES4_PKS4_PKT2_SD_SA_PKT4_PKT5_S8_PT6_21rocsparse_index_base_b,"axG",@progbits,_ZN9rocsparseL18bsrxmvn_4x4_kernelILj128ELj64E21rocsparse_complex_numIdEiiS1_IfES2_S2_EEvT3_20rocsparse_direction_NS_24const_host_device_scalarIT1_EES4_PKS4_PKT2_SD_SA_PKT4_PKT5_S8_PT6_21rocsparse_index_base_b,comdat
	.globl	_ZN9rocsparseL18bsrxmvn_4x4_kernelILj128ELj64E21rocsparse_complex_numIdEiiS1_IfES2_S2_EEvT3_20rocsparse_direction_NS_24const_host_device_scalarIT1_EES4_PKS4_PKT2_SD_SA_PKT4_PKT5_S8_PT6_21rocsparse_index_base_b ; -- Begin function _ZN9rocsparseL18bsrxmvn_4x4_kernelILj128ELj64E21rocsparse_complex_numIdEiiS1_IfES2_S2_EEvT3_20rocsparse_direction_NS_24const_host_device_scalarIT1_EES4_PKS4_PKT2_SD_SA_PKT4_PKT5_S8_PT6_21rocsparse_index_base_b
	.p2align	8
	.type	_ZN9rocsparseL18bsrxmvn_4x4_kernelILj128ELj64E21rocsparse_complex_numIdEiiS1_IfES2_S2_EEvT3_20rocsparse_direction_NS_24const_host_device_scalarIT1_EES4_PKS4_PKT2_SD_SA_PKT4_PKT5_S8_PT6_21rocsparse_index_base_b,@function
_ZN9rocsparseL18bsrxmvn_4x4_kernelILj128ELj64E21rocsparse_complex_numIdEiiS1_IfES2_S2_EEvT3_20rocsparse_direction_NS_24const_host_device_scalarIT1_EES4_PKS4_PKT2_SD_SA_PKT4_PKT5_S8_PT6_21rocsparse_index_base_b: ; @_ZN9rocsparseL18bsrxmvn_4x4_kernelILj128ELj64E21rocsparse_complex_numIdEiiS1_IfES2_S2_EEvT3_20rocsparse_direction_NS_24const_host_device_scalarIT1_EES4_PKS4_PKT2_SD_SA_PKT4_PKT5_S8_PT6_21rocsparse_index_base_b
; %bb.0:
	s_clause 0x1
	s_load_dwordx2 s[2:3], s[4:5], 0x68
	s_load_dwordx2 s[0:1], s[4:5], 0x8
	s_add_u32 s7, s4, 8
	s_addc_u32 s10, s5, 0
	s_add_u32 s11, s4, 0x50
	s_addc_u32 s12, s5, 0
	s_load_dwordx2 s[8:9], s[4:5], 0x50
	s_waitcnt lgkmcnt(0)
	s_bitcmp1_b32 s3, 0
	s_cselect_b32 s0, s7, s0
	s_cselect_b32 s1, s10, s1
	v_mov_b32_e32 v1, s0
	v_mov_b32_e32 v2, s1
	s_cselect_b32 s0, s11, s8
	s_cselect_b32 s1, s12, s9
	flat_load_dwordx4 v[5:8], v[1:2]
	v_mov_b32_e32 v1, s0
	v_mov_b32_e32 v2, s1
	flat_load_dwordx4 v[1:4], v[1:2]
	s_waitcnt vmcnt(1) lgkmcnt(1)
	v_cmp_eq_f64_e32 vcc_lo, 0, v[5:6]
	v_cmp_eq_f64_e64 s0, 0, v[7:8]
	s_and_b32 s3, vcc_lo, s0
	s_mov_b32 s0, -1
	s_and_saveexec_b32 s1, s3
	s_cbranch_execz .LBB169_2
; %bb.1:
	s_waitcnt vmcnt(0) lgkmcnt(0)
	v_cmp_neq_f64_e32 vcc_lo, 1.0, v[1:2]
	v_cmp_neq_f64_e64 s0, 0, v[3:4]
	s_or_b32 s0, vcc_lo, s0
	s_orn2_b32 s0, s0, exec_lo
.LBB169_2:
	s_or_b32 exec_lo, exec_lo, s1
	s_and_saveexec_b32 s1, s0
	s_cbranch_execz .LBB169_8
; %bb.3:
	s_clause 0x1
	s_load_dwordx2 s[8:9], s[4:5], 0x20
	s_load_dwordx2 s[0:1], s[4:5], 0x0
	v_lshrrev_b32_e32 v9, 6, v0
	v_lshl_or_b32 v29, s6, 1, v9
	s_waitcnt lgkmcnt(0)
	s_cmp_lg_u64 s[8:9], 0
	s_cbranch_scc0 .LBB169_9
; %bb.4:
	s_load_dword s3, s[4:5], 0x18
	s_mov_b32 s6, 0
                                        ; implicit-def: $vgpr9
	s_waitcnt lgkmcnt(0)
	v_cmp_gt_i32_e32 vcc_lo, s3, v29
	s_mov_b32 s3, 0
	s_and_saveexec_b32 s7, vcc_lo
	s_xor_b32 s7, exec_lo, s7
	s_cbranch_execz .LBB169_6
; %bb.5:
	v_ashrrev_i32_e32 v30, 31, v29
	s_mov_b32 s3, exec_lo
	v_lshlrev_b64 v[9:10], 2, v[29:30]
	v_add_co_u32 v9, vcc_lo, s8, v9
	v_add_co_ci_u32_e64 v10, null, s9, v10, vcc_lo
	global_load_dword v9, v[9:10], off
	s_waitcnt vmcnt(0)
	v_subrev_nc_u32_e32 v9, s2, v9
.LBB169_6:
	s_or_b32 exec_lo, exec_lo, s7
	s_and_b32 vcc_lo, exec_lo, s6
	s_cbranch_vccz .LBB169_10
.LBB169_7:
	v_cmp_gt_i32_e32 vcc_lo, s0, v29
	s_andn2_b32 s0, s3, exec_lo
	s_and_b32 s3, vcc_lo, exec_lo
	s_or_b32 s3, s0, s3
	s_and_b32 exec_lo, exec_lo, s3
	s_cbranch_execnz .LBB169_11
.LBB169_8:
	s_endpgm
.LBB169_9:
	s_mov_b32 s3, 0
                                        ; implicit-def: $vgpr9
	s_cbranch_execnz .LBB169_7
.LBB169_10:
	v_mov_b32_e32 v29, v9
	s_and_b32 exec_lo, exec_lo, s3
	s_cbranch_execz .LBB169_8
.LBB169_11:
	s_load_dwordx8 s[8:15], s[4:5], 0x28
	v_ashrrev_i32_e32 v30, 31, v29
	v_and_b32_e32 v0, 63, v0
	s_load_dwordx2 s[6:7], s[4:5], 0x48
	v_lshlrev_b64 v[9:10], 2, v[29:30]
	s_waitcnt lgkmcnt(0)
	v_add_co_u32 v11, vcc_lo, s8, v9
	v_add_co_ci_u32_e64 v12, null, s9, v10, vcc_lo
	v_add_co_u32 v9, vcc_lo, s10, v9
	v_add_co_ci_u32_e64 v10, null, s11, v10, vcc_lo
	global_load_dword v21, v[11:12], off
	v_add_co_u32 v11, vcc_lo, v11, 4
	v_add_co_ci_u32_e64 v12, null, 0, v12, vcc_lo
	s_cmp_eq_u64 s[10:11], 0
	s_cselect_b32 vcc_lo, -1, 0
	s_cmp_eq_u32 s1, 1
	v_cndmask_b32_e32 v10, v10, v12, vcc_lo
	v_cndmask_b32_e32 v9, v9, v11, vcc_lo
	global_load_dword v11, v[9:10], off
	s_waitcnt vmcnt(1)
	v_subrev_nc_u32_e32 v9, s2, v21
	v_add_nc_u32_e32 v30, v9, v0
	v_ashrrev_i32_e32 v31, 31, v30
	s_waitcnt vmcnt(0)
	v_subrev_nc_u32_e32 v50, s2, v11
	v_lshlrev_b64 v[9:10], 7, v[30:31]
	v_cmp_lt_i32_e64 s0, v30, v50
	v_add_co_u32 v32, vcc_lo, s14, v9
	v_add_co_ci_u32_e64 v33, null, s15, v10, vcc_lo
	s_cbranch_scc1 .LBB169_23
; %bb.12:
	v_mov_b32_e32 v36, 0
	v_mov_b32_e32 v48, 0
	;; [unrolled: 1-line block ×16, first 2 shown]
	s_and_saveexec_b32 s3, s0
	s_cbranch_execz .LBB169_22
; %bb.13:
	v_add_nc_u32_e32 v9, v21, v0
	v_not_b32_e32 v10, v21
	v_mov_b32_e32 v34, 0
	v_mov_b32_e32 v38, 0
	;; [unrolled: 1-line block ×3, first 2 shown]
	v_subrev_nc_u32_e32 v9, s2, v9
	v_mov_b32_e32 v40, 0
	v_mov_b32_e32 v46, 0
	;; [unrolled: 1-line block ×4, first 2 shown]
	v_add_nc_u32_e32 v9, 64, v9
	v_mov_b32_e32 v36, 0
	v_mov_b32_e32 v19, v32
	;; [unrolled: 1-line block ×4, first 2 shown]
	v_max_i32_e32 v9, v9, v50
	v_mov_b32_e32 v45, 0
	v_mov_b32_e32 v41, 0
	;; [unrolled: 1-line block ×4, first 2 shown]
	v_add3_u32 v9, s2, v9, v10
	v_mov_b32_e32 v49, 0
	v_mov_b32_e32 v37, 0
	;; [unrolled: 1-line block ×4, first 2 shown]
	v_sub_nc_u32_e32 v9, v9, v0
	s_mov_b32 s1, exec_lo
	v_and_b32_e32 v10, 0xc0, v9
	v_cmpx_ne_u32_e32 0xc0, v10
	s_cbranch_execz .LBB169_17
; %bb.14:
	v_lshrrev_b32_e32 v10, 6, v9
	v_mov_b32_e32 v36, 0
	v_mov_b32_e32 v48, 0
	;; [unrolled: 1-line block ×4, first 2 shown]
	v_add_nc_u32_e32 v10, 1, v10
	v_mov_b32_e32 v40, 0
	v_mov_b32_e32 v44, 0
	;; [unrolled: 1-line block ×4, first 2 shown]
	v_and_b32_e32 v10, 3, v10
	v_mov_b32_e32 v19, v32
	v_mov_b32_e32 v37, 0
	;; [unrolled: 1-line block ×10, first 2 shown]
	v_sub_nc_u32_e32 v10, 0, v10
	v_mov_b32_e32 v20, v33
	s_mov_b32 s8, 0
.LBB169_15:                             ; =>This Inner Loop Header: Depth=1
	v_ashrrev_i32_e32 v18, 31, v17
	v_add_co_u32 v10, s9, v10, 1
	s_or_b32 s8, s9, s8
	v_lshlrev_b64 v[11:12], 2, v[17:18]
	v_add_nc_u32_e32 v17, 64, v17
	v_add_co_u32 v11, vcc_lo, s12, v11
	v_add_co_ci_u32_e64 v12, null, s13, v12, vcc_lo
	global_load_dword v15, v[11:12], off
	s_clause 0x4
	global_load_dwordx4 v[11:14], v[19:20], off offset:32
	global_load_dwordx4 v[22:25], v[19:20], off offset:16
	global_load_dwordx4 v[51:54], v[19:20], off
	global_load_dwordx4 v[55:58], v[19:20], off offset:96
	global_load_dwordx4 v[59:62], v[19:20], off offset:64
	s_waitcnt vmcnt(5)
	v_subrev_nc_u32_e32 v15, s2, v15
	s_waitcnt vmcnt(4)
	v_cvt_f64_f32_e32 v[95:96], v13
	v_cvt_f64_f32_e32 v[13:14], v14
	s_waitcnt vmcnt(2)
	v_cvt_f64_f32_e32 v[26:27], v52
	s_waitcnt vmcnt(1)
	v_cvt_f64_f32_e32 v[93:94], v55
	v_lshlrev_b32_e32 v15, 2, v15
	s_waitcnt vmcnt(0)
	v_cvt_f64_f32_e32 v[91:92], v59
	v_cvt_f64_f32_e32 v[59:60], v60
	;; [unrolled: 1-line block ×4, first 2 shown]
	v_ashrrev_i32_e32 v16, 31, v15
	v_cvt_f64_f32_e32 v[61:62], v62
	v_cvt_f64_f32_e32 v[99:100], v57
	;; [unrolled: 1-line block ×3, first 2 shown]
	v_lshlrev_b64 v[15:16], 4, v[15:16]
	v_add_co_u32 v15, vcc_lo, s6, v15
	v_add_co_ci_u32_e64 v16, null, s7, v16, vcc_lo
	s_clause 0x1
	global_load_dwordx4 v[63:66], v[15:16], off
	global_load_dwordx4 v[67:70], v[15:16], off offset:16
	s_clause 0x2
	global_load_dwordx4 v[71:74], v[19:20], off offset:48
	global_load_dwordx4 v[75:78], v[19:20], off offset:80
	;; [unrolled: 1-line block ×3, first 2 shown]
	s_clause 0x1
	global_load_dwordx4 v[83:86], v[15:16], off offset:32
	global_load_dwordx4 v[87:90], v[15:16], off offset:48
	v_cvt_f64_f32_e32 v[15:16], v51
	v_cvt_f64_f32_e32 v[51:52], v11
	;; [unrolled: 1-line block ×3, first 2 shown]
	v_add_co_u32 v19, vcc_lo, 0x2000, v19
	v_add_co_ci_u32_e64 v20, null, 0, v20, vcc_lo
	s_waitcnt vmcnt(6)
	v_fma_f64 v[48:49], v[15:16], v[63:64], v[48:49]
	v_fma_f64 v[36:37], v[26:27], v[63:64], v[36:37]
	;; [unrolled: 1-line block ×8, first 2 shown]
	v_cvt_f64_f32_e32 v[63:64], v53
	v_cvt_f64_f32_e32 v[53:54], v54
	v_fma_f64 v[26:27], -v[26:27], v[65:66], v[48:49]
	v_fma_f64 v[15:16], v[15:16], v[65:66], v[36:37]
	v_fma_f64 v[11:12], -v[11:12], v[65:66], v[46:47]
	v_fma_f64 v[36:37], v[51:52], v[65:66], v[42:43]
	;; [unrolled: 2-line block ×4, first 2 shown]
	v_cvt_f64_f32_e32 v[44:45], v22
	v_cvt_f64_f32_e32 v[22:23], v23
	s_waitcnt vmcnt(4)
	v_cvt_f64_f32_e32 v[46:47], v71
	v_cvt_f64_f32_e32 v[48:49], v72
	s_waitcnt vmcnt(3)
	;; [unrolled: 3-line block ×3, first 2 shown]
	v_cvt_f64_f32_e32 v[59:60], v79
	v_cvt_f64_f32_e32 v[65:66], v80
	v_fma_f64 v[26:27], v[63:64], v[67:68], v[26:27]
	v_fma_f64 v[15:16], v[53:54], v[67:68], v[15:16]
	v_fma_f64 v[11:12], v[95:96], v[67:68], v[11:12]
	v_fma_f64 v[36:37], v[13:14], v[67:68], v[36:37]
	v_fma_f64 v[42:43], v[97:98], v[67:68], v[42:43]
	v_fma_f64 v[40:41], v[61:62], v[67:68], v[40:41]
	v_fma_f64 v[34:35], v[99:100], v[67:68], v[34:35]
	v_fma_f64 v[38:39], v[57:58], v[67:68], v[38:39]
	v_cvt_f64_f32_e32 v[67:68], v81
	v_fma_f64 v[26:27], -v[53:54], v[69:70], v[26:27]
	v_fma_f64 v[15:16], v[63:64], v[69:70], v[15:16]
	v_fma_f64 v[11:12], -v[13:14], v[69:70], v[11:12]
	v_fma_f64 v[13:14], v[95:96], v[69:70], v[36:37]
	v_fma_f64 v[36:37], -v[61:62], v[69:70], v[42:43]
	v_fma_f64 v[40:41], v[97:98], v[69:70], v[40:41]
	v_fma_f64 v[34:35], -v[57:58], v[69:70], v[34:35]
	v_fma_f64 v[38:39], v[99:100], v[69:70], v[38:39]
	v_cvt_f64_f32_e32 v[42:43], v24
	v_cvt_f64_f32_e32 v[24:25], v25
	;; [unrolled: 1-line block ×7, first 2 shown]
	s_waitcnt vmcnt(1)
	v_fma_f64 v[26:27], v[44:45], v[83:84], v[26:27]
	v_fma_f64 v[15:16], v[22:23], v[83:84], v[15:16]
	;; [unrolled: 1-line block ×8, first 2 shown]
	v_fma_f64 v[22:23], -v[22:23], v[85:86], v[26:27]
	v_fma_f64 v[15:16], v[44:45], v[85:86], v[15:16]
	v_fma_f64 v[11:12], -v[48:49], v[85:86], v[11:12]
	v_fma_f64 v[13:14], v[46:47], v[85:86], v[13:14]
	;; [unrolled: 2-line block ×4, first 2 shown]
	s_waitcnt vmcnt(0)
	v_fma_f64 v[22:23], v[42:43], v[87:88], v[22:23]
	v_fma_f64 v[15:16], v[24:25], v[87:88], v[15:16]
	;; [unrolled: 1-line block ×8, first 2 shown]
	v_fma_f64 v[48:49], -v[24:25], v[89:90], v[22:23]
	v_fma_f64 v[36:37], v[42:43], v[89:90], v[15:16]
	v_fma_f64 v[46:47], -v[57:58], v[89:90], v[11:12]
	v_fma_f64 v[42:43], v[53:54], v[89:90], v[13:14]
	;; [unrolled: 2-line block ×4, first 2 shown]
	s_andn2_b32 exec_lo, exec_lo, s8
	s_cbranch_execnz .LBB169_15
; %bb.16:
	s_or_b32 exec_lo, exec_lo, s8
.LBB169_17:
	s_or_b32 exec_lo, exec_lo, s1
	s_mov_b32 s8, exec_lo
	v_cmpx_lt_u32_e32 0xbf, v9
	s_cbranch_execz .LBB169_21
; %bb.18:
	s_mov_b32 s9, 0
.LBB169_19:                             ; =>This Inner Loop Header: Depth=1
	v_ashrrev_i32_e32 v18, 31, v17
	v_lshlrev_b64 v[9:10], 2, v[17:18]
	v_add_nc_u32_e32 v17, 0x100, v17
	v_add_co_u32 v9, vcc_lo, s12, v9
	v_add_co_ci_u32_e64 v10, null, s13, v10, vcc_lo
	s_clause 0x1
	global_load_dword v11, v[9:10], off
	global_load_dword v13, v[9:10], off offset:256
	s_clause 0x3
	global_load_dwordx4 v[22:25], v[19:20], off
	global_load_dwordx4 v[51:54], v[19:20], off offset:32
	global_load_dwordx4 v[55:58], v[19:20], off offset:64
	;; [unrolled: 1-line block ×3, first 2 shown]
	s_clause 0x1
	global_load_dword v18, v[9:10], off offset:512
	global_load_dword v28, v[9:10], off offset:768
	s_waitcnt vmcnt(7)
	v_subrev_nc_u32_e32 v9, s2, v11
	s_waitcnt vmcnt(5)
	v_cvt_f64_f32_e32 v[177:178], v22
	v_cvt_f64_f32_e32 v[179:180], v23
	s_waitcnt vmcnt(4)
	v_cvt_f64_f32_e32 v[185:186], v51
	v_lshlrev_b32_e32 v9, 2, v9
	v_cvt_f64_f32_e32 v[51:52], v52
	s_waitcnt vmcnt(3)
	v_cvt_f64_f32_e32 v[189:190], v55
	v_cvt_f64_f32_e32 v[55:56], v56
	s_waitcnt vmcnt(2)
	v_cvt_f64_f32_e32 v[193:194], v59
	v_ashrrev_i32_e32 v10, 31, v9
	v_cvt_f64_f32_e32 v[59:60], v60
	v_cvt_f64_f32_e32 v[181:182], v24
	;; [unrolled: 1-line block ×3, first 2 shown]
	s_waitcnt vmcnt(1)
	v_subrev_nc_u32_e32 v18, s2, v18
	v_lshlrev_b64 v[9:10], 4, v[9:10]
	v_cvt_f64_f32_e32 v[187:188], v53
	v_cvt_f64_f32_e32 v[53:54], v54
	;; [unrolled: 1-line block ×3, first 2 shown]
	v_lshlrev_b32_e32 v197, 2, v18
	v_cvt_f64_f32_e32 v[57:58], v58
	v_add_co_u32 v9, vcc_lo, s6, v9
	v_add_co_ci_u32_e64 v10, null, s7, v10, vcc_lo
	v_add_co_u32 v11, vcc_lo, 0x2000, v19
	v_add_co_ci_u32_e64 v12, null, 0, v20, vcc_lo
	s_clause 0x1
	global_load_dwordx4 v[63:66], v[9:10], off
	global_load_dwordx4 v[67:70], v[9:10], off offset:16
	s_clause 0x3
	global_load_dwordx4 v[71:74], v[19:20], off offset:16
	global_load_dwordx4 v[75:78], v[19:20], off offset:48
	;; [unrolled: 1-line block ×5, first 2 shown]
	global_load_dwordx4 v[91:94], v[11:12], off
	global_load_dwordx4 v[95:98], v[9:10], off offset:48
	s_clause 0x2
	global_load_dwordx4 v[99:102], v[11:12], off offset:32
	global_load_dwordx4 v[103:106], v[11:12], off offset:64
	;; [unrolled: 1-line block ×3, first 2 shown]
	v_subrev_nc_u32_e32 v9, s2, v13
	v_ashrrev_i32_e32 v198, 31, v197
	v_cvt_f64_f32_e32 v[195:196], v61
	v_cvt_f64_f32_e32 v[61:62], v62
	s_waitcnt vmcnt(12)
	v_subrev_nc_u32_e32 v18, s2, v28
	v_lshlrev_b32_e32 v9, 2, v9
	v_ashrrev_i32_e32 v10, 31, v9
	v_lshlrev_b64 v[9:10], 4, v[9:10]
	v_add_co_u32 v26, vcc_lo, s6, v9
	v_add_co_ci_u32_e64 v27, null, s7, v10, vcc_lo
	s_clause 0x1
	global_load_dwordx4 v[111:114], v[26:27], off
	global_load_dwordx4 v[115:118], v[26:27], off offset:16
	s_clause 0x3
	global_load_dwordx4 v[119:122], v[11:12], off offset:16
	global_load_dwordx4 v[123:126], v[11:12], off offset:48
	;; [unrolled: 1-line block ×5, first 2 shown]
	v_add_co_u32 v9, vcc_lo, 0x4000, v19
	v_add_co_ci_u32_e64 v10, null, 0, v20, vcc_lo
	v_add_co_u32 v175, vcc_lo, 0x6000, v19
	v_add_co_ci_u32_e64 v176, null, 0, v20, vcc_lo
	s_clause 0xa
	global_load_dwordx4 v[139:142], v[9:10], off
	global_load_dwordx4 v[143:146], v[9:10], off offset:16
	global_load_dwordx4 v[147:150], v[9:10], off offset:32
	;; [unrolled: 1-line block ×7, first 2 shown]
	global_load_dwordx4 v[13:16], v[175:176], off
	global_load_dwordx4 v[9:12], v[175:176], off offset:48
	global_load_dwordx4 v[171:174], v[175:176], off offset:32
	;; [unrolled: 1-line block ×3, first 2 shown]
	v_add_co_u32 v19, s1, 0x8000, v19
	v_add_co_ci_u32_e64 v20, null, 0, v20, s1
	s_waitcnt vmcnt(30)
	v_fma_f64 v[26:27], v[177:178], v[63:64], v[48:49]
	v_fma_f64 v[36:37], v[179:180], v[63:64], v[36:37]
	v_fma_f64 v[46:47], v[185:186], v[63:64], v[46:47]
	v_fma_f64 v[42:43], v[51:52], v[63:64], v[42:43]
	v_fma_f64 v[44:45], v[189:190], v[63:64], v[44:45]
	v_fma_f64 v[40:41], v[55:56], v[63:64], v[40:41]
	v_fma_f64 v[34:35], v[193:194], v[63:64], v[34:35]
	v_fma_f64 v[38:39], v[59:60], v[63:64], v[38:39]
	v_lshlrev_b64 v[48:49], 4, v[197:198]
	v_add_co_u32 v63, vcc_lo, s6, v48
	v_add_co_ci_u32_e64 v64, null, s7, v49, vcc_lo
	v_fma_f64 v[26:27], -v[179:180], v[65:66], v[26:27]
	v_fma_f64 v[177:178], v[177:178], v[65:66], v[36:37]
	v_fma_f64 v[46:47], -v[51:52], v[65:66], v[46:47]
	v_fma_f64 v[42:43], v[185:186], v[65:66], v[42:43]
	;; [unrolled: 2-line block ×4, first 2 shown]
	global_load_dwordx4 v[34:37], v[63:64], off
	s_waitcnt vmcnt(28)
	v_cvt_f64_f32_e32 v[179:180], v75
	v_cvt_f64_f32_e32 v[75:76], v76
	s_waitcnt vmcnt(27)
	v_cvt_f64_f32_e32 v[185:186], v79
	v_cvt_f64_f32_e32 v[79:80], v80
	;; [unrolled: 3-line block ×3, first 2 shown]
	v_fma_f64 v[26:27], v[181:182], v[67:68], v[26:27]
	v_fma_f64 v[48:49], v[183:184], v[67:68], v[177:178]
	;; [unrolled: 1-line block ×8, first 2 shown]
	v_cvt_f64_f32_e32 v[177:178], v71
	v_cvt_f64_f32_e32 v[71:72], v72
	s_clause 0x1
	global_load_dwordx4 v[38:41], v[175:176], off offset:96
	global_load_dwordx4 v[42:45], v[175:176], off offset:64
	v_fma_f64 v[26:27], -v[183:184], v[69:70], v[26:27]
	v_fma_f64 v[181:182], v[181:182], v[69:70], v[48:49]
	v_fma_f64 v[53:54], -v[53:54], v[69:70], v[46:47]
	v_fma_f64 v[55:56], v[187:188], v[69:70], v[55:56]
	;; [unrolled: 2-line block ×4, first 2 shown]
	global_load_dwordx4 v[46:49], v[63:64], off offset:16
	v_cvt_f64_f32_e32 v[65:66], v73
	v_cvt_f64_f32_e32 v[67:68], v74
	;; [unrolled: 1-line block ×4, first 2 shown]
	s_waitcnt vmcnt(27)
	v_cvt_f64_f32_e32 v[183:184], v91
	v_cvt_f64_f32_e32 v[91:92], v92
	;; [unrolled: 1-line block ×4, first 2 shown]
	v_fma_f64 v[26:27], v[177:178], v[87:88], v[26:27]
	v_fma_f64 v[69:70], v[71:72], v[87:88], v[181:182]
	;; [unrolled: 1-line block ×8, first 2 shown]
	v_cvt_f64_f32_e32 v[87:88], v81
	v_cvt_f64_f32_e32 v[81:82], v82
	;; [unrolled: 1-line block ×4, first 2 shown]
	v_fma_f64 v[26:27], -v[71:72], v[89:90], v[26:27]
	v_fma_f64 v[69:70], v[177:178], v[89:90], v[69:70]
	v_fma_f64 v[71:72], -v[75:76], v[89:90], v[53:54]
	v_fma_f64 v[55:56], v[179:180], v[89:90], v[55:56]
	;; [unrolled: 2-line block ×4, first 2 shown]
	global_load_dwordx4 v[51:54], v[63:64], off offset:32
	s_waitcnt vmcnt(26)
	v_cvt_f64_f32_e32 v[79:80], v99
	v_cvt_f64_f32_e32 v[83:84], v100
	;; [unrolled: 1-line block ×3, first 2 shown]
	s_waitcnt vmcnt(25)
	v_cvt_f64_f32_e32 v[99:100], v103
	s_waitcnt vmcnt(24)
	v_cvt_f64_f32_e32 v[177:178], v107
	v_cvt_f64_f32_e32 v[107:108], v108
	v_cvt_f64_f32_e32 v[179:180], v109
	v_cvt_f64_f32_e32 v[109:110], v110
	v_fma_f64 v[26:27], v[65:66], v[95:96], v[26:27]
	v_fma_f64 v[69:70], v[67:68], v[95:96], v[69:70]
	;; [unrolled: 1-line block ×8, first 2 shown]
	v_cvt_f64_f32_e32 v[95:96], v102
	v_cvt_f64_f32_e32 v[101:102], v104
	;; [unrolled: 1-line block ×4, first 2 shown]
	v_fma_f64 v[26:27], -v[67:68], v[97:98], v[26:27]
	v_fma_f64 v[65:66], v[65:66], v[97:98], v[69:70]
	v_fma_f64 v[67:68], -v[77:78], v[97:98], v[71:72]
	v_fma_f64 v[69:70], v[73:74], v[97:98], v[55:56]
	;; [unrolled: 2-line block ×4, first 2 shown]
	global_load_dwordx4 v[55:58], v[63:64], off offset:48
	v_lshlrev_b32_e32 v75, 2, v18
	s_waitcnt vmcnt(22)
	v_cvt_f64_f32_e32 v[81:82], v120
	s_waitcnt vmcnt(21)
	v_cvt_f64_f32_e32 v[87:88], v124
	;; [unrolled: 2-line block ×3, first 2 shown]
	v_ashrrev_i32_e32 v76, 31, v75
	v_fma_f64 v[26:27], v[183:184], v[111:112], v[26:27]
	v_fma_f64 v[63:64], v[91:92], v[111:112], v[65:66]
	;; [unrolled: 1-line block ×8, first 2 shown]
	v_lshlrev_b64 v[73:74], 4, v[75:76]
	v_cvt_f64_f32_e32 v[111:112], v121
	v_add_co_u32 v85, vcc_lo, s6, v73
	v_add_co_ci_u32_e64 v86, null, s7, v74, vcc_lo
	v_cmp_ge_i32_e32 vcc_lo, v17, v50
	v_fma_f64 v[26:27], -v[91:92], v[113:114], v[26:27]
	v_fma_f64 v[63:64], v[183:184], v[113:114], v[63:64]
	v_fma_f64 v[65:66], -v[83:84], v[113:114], v[65:66]
	v_fma_f64 v[67:68], v[79:80], v[113:114], v[67:68]
	v_fma_f64 v[69:70], -v[101:102], v[113:114], v[69:70]
	v_fma_f64 v[75:76], v[99:100], v[113:114], v[59:60]
	v_fma_f64 v[71:72], -v[107:108], v[113:114], v[71:72]
	v_fma_f64 v[77:78], v[177:178], v[113:114], v[61:62]
	global_load_dwordx4 v[59:62], v[85:86], off
	v_cvt_f64_f32_e32 v[79:80], v119
	v_cvt_f64_f32_e32 v[83:84], v123
	v_cvt_f64_f32_e32 v[91:92], v127
	s_waitcnt vmcnt(20)
	v_cvt_f64_f32_e32 v[99:100], v131
	v_cvt_f64_f32_e32 v[101:102], v132
	;; [unrolled: 1-line block ×6, first 2 shown]
	s_waitcnt vmcnt(14)
	v_cvt_f64_f32_e32 v[127:128], v156
	s_or_b32 s9, vcc_lo, s9
	v_fma_f64 v[26:27], v[187:188], v[115:116], v[26:27]
	v_fma_f64 v[63:64], v[93:94], v[115:116], v[63:64]
	;; [unrolled: 1-line block ×8, first 2 shown]
	v_cvt_f64_f32_e32 v[115:116], v125
	v_fma_f64 v[26:27], -v[93:94], v[117:118], v[26:27]
	v_fma_f64 v[77:78], v[187:188], v[117:118], v[63:64]
	v_fma_f64 v[93:94], -v[95:96], v[117:118], v[65:66]
	v_fma_f64 v[89:90], v[89:90], v[117:118], v[67:68]
	;; [unrolled: 2-line block ×4, first 2 shown]
	global_load_dwordx4 v[63:66], v[85:86], off offset:16
	s_clause 0x1
	global_load_dwordx4 v[67:70], v[175:176], off offset:80
	global_load_dwordx4 v[71:74], v[175:176], off offset:16
	v_cvt_f64_f32_e32 v[117:118], v126
	v_cvt_f64_f32_e32 v[125:126], v134
	v_fma_f64 v[26:27], v[79:80], v[135:136], v[26:27]
	v_fma_f64 v[107:108], v[81:82], v[135:136], v[77:78]
	;; [unrolled: 1-line block ×8, first 2 shown]
	global_load_dwordx4 v[75:78], v[175:176], off offset:112
	v_fma_f64 v[26:27], -v[81:82], v[137:138], v[26:27]
	v_fma_f64 v[107:108], v[79:80], v[137:138], v[107:108]
	v_fma_f64 v[87:88], -v[87:88], v[137:138], v[93:94]
	v_fma_f64 v[83:84], v[83:84], v[137:138], v[89:90]
	;; [unrolled: 2-line block ×4, first 2 shown]
	global_load_dwordx4 v[79:82], v[85:86], off offset:32
	v_cvt_f64_f32_e32 v[99:100], v140
	v_cvt_f64_f32_e32 v[101:102], v147
	;; [unrolled: 1-line block ×3, first 2 shown]
	s_waitcnt vmcnt(17)
	v_cvt_f64_f32_e32 v[105:106], v163
	v_cvt_f64_f32_e32 v[109:110], v155
	s_waitcnt vmcnt(12)
	v_fma_f64 v[26:27], v[111:112], v[22:23], v[26:27]
	v_fma_f64 v[97:98], v[113:114], v[22:23], v[107:108]
	v_fma_f64 v[87:88], v[115:116], v[22:23], v[87:88]
	v_fma_f64 v[83:84], v[117:118], v[22:23], v[83:84]
	v_fma_f64 v[89:90], v[119:120], v[22:23], v[89:90]
	v_fma_f64 v[91:92], v[121:122], v[22:23], v[91:92]
	v_fma_f64 v[93:94], v[123:124], v[22:23], v[93:94]
	v_fma_f64 v[22:23], v[125:126], v[22:23], v[95:96]
	v_cvt_f64_f32_e32 v[95:96], v139
	v_cvt_f64_f32_e32 v[107:108], v164
	v_fma_f64 v[26:27], -v[113:114], v[24:25], v[26:27]
	v_fma_f64 v[97:98], v[111:112], v[24:25], v[97:98]
	v_fma_f64 v[87:88], -v[117:118], v[24:25], v[87:88]
	v_fma_f64 v[83:84], v[115:116], v[24:25], v[83:84]
	;; [unrolled: 2-line block ×4, first 2 shown]
	global_load_dwordx4 v[22:25], v[85:86], off offset:48
	v_cvt_f64_f32_e32 v[113:114], v149
	v_cvt_f64_f32_e32 v[115:116], v150
	;; [unrolled: 1-line block ×6, first 2 shown]
	s_waitcnt vmcnt(12)
	v_fma_f64 v[26:27], v[95:96], v[34:35], v[26:27]
	v_fma_f64 v[85:86], v[99:100], v[34:35], v[97:98]
	;; [unrolled: 1-line block ×8, first 2 shown]
	v_cvt_f64_f32_e32 v[97:98], v141
	v_cvt_f64_f32_e32 v[111:112], v142
	v_fma_f64 v[26:27], -v[99:100], v[36:37], v[26:27]
	v_fma_f64 v[85:86], v[95:96], v[36:37], v[85:86]
	v_fma_f64 v[87:88], -v[103:104], v[36:37], v[87:88]
	v_fma_f64 v[83:84], v[101:102], v[36:37], v[83:84]
	;; [unrolled: 2-line block ×4, first 2 shown]
	v_cvt_f64_f32_e32 v[95:96], v151
	v_cvt_f64_f32_e32 v[99:100], v152
	;; [unrolled: 1-line block ×7, first 2 shown]
	s_waitcnt vmcnt(9)
	v_fma_f64 v[26:27], v[97:98], v[46:47], v[26:27]
	v_fma_f64 v[36:37], v[111:112], v[46:47], v[85:86]
	;; [unrolled: 1-line block ×8, first 2 shown]
	v_cvt_f64_f32_e32 v[46:47], v143
	v_cvt_f64_f32_e32 v[93:94], v144
	v_fma_f64 v[26:27], -v[111:112], v[48:49], v[26:27]
	v_fma_f64 v[36:37], v[97:98], v[48:49], v[36:37]
	v_fma_f64 v[85:86], -v[115:116], v[48:49], v[85:86]
	v_fma_f64 v[83:84], v[113:114], v[48:49], v[83:84]
	;; [unrolled: 2-line block ×4, first 2 shown]
	v_cvt_f64_f32_e32 v[97:98], v153
	v_cvt_f64_f32_e32 v[111:112], v169
	;; [unrolled: 1-line block ×5, first 2 shown]
	s_waitcnt vmcnt(8)
	v_fma_f64 v[26:27], v[46:47], v[51:52], v[26:27]
	v_fma_f64 v[36:37], v[93:94], v[51:52], v[36:37]
	;; [unrolled: 1-line block ×8, first 2 shown]
	v_cvt_f64_f32_e32 v[51:52], v145
	v_cvt_f64_f32_e32 v[91:92], v146
	v_fma_f64 v[26:27], -v[93:94], v[53:54], v[26:27]
	v_fma_f64 v[36:37], v[46:47], v[53:54], v[36:37]
	v_fma_f64 v[46:47], -v[99:100], v[53:54], v[48:49]
	v_fma_f64 v[48:49], v[95:96], v[53:54], v[83:84]
	;; [unrolled: 2-line block ×4, first 2 shown]
	v_cvt_f64_f32_e32 v[89:90], v172
	v_cvt_f64_f32_e32 v[93:94], v42
	;; [unrolled: 1-line block ×5, first 2 shown]
	s_waitcnt vmcnt(7)
	v_fma_f64 v[26:27], v[51:52], v[55:56], v[26:27]
	v_fma_f64 v[36:37], v[91:92], v[55:56], v[36:37]
	;; [unrolled: 1-line block ×8, first 2 shown]
	v_cvt_f64_f32_e32 v[55:56], v13
	v_cvt_f64_f32_e32 v[13:14], v14
	;; [unrolled: 1-line block ×3, first 2 shown]
	v_fma_f64 v[26:27], -v[91:92], v[57:58], v[26:27]
	v_fma_f64 v[36:37], v[51:52], v[57:58], v[36:37]
	v_fma_f64 v[46:47], -v[109:110], v[57:58], v[46:47]
	v_fma_f64 v[48:49], v[97:98], v[57:58], v[48:49]
	;; [unrolled: 2-line block ×4, first 2 shown]
	v_cvt_f64_f32_e32 v[85:86], v174
	v_cvt_f64_f32_e32 v[91:92], v44
	;; [unrolled: 1-line block ×5, first 2 shown]
	s_waitcnt vmcnt(6)
	v_fma_f64 v[26:27], v[55:56], v[59:60], v[26:27]
	v_fma_f64 v[36:37], v[13:14], v[59:60], v[36:37]
	;; [unrolled: 1-line block ×8, first 2 shown]
	v_cvt_f64_f32_e32 v[59:60], v15
	v_cvt_f64_f32_e32 v[15:16], v16
	;; [unrolled: 1-line block ×3, first 2 shown]
	v_fma_f64 v[13:14], -v[13:14], v[61:62], v[26:27]
	v_fma_f64 v[26:27], v[55:56], v[61:62], v[36:37]
	v_fma_f64 v[36:37], -v[89:90], v[61:62], v[46:47]
	v_fma_f64 v[46:47], v[87:88], v[61:62], v[48:49]
	;; [unrolled: 2-line block ×4, first 2 shown]
	v_cvt_f64_f32_e32 v[55:56], v9
	v_cvt_f64_f32_e32 v[9:10], v10
	s_waitcnt vmcnt(4)
	v_cvt_f64_f32_e32 v[57:58], v67
	s_waitcnt vmcnt(3)
	v_cvt_f64_f32_e32 v[51:52], v71
	v_cvt_f64_f32_e32 v[53:54], v72
	v_fma_f64 v[13:14], v[59:60], v[63:64], v[13:14]
	v_fma_f64 v[26:27], v[15:16], v[63:64], v[26:27]
	v_fma_f64 v[36:37], v[83:84], v[63:64], v[36:37]
	v_fma_f64 v[46:47], v[85:86], v[63:64], v[46:47]
	v_fma_f64 v[42:43], v[91:92], v[63:64], v[42:43]
	v_fma_f64 v[48:49], v[44:45], v[63:64], v[48:49]
	v_fma_f64 v[38:39], v[97:98], v[63:64], v[38:39]
	v_fma_f64 v[34:35], v[40:41], v[63:64], v[34:35]
	v_cvt_f64_f32_e32 v[61:62], v68
	s_waitcnt vmcnt(2)
	v_cvt_f64_f32_e32 v[63:64], v75
	v_cvt_f64_f32_e32 v[67:68], v76
	v_fma_f64 v[13:14], -v[15:16], v[65:66], v[13:14]
	v_fma_f64 v[15:16], v[59:60], v[65:66], v[26:27]
	v_fma_f64 v[26:27], -v[85:86], v[65:66], v[36:37]
	v_fma_f64 v[36:37], v[83:84], v[65:66], v[46:47]
	;; [unrolled: 2-line block ×4, first 2 shown]
	v_cvt_f64_f32_e32 v[46:47], v74
	v_cvt_f64_f32_e32 v[59:60], v11
	;; [unrolled: 1-line block ×6, first 2 shown]
	s_waitcnt vmcnt(1)
	v_fma_f64 v[13:14], v[51:52], v[79:80], v[13:14]
	v_fma_f64 v[15:16], v[53:54], v[79:80], v[15:16]
	;; [unrolled: 1-line block ×8, first 2 shown]
	v_cvt_f64_f32_e32 v[44:45], v73
	v_cvt_f64_f32_e32 v[73:74], v78
	v_fma_f64 v[13:14], -v[53:54], v[81:82], v[13:14]
	v_fma_f64 v[15:16], v[51:52], v[81:82], v[15:16]
	v_fma_f64 v[9:10], -v[9:10], v[81:82], v[26:27]
	v_fma_f64 v[26:27], v[55:56], v[81:82], v[36:37]
	;; [unrolled: 2-line block ×4, first 2 shown]
	s_waitcnt vmcnt(0)
	v_fma_f64 v[13:14], v[44:45], v[22:23], v[13:14]
	v_fma_f64 v[15:16], v[46:47], v[22:23], v[15:16]
	;; [unrolled: 1-line block ×8, first 2 shown]
	v_fma_f64 v[48:49], -v[46:47], v[24:25], v[13:14]
	v_fma_f64 v[36:37], v[44:45], v[24:25], v[15:16]
	v_fma_f64 v[46:47], -v[11:12], v[24:25], v[9:10]
	v_fma_f64 v[42:43], v[59:60], v[24:25], v[26:27]
	;; [unrolled: 2-line block ×4, first 2 shown]
	s_andn2_b32 exec_lo, exec_lo, s9
	s_cbranch_execnz .LBB169_19
; %bb.20:
	s_or_b32 exec_lo, exec_lo, s9
.LBB169_21:
	s_or_b32 exec_lo, exec_lo, s8
.LBB169_22:
	s_or_b32 exec_lo, exec_lo, s3
	s_cbranch_execz .LBB169_24
	s_branch .LBB169_35
.LBB169_23:
                                        ; implicit-def: $vgpr36_vgpr37
                                        ; implicit-def: $vgpr48_vgpr49
                                        ; implicit-def: $vgpr42_vgpr43
                                        ; implicit-def: $vgpr46_vgpr47
                                        ; implicit-def: $vgpr40_vgpr41
                                        ; implicit-def: $vgpr44_vgpr45
                                        ; implicit-def: $vgpr38_vgpr39
                                        ; implicit-def: $vgpr34_vgpr35
.LBB169_24:
	v_mov_b32_e32 v36, 0
	v_mov_b32_e32 v48, 0
	;; [unrolled: 1-line block ×16, first 2 shown]
	s_and_saveexec_b32 s1, s0
	s_cbranch_execz .LBB169_34
; %bb.25:
	v_add_nc_u32_e32 v9, v21, v0
	v_not_b32_e32 v10, v21
	v_mov_b32_e32 v34, 0
	v_mov_b32_e32 v38, 0
	;; [unrolled: 1-line block ×3, first 2 shown]
	v_subrev_nc_u32_e32 v9, s2, v9
	v_mov_b32_e32 v40, 0
	v_mov_b32_e32 v46, 0
	v_mov_b32_e32 v42, 0
	v_mov_b32_e32 v48, 0
	v_add_nc_u32_e32 v9, 64, v9
	v_mov_b32_e32 v36, 0
	v_mov_b32_e32 v35, 0
	;; [unrolled: 1-line block ×4, first 2 shown]
	v_max_i32_e32 v9, v9, v50
	v_mov_b32_e32 v41, 0
	v_mov_b32_e32 v47, 0
	v_mov_b32_e32 v43, 0
	v_mov_b32_e32 v49, 0
	v_add3_u32 v9, s2, v9, v10
	v_mov_b32_e32 v37, 0
	s_mov_b32 s0, exec_lo
	v_sub_nc_u32_e32 v9, v9, v0
	v_and_b32_e32 v10, 0xc0, v9
	v_cmpx_ne_u32_e32 0xc0, v10
	s_cbranch_execz .LBB169_29
; %bb.26:
	v_lshrrev_b32_e32 v10, 6, v9
	v_mov_b32_e32 v36, 0
	v_mov_b32_e32 v48, 0
	;; [unrolled: 1-line block ×4, first 2 shown]
	v_add_nc_u32_e32 v10, 1, v10
	v_mov_b32_e32 v40, 0
	v_mov_b32_e32 v44, 0
	;; [unrolled: 1-line block ×4, first 2 shown]
	v_and_b32_e32 v10, 3, v10
	v_mov_b32_e32 v37, 0
	v_mov_b32_e32 v49, 0
	;; [unrolled: 1-line block ×8, first 2 shown]
	v_sub_nc_u32_e32 v10, 0, v10
	s_mov_b32 s3, 0
.LBB169_27:                             ; =>This Inner Loop Header: Depth=1
	v_ashrrev_i32_e32 v31, 31, v30
	v_add_co_u32 v10, s8, v10, 1
	s_or_b32 s3, s8, s3
	v_lshlrev_b64 v[11:12], 2, v[30:31]
	v_add_nc_u32_e32 v30, 64, v30
	v_add_co_u32 v11, vcc_lo, s12, v11
	v_add_co_ci_u32_e64 v12, null, s13, v12, vcc_lo
	global_load_dword v19, v[11:12], off
	s_clause 0x1
	global_load_dwordx4 v[11:14], v[32:33], off offset:16
	global_load_dwordx4 v[15:18], v[32:33], off
	s_waitcnt vmcnt(2)
	v_subrev_nc_u32_e32 v19, s2, v19
	s_waitcnt vmcnt(1)
	v_cvt_f64_f32_e32 v[85:86], v11
	s_waitcnt vmcnt(0)
	v_cvt_f64_f32_e32 v[83:84], v17
	v_cvt_f64_f32_e32 v[17:18], v18
	;; [unrolled: 1-line block ×3, first 2 shown]
	v_lshlrev_b32_e32 v19, 2, v19
	v_cvt_f64_f32_e32 v[87:88], v13
	v_cvt_f64_f32_e32 v[13:14], v14
	v_ashrrev_i32_e32 v20, 31, v19
	v_lshlrev_b64 v[19:20], 4, v[19:20]
	v_add_co_u32 v27, vcc_lo, s6, v19
	v_add_co_ci_u32_e64 v28, null, s7, v20, vcc_lo
	s_clause 0x1
	global_load_dwordx4 v[19:22], v[27:28], off
	global_load_dwordx4 v[23:26], v[27:28], off offset:16
	s_clause 0x3
	global_load_dwordx4 v[51:54], v[32:33], off offset:32
	global_load_dwordx4 v[55:58], v[32:33], off offset:48
	;; [unrolled: 1-line block ×4, first 2 shown]
	s_clause 0x1
	global_load_dwordx4 v[67:70], v[27:28], off offset:32
	global_load_dwordx4 v[71:74], v[27:28], off offset:48
	s_clause 0x1
	global_load_dwordx4 v[75:78], v[32:33], off offset:96
	global_load_dwordx4 v[79:82], v[32:33], off offset:112
	v_cvt_f64_f32_e32 v[27:28], v15
	v_cvt_f64_f32_e32 v[15:16], v16
	v_add_co_u32 v32, vcc_lo, 0x2000, v32
	v_add_co_ci_u32_e64 v33, null, 0, v33, vcc_lo
	s_waitcnt vmcnt(9)
	v_fma_f64 v[48:49], v[27:28], v[19:20], v[48:49]
	v_fma_f64 v[36:37], v[15:16], v[19:20], v[36:37]
	;; [unrolled: 1-line block ×8, first 2 shown]
	s_waitcnt vmcnt(7)
	v_cvt_f64_f32_e32 v[38:39], v51
	v_cvt_f64_f32_e32 v[51:52], v52
	;; [unrolled: 1-line block ×4, first 2 shown]
	s_waitcnt vmcnt(6)
	v_cvt_f64_f32_e32 v[91:92], v55
	v_cvt_f64_f32_e32 v[55:56], v56
	;; [unrolled: 1-line block ×4, first 2 shown]
	v_fma_f64 v[15:16], -v[15:16], v[21:22], v[48:49]
	v_fma_f64 v[27:28], v[27:28], v[21:22], v[36:37]
	v_fma_f64 v[17:18], -v[17:18], v[21:22], v[46:47]
	v_fma_f64 v[36:37], v[83:84], v[21:22], v[42:43]
	;; [unrolled: 2-line block ×4, first 2 shown]
	s_waitcnt vmcnt(5)
	v_cvt_f64_f32_e32 v[42:43], v62
	s_waitcnt vmcnt(4)
	v_cvt_f64_f32_e32 v[44:45], v63
	v_cvt_f64_f32_e32 v[46:47], v64
	;; [unrolled: 1-line block ×3, first 2 shown]
	s_waitcnt vmcnt(0)
	v_cvt_f64_f32_e32 v[63:64], v82
	v_fma_f64 v[15:16], v[38:39], v[23:24], v[15:16]
	v_fma_f64 v[21:22], v[51:52], v[23:24], v[27:28]
	;; [unrolled: 1-line block ×8, first 2 shown]
	v_cvt_f64_f32_e32 v[23:24], v59
	v_cvt_f64_f32_e32 v[36:37], v60
	;; [unrolled: 1-line block ×5, first 2 shown]
	v_fma_f64 v[15:16], -v[51:52], v[25:26], v[15:16]
	v_fma_f64 v[21:22], v[38:39], v[25:26], v[21:22]
	v_fma_f64 v[17:18], -v[53:54], v[25:26], v[17:18]
	v_fma_f64 v[27:28], v[89:90], v[25:26], v[27:28]
	v_fma_f64 v[11:12], -v[55:56], v[25:26], v[11:12]
	v_fma_f64 v[34:35], v[91:92], v[25:26], v[34:35]
	v_fma_f64 v[13:14], -v[57:58], v[25:26], v[13:14]
	v_fma_f64 v[19:20], v[93:94], v[25:26], v[19:20]
	v_cvt_f64_f32_e32 v[38:39], v76
	v_cvt_f64_f32_e32 v[51:52], v77
	;; [unrolled: 1-line block ×5, first 2 shown]
	v_fma_f64 v[15:16], v[23:24], v[67:68], v[15:16]
	v_fma_f64 v[21:22], v[36:37], v[67:68], v[21:22]
	;; [unrolled: 1-line block ×8, first 2 shown]
	v_cvt_f64_f32_e32 v[34:35], v75
	v_fma_f64 v[15:16], -v[36:37], v[69:70], v[15:16]
	v_fma_f64 v[21:22], v[23:24], v[69:70], v[21:22]
	v_fma_f64 v[17:18], -v[42:43], v[69:70], v[17:18]
	v_fma_f64 v[23:24], v[40:41], v[69:70], v[25:26]
	;; [unrolled: 2-line block ×4, first 2 shown]
	v_fma_f64 v[15:16], v[34:35], v[71:72], v[15:16]
	v_fma_f64 v[21:22], v[38:39], v[71:72], v[21:22]
	;; [unrolled: 1-line block ×8, first 2 shown]
	v_fma_f64 v[48:49], -v[38:39], v[73:74], v[15:16]
	v_fma_f64 v[36:37], v[34:35], v[73:74], v[21:22]
	v_fma_f64 v[46:47], -v[53:54], v[73:74], v[17:18]
	v_fma_f64 v[42:43], v[51:52], v[73:74], v[23:24]
	;; [unrolled: 2-line block ×4, first 2 shown]
	s_andn2_b32 exec_lo, exec_lo, s3
	s_cbranch_execnz .LBB169_27
; %bb.28:
	s_or_b32 exec_lo, exec_lo, s3
.LBB169_29:
	s_or_b32 exec_lo, exec_lo, s0
	s_mov_b32 s3, exec_lo
	v_cmpx_lt_u32_e32 0xbf, v9
	s_cbranch_execz .LBB169_33
; %bb.30:
	s_mov_b32 s8, 0
.LBB169_31:                             ; =>This Inner Loop Header: Depth=1
	v_ashrrev_i32_e32 v31, 31, v30
	v_lshlrev_b64 v[9:10], 2, v[30:31]
	v_add_nc_u32_e32 v30, 0x100, v30
	v_add_co_u32 v51, vcc_lo, s12, v9
	v_add_co_ci_u32_e64 v52, null, s13, v10, vcc_lo
	s_clause 0x1
	global_load_dword v53, v[51:52], off
	global_load_dword v89, v[51:52], off offset:256
	s_clause 0x4
	global_load_dwordx4 v[25:28], v[32:33], off
	global_load_dwordx4 v[21:24], v[32:33], off offset:16
	global_load_dwordx4 v[17:20], v[32:33], off offset:32
	;; [unrolled: 1-line block ×4, first 2 shown]
	s_clause 0x1
	global_load_dword v169, v[51:52], off offset:512
	global_load_dword v31, v[51:52], off offset:768
	s_waitcnt vmcnt(8)
	v_subrev_nc_u32_e32 v51, s2, v53
	s_waitcnt vmcnt(7)
	v_subrev_nc_u32_e32 v89, s2, v89
	s_waitcnt vmcnt(6)
	v_cvt_f64_f32_e32 v[137:138], v25
	v_cvt_f64_f32_e32 v[25:26], v26
	;; [unrolled: 1-line block ×3, first 2 shown]
	v_lshlrev_b32_e32 v51, 2, v51
	v_lshlrev_b32_e32 v89, 2, v89
	s_waitcnt vmcnt(4)
	v_cvt_f64_f32_e32 v[145:146], v17
	v_cvt_f64_f32_e32 v[147:148], v18
	s_waitcnt vmcnt(2)
	v_cvt_f64_f32_e32 v[161:162], v9
	v_ashrrev_i32_e32 v52, 31, v51
	v_ashrrev_i32_e32 v90, 31, v89
	v_cvt_f64_f32_e32 v[163:164], v10
	v_cvt_f64_f32_e32 v[165:166], v11
	;; [unrolled: 1-line block ×3, first 2 shown]
	v_lshlrev_b64 v[51:52], 4, v[51:52]
	v_lshlrev_b64 v[90:91], 4, v[89:90]
	v_cvt_f64_f32_e32 v[27:28], v28
	v_cvt_f64_f32_e32 v[141:142], v21
	;; [unrolled: 1-line block ×4, first 2 shown]
	v_add_co_u32 v87, vcc_lo, s6, v51
	v_add_co_ci_u32_e64 v88, null, s7, v52, vcc_lo
	v_add_co_u32 v115, vcc_lo, 0x2000, v32
	v_add_co_ci_u32_e64 v116, null, 0, v33, vcc_lo
	s_clause 0x1
	global_load_dwordx4 v[51:54], v[87:88], off
	global_load_dwordx4 v[55:58], v[87:88], off offset:16
	s_clause 0x2
	global_load_dwordx4 v[59:62], v[32:33], off offset:80
	global_load_dwordx4 v[63:66], v[32:33], off offset:96
	;; [unrolled: 1-line block ×4, first 2 shown]
	s_clause 0x2
	global_load_dwordx4 v[75:78], v[115:116], off
	global_load_dwordx4 v[79:82], v[115:116], off offset:16
	global_load_dwordx4 v[83:86], v[115:116], off offset:32
	v_add_co_u32 v131, vcc_lo, s6, v90
	global_load_dwordx4 v[87:90], v[87:88], off offset:48
	v_add_co_ci_u32_e64 v132, null, s7, v91, vcc_lo
	global_load_dwordx4 v[91:94], v[131:132], off
	global_load_dwordx4 v[95:98], v[115:116], off offset:48
	v_add_co_u32 v133, vcc_lo, 0x4000, v32
	v_add_co_ci_u32_e64 v134, null, 0, v33, vcc_lo
	global_load_dwordx4 v[99:102], v[131:132], off offset:16
	s_clause 0x6
	global_load_dwordx4 v[103:106], v[115:116], off offset:64
	global_load_dwordx4 v[107:110], v[115:116], off offset:80
	;; [unrolled: 1-line block ×4, first 2 shown]
	global_load_dwordx4 v[119:122], v[133:134], off
	global_load_dwordx4 v[123:126], v[133:134], off offset:16
	global_load_dwordx4 v[127:130], v[133:134], off offset:32
	;; [unrolled: 1-line block ×3, first 2 shown]
	v_cvt_f64_f32_e32 v[23:24], v24
	v_cvt_f64_f32_e32 v[149:150], v19
	;; [unrolled: 1-line block ×7, first 2 shown]
	v_add_co_u32 v135, vcc_lo, 0x6000, v32
	v_add_co_ci_u32_e64 v136, null, 0, v33, vcc_lo
	s_waitcnt vmcnt(21)
	v_subrev_nc_u32_e32 v31, s2, v31
	v_add_co_u32 v32, s0, 0x8000, v32
	v_add_co_ci_u32_e64 v33, null, 0, v33, s0
	s_waitcnt vmcnt(20)
	v_fma_f64 v[17:18], v[25:26], v[51:52], v[36:37]
	v_fma_f64 v[42:43], v[27:28], v[51:52], v[42:43]
	;; [unrolled: 1-line block ×9, first 2 shown]
	v_subrev_nc_u32_e32 v46, s2, v169
	v_fma_f64 v[25:26], -v[25:26], v[53:54], v[13:14]
	v_fma_f64 v[42:43], v[139:140], v[53:54], v[42:43]
	v_fma_f64 v[44:45], -v[21:22], v[53:54], v[44:45]
	v_fma_f64 v[40:41], v[141:142], v[53:54], v[40:41]
	v_lshlrev_b32_e32 v46, 2, v46
	v_fma_f64 v[34:35], -v[23:24], v[53:54], v[34:35]
	v_fma_f64 v[38:39], v[143:144], v[53:54], v[38:39]
	global_load_dwordx4 v[13:16], v[133:134], off offset:48
	s_waitcnt vmcnt(19)
	v_cvt_f64_f32_e32 v[137:138], v59
	v_ashrrev_i32_e32 v47, 31, v46
	v_cvt_f64_f32_e32 v[59:60], v60
	s_waitcnt vmcnt(18)
	v_cvt_f64_f32_e32 v[139:140], v65
	v_cvt_f64_f32_e32 v[65:66], v66
	v_lshlrev_b64 v[46:47], 4, v[46:47]
	v_fma_f64 v[36:37], v[147:148], v[55:56], v[36:37]
	v_fma_f64 v[27:28], -v[27:28], v[53:54], v[17:18]
	global_load_dwordx4 v[17:20], v[131:132], off offset:48
	v_add_co_u32 v131, vcc_lo, s6, v46
	v_add_co_ci_u32_e64 v132, null, s7, v47, vcc_lo
	v_fma_f64 v[46:47], v[145:146], v[55:56], v[25:26]
	v_fma_f64 v[42:43], v[151:152], v[55:56], v[42:43]
	;; [unrolled: 1-line block ×3, first 2 shown]
	global_load_dwordx4 v[21:24], v[131:132], off
	v_fma_f64 v[40:41], v[155:156], v[55:56], v[40:41]
	v_fma_f64 v[51:52], v[157:158], v[55:56], v[34:35]
	;; [unrolled: 1-line block ×3, first 2 shown]
	v_cvt_f64_f32_e32 v[53:54], v61
	v_fma_f64 v[141:142], v[145:146], v[57:58], v[36:37]
	v_fma_f64 v[48:49], v[149:150], v[55:56], v[27:28]
	v_cvt_f64_f32_e32 v[55:56], v62
	s_clause 0x1
	global_load_dwordx4 v[25:28], v[133:134], off offset:64
	global_load_dwordx4 v[34:37], v[133:134], off offset:80
	v_cvt_f64_f32_e32 v[61:62], v63
	v_cvt_f64_f32_e32 v[63:64], v64
	v_fma_f64 v[46:47], -v[147:148], v[57:58], v[46:47]
	v_fma_f64 v[42:43], v[149:150], v[57:58], v[42:43]
	v_fma_f64 v[44:45], -v[155:156], v[57:58], v[44:45]
	s_waitcnt vmcnt(21)
	v_cvt_f64_f32_e32 v[145:146], v67
	v_fma_f64 v[143:144], v[153:154], v[57:58], v[40:41]
	v_fma_f64 v[51:52], -v[159:160], v[57:58], v[51:52]
	v_cvt_f64_f32_e32 v[67:68], v68
	s_waitcnt vmcnt(19)
	v_cvt_f64_f32_e32 v[153:154], v75
	v_cvt_f64_f32_e32 v[75:76], v76
	;; [unrolled: 1-line block ×4, first 2 shown]
	s_waitcnt vmcnt(17)
	v_cvt_f64_f32_e32 v[159:160], v83
	v_cvt_f64_f32_e32 v[83:84], v84
	v_fma_f64 v[141:142], v[163:164], v[71:72], v[141:142]
	v_fma_f64 v[48:49], -v[151:152], v[57:58], v[48:49]
	v_fma_f64 v[57:58], v[157:158], v[57:58], v[38:39]
	global_load_dwordx4 v[38:41], v[131:132], off offset:16
	v_fma_f64 v[46:47], v[161:162], v[71:72], v[46:47]
	v_fma_f64 v[149:150], v[167:168], v[71:72], v[42:43]
	;; [unrolled: 1-line block ×3, first 2 shown]
	global_load_dwordx4 v[42:45], v[133:134], off offset:96
	v_fma_f64 v[143:144], v[59:60], v[71:72], v[143:144]
	v_fma_f64 v[51:52], v[53:54], v[71:72], v[51:52]
	;; [unrolled: 1-line block ×4, first 2 shown]
	v_cvt_f64_f32_e32 v[71:72], v69
	v_cvt_f64_f32_e32 v[69:70], v70
	v_fma_f64 v[157:158], -v[163:164], v[73:74], v[46:47]
	global_load_dwordx4 v[46:49], v[133:134], off offset:112
	v_fma_f64 v[133:134], v[161:162], v[73:74], v[141:142]
	v_fma_f64 v[149:150], v[165:166], v[73:74], v[149:150]
	v_fma_f64 v[59:60], -v[59:60], v[73:74], v[151:152]
	v_fma_f64 v[137:138], v[137:138], v[73:74], v[143:144]
	v_fma_f64 v[55:56], -v[55:56], v[73:74], v[51:52]
	v_cvt_f64_f32_e32 v[141:142], v79
	v_cvt_f64_f32_e32 v[79:80], v80
	;; [unrolled: 1-line block ×4, first 2 shown]
	s_waitcnt vmcnt(17)
	v_cvt_f64_f32_e32 v[163:164], v95
	v_cvt_f64_f32_e32 v[95:96], v96
	;; [unrolled: 1-line block ×4, first 2 shown]
	v_fma_f64 v[147:148], -v[167:168], v[73:74], v[147:148]
	v_fma_f64 v[57:58], v[53:54], v[73:74], v[57:58]
	global_load_dwordx4 v[51:54], v[131:132], off offset:32
	v_cvt_f64_f32_e32 v[73:74], v81
	v_cvt_f64_f32_e32 v[81:82], v82
	v_fma_f64 v[143:144], v[61:62], v[87:88], v[157:158]
	v_fma_f64 v[133:134], v[63:64], v[87:88], v[133:134]
	;; [unrolled: 1-line block ×8, first 2 shown]
	global_load_dwordx4 v[55:58], v[135:136], off
	v_fma_f64 v[143:144], -v[63:64], v[89:90], v[143:144]
	v_fma_f64 v[133:134], v[61:62], v[89:90], v[133:134]
	v_fma_f64 v[139:140], v[139:140], v[89:90], v[149:150]
	v_fma_f64 v[67:68], -v[67:68], v[89:90], v[151:152]
	v_fma_f64 v[137:138], v[145:146], v[89:90], v[137:138]
	v_fma_f64 v[69:70], -v[69:70], v[89:90], v[157:158]
	global_load_dwordx4 v[59:62], v[135:136], off offset:16
	s_waitcnt vmcnt(16)
	v_cvt_f64_f32_e32 v[149:150], v113
	v_cvt_f64_f32_e32 v[113:114], v114
	s_waitcnt vmcnt(15)
	v_cvt_f64_f32_e32 v[151:152], v115
	v_cvt_f64_f32_e32 v[115:116], v116
	v_fma_f64 v[147:148], -v[65:66], v[89:90], v[147:148]
	v_fma_f64 v[71:72], v[71:72], v[89:90], v[87:88]
	global_load_dwordx4 v[63:66], v[131:132], off offset:48
	v_lshlrev_b32_e32 v87, 2, v31
	v_fma_f64 v[89:90], v[153:154], v[91:92], v[143:144]
	v_cvt_f64_f32_e32 v[143:144], v109
	v_fma_f64 v[131:132], v[75:76], v[91:92], v[133:134]
	v_fma_f64 v[139:140], v[77:78], v[91:92], v[139:140]
	;; [unrolled: 1-line block ×5, first 2 shown]
	v_ashrrev_i32_e32 v88, 31, v87
	v_cvt_f64_f32_e32 v[109:110], v110
	v_lshlrev_b64 v[87:88], 4, v[87:88]
	v_fma_f64 v[133:134], v[155:156], v[91:92], v[147:148]
	v_fma_f64 v[71:72], v[81:82], v[91:92], v[71:72]
	v_add_co_u32 v91, vcc_lo, s6, v87
	v_add_co_ci_u32_e64 v92, null, s7, v88, vcc_lo
	v_fma_f64 v[75:76], -v[75:76], v[93:94], v[89:90]
	v_cvt_f64_f32_e32 v[147:148], v111
	v_fma_f64 v[89:90], v[153:154], v[93:94], v[131:132]
	v_fma_f64 v[131:132], v[155:156], v[93:94], v[139:140]
	v_fma_f64 v[79:80], -v[79:80], v[93:94], v[67:68]
	v_cvt_f64_f32_e32 v[139:140], v105
	v_fma_f64 v[81:82], -v[81:82], v[93:94], v[69:70]
	v_cvt_f64_f32_e32 v[105:106], v106
	v_cvt_f64_f32_e32 v[111:112], v112
	;; [unrolled: 1-line block ×4, first 2 shown]
	v_cmp_ge_i32_e32 vcc_lo, v30, v50
	s_or_b32 s8, vcc_lo, s8
	v_fma_f64 v[77:78], -v[77:78], v[93:94], v[133:134]
	v_fma_f64 v[133:134], v[141:142], v[93:94], v[137:138]
	v_fma_f64 v[93:94], v[73:74], v[93:94], v[71:72]
	global_load_dwordx4 v[67:70], v[91:92], off
	global_load_dwordx4 v[71:74], v[135:136], off offset:32
	v_cvt_f64_f32_e32 v[141:142], v107
	v_fma_f64 v[87:88], v[159:160], v[99:100], v[75:76]
	v_cvt_f64_f32_e32 v[107:108], v108
	v_fma_f64 v[89:90], v[83:84], v[99:100], v[89:90]
	v_fma_f64 v[131:132], v[85:86], v[99:100], v[131:132]
	;; [unrolled: 1-line block ×7, first 2 shown]
	global_load_dwordx4 v[75:78], v[135:136], off offset:48
	v_cvt_f64_f32_e32 v[99:100], v103
	v_cvt_f64_f32_e32 v[103:104], v104
	v_fma_f64 v[87:88], -v[83:84], v[101:102], v[87:88]
	v_fma_f64 v[89:90], v[159:160], v[101:102], v[89:90]
	v_fma_f64 v[131:132], v[161:162], v[101:102], v[131:132]
	v_fma_f64 v[95:96], -v[95:96], v[101:102], v[79:80]
	v_fma_f64 v[97:98], -v[97:98], v[101:102], v[81:82]
	;; [unrolled: 1-line block ×3, first 2 shown]
	v_fma_f64 v[133:134], v[163:164], v[101:102], v[133:134]
	v_fma_f64 v[93:94], v[165:166], v[101:102], v[93:94]
	global_load_dwordx4 v[79:82], v[91:92], off offset:16
	global_load_dwordx4 v[83:86], v[135:136], off offset:64
	s_waitcnt vmcnt(17)
	v_fma_f64 v[101:102], v[99:100], v[9:10], v[87:88]
	v_fma_f64 v[145:146], v[103:104], v[9:10], v[89:90]
	;; [unrolled: 1-line block ×4, first 2 shown]
	global_load_dwordx4 v[87:90], v[135:136], off offset:80
	v_fma_f64 v[97:98], v[143:144], v[9:10], v[97:98]
	v_fma_f64 v[137:138], v[139:140], v[9:10], v[137:138]
	;; [unrolled: 1-line block ×4, first 2 shown]
	v_fma_f64 v[101:102], -v[103:104], v[11:12], v[101:102]
	v_fma_f64 v[99:100], v[99:100], v[11:12], v[145:146]
	v_fma_f64 v[107:108], -v[107:108], v[11:12], v[95:96]
	v_fma_f64 v[109:110], -v[109:110], v[11:12], v[97:98]
	;; [unrolled: 1-line block ×3, first 2 shown]
	v_fma_f64 v[105:106], v[139:140], v[11:12], v[131:132]
	v_fma_f64 v[131:132], v[141:142], v[11:12], v[133:134]
	;; [unrolled: 1-line block ×3, first 2 shown]
	s_clause 0x1
	global_load_dwordx4 v[9:12], v[91:92], off offset:32
	global_load_dwordx4 v[91:94], v[91:92], off offset:48
	;; [unrolled: 1-line block ×3, first 2 shown]
	v_cvt_f64_f32_e32 v[141:142], v123
	v_cvt_f64_f32_e32 v[123:124], v124
	v_cvt_f64_f32_e32 v[143:144], v125
	v_cvt_f64_f32_e32 v[125:126], v126
	s_waitcnt vmcnt(19)
	v_fma_f64 v[137:138], v[147:148], v[17:18], v[101:102]
	v_fma_f64 v[139:140], v[111:112], v[17:18], v[99:100]
	;; [unrolled: 1-line block ×8, first 2 shown]
	global_load_dwordx4 v[99:102], v[135:136], off offset:112
	v_cvt_f64_f32_e32 v[133:134], v119
	v_cvt_f64_f32_e32 v[119:120], v120
	;; [unrolled: 1-line block ×4, first 2 shown]
	v_fma_f64 v[111:112], -v[111:112], v[19:20], v[137:138]
	v_fma_f64 v[137:138], v[147:148], v[19:20], v[139:140]
	v_fma_f64 v[103:104], -v[113:114], v[19:20], v[103:104]
	v_fma_f64 v[105:106], v[149:150], v[19:20], v[105:106]
	;; [unrolled: 2-line block ×4, first 2 shown]
	v_cvt_f64_f32_e32 v[115:116], v128
	v_cvt_f64_f32_e32 v[117:118], v129
	v_cvt_f64_f32_e32 v[131:132], v15
	v_cvt_f64_f32_e32 v[15:16], v16
	s_waitcnt vmcnt(19)
	v_fma_f64 v[19:20], v[133:134], v[21:22], v[111:112]
	v_fma_f64 v[111:112], v[119:120], v[21:22], v[137:138]
	v_fma_f64 v[103:104], v[135:136], v[21:22], v[103:104]
	v_fma_f64 v[105:106], v[121:122], v[21:22], v[105:106]
	v_fma_f64 v[107:108], v[141:142], v[21:22], v[107:108]
	v_fma_f64 v[113:114], v[123:124], v[21:22], v[113:114]
	v_fma_f64 v[109:110], v[143:144], v[21:22], v[109:110]
	v_fma_f64 v[17:18], v[125:126], v[21:22], v[17:18]
	v_cvt_f64_f32_e32 v[21:22], v127
	v_cvt_f64_f32_e32 v[127:128], v130
	v_cvt_f64_f32_e32 v[129:130], v13
	v_cvt_f64_f32_e32 v[13:14], v14
	v_fma_f64 v[19:20], -v[119:120], v[23:24], v[19:20]
	v_fma_f64 v[111:112], v[133:134], v[23:24], v[111:112]
	v_fma_f64 v[103:104], -v[121:122], v[23:24], v[103:104]
	v_fma_f64 v[105:106], v[135:136], v[23:24], v[105:106]
	v_fma_f64 v[107:108], -v[123:124], v[23:24], v[107:108]
	v_fma_f64 v[113:114], v[141:142], v[23:24], v[113:114]
	v_fma_f64 v[109:110], -v[125:126], v[23:24], v[109:110]
	v_fma_f64 v[17:18], v[143:144], v[23:24], v[17:18]
	s_waitcnt vmcnt(17)
	v_cvt_f64_f32_e32 v[119:120], v34
	v_cvt_f64_f32_e32 v[34:35], v35
	v_cvt_f64_f32_e32 v[121:122], v36
	v_cvt_f64_f32_e32 v[36:37], v37
	s_waitcnt vmcnt(16)
	v_fma_f64 v[19:20], v[21:22], v[38:39], v[19:20]
	v_fma_f64 v[23:24], v[115:116], v[38:39], v[111:112]
	v_fma_f64 v[103:104], v[117:118], v[38:39], v[103:104]
	v_fma_f64 v[105:106], v[127:128], v[38:39], v[105:106]
	v_fma_f64 v[107:108], v[129:130], v[38:39], v[107:108]
	v_fma_f64 v[111:112], v[13:14], v[38:39], v[113:114]
	v_fma_f64 v[109:110], v[131:132], v[38:39], v[109:110]
	v_fma_f64 v[17:18], v[15:16], v[38:39], v[17:18]
	v_cvt_f64_f32_e32 v[38:39], v25
	v_cvt_f64_f32_e32 v[25:26], v26
	v_cvt_f64_f32_e32 v[113:114], v27
	v_cvt_f64_f32_e32 v[27:28], v28
	v_fma_f64 v[19:20], -v[115:116], v[40:41], v[19:20]
	v_fma_f64 v[21:22], v[21:22], v[40:41], v[23:24]
	v_fma_f64 v[23:24], -v[127:128], v[40:41], v[103:104]
	v_fma_f64 v[103:104], v[117:118], v[40:41], v[105:106]
	v_fma_f64 v[13:14], -v[13:14], v[40:41], v[107:108]
	v_fma_f64 v[105:106], v[129:130], v[40:41], v[111:112]
	v_fma_f64 v[15:16], -v[15:16], v[40:41], v[109:110]
	v_fma_f64 v[17:18], v[131:132], v[40:41], v[17:18]
	s_waitcnt vmcnt(14)
	;; [unrolled: 26-line block ×3, first 2 shown]
	v_cvt_f64_f32_e32 v[34:35], v55
	v_cvt_f64_f32_e32 v[36:37], v56
	;; [unrolled: 1-line block ×4, first 2 shown]
	s_waitcnt vmcnt(11)
	v_cvt_f64_f32_e32 v[53:54], v59
	v_cvt_f64_f32_e32 v[55:56], v60
	;; [unrolled: 1-line block ×4, first 2 shown]
	s_waitcnt vmcnt(10)
	v_fma_f64 v[19:20], v[51:52], v[63:64], v[19:20]
	v_fma_f64 v[21:22], v[42:43], v[63:64], v[21:22]
	;; [unrolled: 1-line block ×8, first 2 shown]
	v_fma_f64 v[19:20], -v[42:43], v[65:66], v[19:20]
	v_fma_f64 v[21:22], v[51:52], v[65:66], v[21:22]
	v_fma_f64 v[23:24], -v[44:45], v[65:66], v[23:24]
	v_fma_f64 v[25:26], v[105:106], v[65:66], v[25:26]
	v_fma_f64 v[13:14], -v[46:47], v[65:66], v[13:14]
	v_fma_f64 v[27:28], v[107:108], v[65:66], v[27:28]
	v_fma_f64 v[15:16], -v[48:49], v[65:66], v[15:16]
	v_fma_f64 v[17:18], v[109:110], v[65:66], v[17:18]
	s_waitcnt vmcnt(8)
	v_cvt_f64_f32_e32 v[42:43], v71
	v_cvt_f64_f32_e32 v[44:45], v72
	;; [unrolled: 1-line block ×4, first 2 shown]
	s_waitcnt vmcnt(7)
	v_cvt_f64_f32_e32 v[51:52], v75
	v_cvt_f64_f32_e32 v[61:62], v76
	;; [unrolled: 1-line block ×4, first 2 shown]
	v_fma_f64 v[19:20], v[34:35], v[67:68], v[19:20]
	v_fma_f64 v[21:22], v[36:37], v[67:68], v[21:22]
	;; [unrolled: 1-line block ×8, first 2 shown]
	v_fma_f64 v[19:20], -v[36:37], v[69:70], v[19:20]
	v_fma_f64 v[21:22], v[34:35], v[69:70], v[21:22]
	v_fma_f64 v[23:24], -v[40:41], v[69:70], v[23:24]
	v_fma_f64 v[25:26], v[38:39], v[69:70], v[25:26]
	;; [unrolled: 2-line block ×4, first 2 shown]
	s_waitcnt vmcnt(5)
	v_cvt_f64_f32_e32 v[34:35], v83
	v_cvt_f64_f32_e32 v[36:37], v84
	;; [unrolled: 1-line block ×4, first 2 shown]
	s_waitcnt vmcnt(4)
	v_cvt_f64_f32_e32 v[53:54], v87
	v_cvt_f64_f32_e32 v[55:56], v88
	;; [unrolled: 1-line block ×4, first 2 shown]
	v_fma_f64 v[19:20], v[42:43], v[79:80], v[19:20]
	v_fma_f64 v[21:22], v[44:45], v[79:80], v[21:22]
	;; [unrolled: 1-line block ×8, first 2 shown]
	v_fma_f64 v[19:20], -v[44:45], v[81:82], v[19:20]
	v_fma_f64 v[21:22], v[42:43], v[81:82], v[21:22]
	v_fma_f64 v[23:24], -v[48:49], v[81:82], v[23:24]
	v_fma_f64 v[25:26], v[46:47], v[81:82], v[25:26]
	;; [unrolled: 2-line block ×4, first 2 shown]
	s_waitcnt vmcnt(1)
	v_cvt_f64_f32_e32 v[42:43], v96
	v_cvt_f64_f32_e32 v[44:45], v97
	;; [unrolled: 1-line block ×3, first 2 shown]
	v_fma_f64 v[19:20], v[34:35], v[9:10], v[19:20]
	v_fma_f64 v[21:22], v[36:37], v[9:10], v[21:22]
	;; [unrolled: 1-line block ×8, first 2 shown]
	v_cvt_f64_f32_e32 v[17:18], v95
	s_waitcnt vmcnt(0)
	v_cvt_f64_f32_e32 v[51:52], v99
	v_cvt_f64_f32_e32 v[61:62], v100
	;; [unrolled: 1-line block ×4, first 2 shown]
	v_fma_f64 v[19:20], -v[36:37], v[11:12], v[19:20]
	v_fma_f64 v[21:22], v[34:35], v[11:12], v[21:22]
	v_fma_f64 v[23:24], -v[40:41], v[11:12], v[23:24]
	v_fma_f64 v[25:26], v[38:39], v[11:12], v[25:26]
	v_fma_f64 v[13:14], -v[55:56], v[11:12], v[13:14]
	v_fma_f64 v[27:28], v[53:54], v[11:12], v[27:28]
	v_fma_f64 v[15:16], -v[59:60], v[11:12], v[15:16]
	v_fma_f64 v[9:10], v[57:58], v[11:12], v[9:10]
	v_fma_f64 v[11:12], v[17:18], v[91:92], v[19:20]
	v_fma_f64 v[19:20], v[42:43], v[91:92], v[21:22]
	;; [unrolled: 1-line block ×8, first 2 shown]
	v_fma_f64 v[48:49], -v[42:43], v[93:94], v[11:12]
	v_fma_f64 v[36:37], v[17:18], v[93:94], v[19:20]
	v_fma_f64 v[46:47], -v[46:47], v[93:94], v[21:22]
	v_fma_f64 v[42:43], v[44:45], v[93:94], v[23:24]
	;; [unrolled: 2-line block ×4, first 2 shown]
	s_andn2_b32 exec_lo, exec_lo, s8
	s_cbranch_execnz .LBB169_31
; %bb.32:
	s_or_b32 exec_lo, exec_lo, s8
.LBB169_33:
	s_or_b32 exec_lo, exec_lo, s3
.LBB169_34:
	s_or_b32 exec_lo, exec_lo, s1
.LBB169_35:
	v_mbcnt_lo_u32_b32 v50, -1, 0
	v_or_b32_e32 v9, 32, v50
	v_xor_b32_e32 v25, 16, v50
	v_cmp_gt_i32_e32 vcc_lo, 32, v9
	v_cndmask_b32_e32 v9, v50, v9, vcc_lo
	v_cmp_gt_i32_e32 vcc_lo, 32, v25
	v_lshlrev_b32_e32 v24, 2, v9
	v_cndmask_b32_e32 v25, v50, v25, vcc_lo
	ds_bpermute_b32 v9, v24, v48
	ds_bpermute_b32 v10, v24, v49
	ds_bpermute_b32 v11, v24, v36
	ds_bpermute_b32 v12, v24, v37
	ds_bpermute_b32 v13, v24, v46
	ds_bpermute_b32 v14, v24, v47
	ds_bpermute_b32 v15, v24, v42
	ds_bpermute_b32 v16, v24, v43
	ds_bpermute_b32 v17, v24, v44
	ds_bpermute_b32 v18, v24, v45
	ds_bpermute_b32 v19, v24, v40
	ds_bpermute_b32 v20, v24, v41
	ds_bpermute_b32 v21, v24, v34
	ds_bpermute_b32 v22, v24, v35
	ds_bpermute_b32 v23, v24, v38
	ds_bpermute_b32 v24, v24, v39
	s_waitcnt lgkmcnt(14)
	v_add_f64 v[9:10], v[48:49], v[9:10]
	s_waitcnt lgkmcnt(12)
	v_add_f64 v[11:12], v[36:37], v[11:12]
	;; [unrolled: 2-line block ×6, first 2 shown]
	v_lshlrev_b32_e32 v41, 2, v25
	s_waitcnt lgkmcnt(2)
	v_add_f64 v[21:22], v[34:35], v[21:22]
	s_waitcnt lgkmcnt(0)
	v_add_f64 v[23:24], v[38:39], v[23:24]
	ds_bpermute_b32 v25, v41, v9
	ds_bpermute_b32 v26, v41, v10
	ds_bpermute_b32 v27, v41, v11
	ds_bpermute_b32 v28, v41, v12
	ds_bpermute_b32 v30, v41, v13
	ds_bpermute_b32 v31, v41, v14
	ds_bpermute_b32 v32, v41, v15
	ds_bpermute_b32 v33, v41, v16
	ds_bpermute_b32 v34, v41, v17
	ds_bpermute_b32 v35, v41, v18
	ds_bpermute_b32 v36, v41, v19
	ds_bpermute_b32 v37, v41, v20
	ds_bpermute_b32 v38, v41, v21
	ds_bpermute_b32 v39, v41, v22
	ds_bpermute_b32 v40, v41, v23
	ds_bpermute_b32 v41, v41, v24
	s_waitcnt lgkmcnt(14)
	v_add_f64 v[9:10], v[9:10], v[25:26]
	v_xor_b32_e32 v25, 8, v50
	s_waitcnt lgkmcnt(12)
	v_add_f64 v[11:12], v[11:12], v[27:28]
	s_waitcnt lgkmcnt(10)
	v_add_f64 v[13:14], v[13:14], v[30:31]
	v_cmp_gt_i32_e32 vcc_lo, 32, v25
	s_waitcnt lgkmcnt(8)
	v_add_f64 v[15:16], v[15:16], v[32:33]
	s_waitcnt lgkmcnt(6)
	v_add_f64 v[17:18], v[17:18], v[34:35]
	s_waitcnt lgkmcnt(4)
	v_add_f64 v[19:20], v[19:20], v[36:37]
	v_cndmask_b32_e32 v25, v50, v25, vcc_lo
	s_waitcnt lgkmcnt(2)
	v_add_f64 v[21:22], v[21:22], v[38:39]
	s_waitcnt lgkmcnt(0)
	v_add_f64 v[23:24], v[23:24], v[40:41]
	v_lshlrev_b32_e32 v41, 2, v25
	ds_bpermute_b32 v25, v41, v9
	ds_bpermute_b32 v26, v41, v10
	ds_bpermute_b32 v27, v41, v11
	ds_bpermute_b32 v28, v41, v12
	ds_bpermute_b32 v30, v41, v13
	ds_bpermute_b32 v31, v41, v14
	ds_bpermute_b32 v32, v41, v15
	ds_bpermute_b32 v33, v41, v16
	ds_bpermute_b32 v34, v41, v17
	ds_bpermute_b32 v35, v41, v18
	ds_bpermute_b32 v36, v41, v19
	ds_bpermute_b32 v37, v41, v20
	ds_bpermute_b32 v38, v41, v21
	ds_bpermute_b32 v39, v41, v22
	ds_bpermute_b32 v40, v41, v23
	ds_bpermute_b32 v41, v41, v24
	s_waitcnt lgkmcnt(14)
	v_add_f64 v[9:10], v[9:10], v[25:26]
	v_xor_b32_e32 v25, 4, v50
	s_waitcnt lgkmcnt(12)
	v_add_f64 v[11:12], v[11:12], v[27:28]
	s_waitcnt lgkmcnt(10)
	v_add_f64 v[13:14], v[13:14], v[30:31]
	v_cmp_gt_i32_e32 vcc_lo, 32, v25
	s_waitcnt lgkmcnt(8)
	v_add_f64 v[15:16], v[15:16], v[32:33]
	s_waitcnt lgkmcnt(6)
	v_add_f64 v[17:18], v[17:18], v[34:35]
	s_waitcnt lgkmcnt(4)
	v_add_f64 v[19:20], v[19:20], v[36:37]
	v_cndmask_b32_e32 v25, v50, v25, vcc_lo
	s_waitcnt lgkmcnt(2)
	v_add_f64 v[21:22], v[21:22], v[38:39]
	s_waitcnt lgkmcnt(0)
	v_add_f64 v[23:24], v[23:24], v[40:41]
	v_lshlrev_b32_e32 v41, 2, v25
	;; [unrolled: 36-line block ×3, first 2 shown]
	ds_bpermute_b32 v23, v41, v9
	ds_bpermute_b32 v24, v41, v10
	;; [unrolled: 1-line block ×16, first 2 shown]
	s_waitcnt lgkmcnt(14)
	v_add_f64 v[9:10], v[9:10], v[23:24]
	s_waitcnt lgkmcnt(12)
	v_add_f64 v[27:28], v[11:12], v[27:28]
	;; [unrolled: 2-line block ×3, first 2 shown]
	v_xor_b32_e32 v30, 1, v50
	s_waitcnt lgkmcnt(8)
	v_add_f64 v[23:24], v[15:16], v[32:33]
	s_waitcnt lgkmcnt(6)
	v_add_f64 v[13:14], v[17:18], v[34:35]
	v_cmp_gt_i32_e32 vcc_lo, 32, v30
	s_waitcnt lgkmcnt(4)
	v_add_f64 v[17:18], v[19:20], v[36:37]
	s_waitcnt lgkmcnt(2)
	v_add_f64 v[15:16], v[21:22], v[38:39]
	;; [unrolled: 2-line block ×3, first 2 shown]
	v_cndmask_b32_e32 v30, v50, v30, vcc_lo
	v_cmp_eq_u32_e32 vcc_lo, 63, v0
	v_lshlrev_b32_e32 v35, 2, v30
	ds_bpermute_b32 v21, v35, v9
	ds_bpermute_b32 v22, v35, v10
	;; [unrolled: 1-line block ×16, first 2 shown]
	s_and_b32 exec_lo, exec_lo, vcc_lo
	s_cbranch_execz .LBB169_8
; %bb.36:
	s_waitcnt lgkmcnt(12)
	v_add_f64 v[27:28], v[27:28], v[40:41]
	s_waitcnt lgkmcnt(8)
	v_add_f64 v[23:24], v[23:24], v[38:39]
	;; [unrolled: 2-line block ×4, first 2 shown]
	v_add_f64 v[9:10], v[9:10], v[21:22]
	v_add_f64 v[11:12], v[11:12], v[25:26]
	;; [unrolled: 1-line block ×4, first 2 shown]
	v_cmp_eq_f64_e32 vcc_lo, 0, v[1:2]
	v_cmp_eq_f64_e64 s0, 0, v[3:4]
	s_load_dwordx2 s[2:3], s[4:5], 0x60
	v_mul_f64 v[13:14], v[27:28], -v[7:8]
	v_mul_f64 v[15:16], v[5:6], v[27:28]
	v_mul_f64 v[27:28], v[23:24], -v[7:8]
	v_mul_f64 v[23:24], v[5:6], v[23:24]
	;; [unrolled: 2-line block ×4, first 2 shown]
	s_and_b32 s0, vcc_lo, s0
	v_fma_f64 v[17:18], v[5:6], v[9:10], v[13:14]
	v_fma_f64 v[19:20], v[7:8], v[9:10], v[15:16]
	;; [unrolled: 1-line block ×8, first 2 shown]
	v_lshlrev_b32_e32 v21, 2, v29
	s_and_saveexec_b32 s1, s0
	s_xor_b32 s0, exec_lo, s1
	s_cbranch_execz .LBB169_38
; %bb.37:
	v_ashrrev_i32_e32 v22, 31, v21
	v_lshlrev_b64 v[0:1], 4, v[21:22]
                                        ; implicit-def: $vgpr21
	s_waitcnt lgkmcnt(0)
	v_add_co_u32 v0, vcc_lo, s2, v0
	v_add_co_ci_u32_e64 v1, null, s3, v1, vcc_lo
	global_store_dwordx4 v[0:1], v[17:20], off
	global_store_dwordx4 v[0:1], v[13:16], off offset:16
	global_store_dwordx4 v[0:1], v[9:12], off offset:32
	;; [unrolled: 1-line block ×3, first 2 shown]
                                        ; implicit-def: $vgpr3_vgpr4
                                        ; implicit-def: $vgpr17_vgpr18
                                        ; implicit-def: $vgpr13_vgpr14
                                        ; implicit-def: $vgpr9_vgpr10
                                        ; implicit-def: $vgpr5_vgpr6
.LBB169_38:
	s_andn2_saveexec_b32 s0, s0
	s_cbranch_execz .LBB169_8
; %bb.39:
	v_ashrrev_i32_e32 v22, 31, v21
	v_lshlrev_b64 v[21:22], 4, v[21:22]
	s_waitcnt lgkmcnt(0)
	v_add_co_u32 v37, vcc_lo, s2, v21
	v_add_co_ci_u32_e64 v38, null, s3, v22, vcc_lo
	s_clause 0x3
	global_load_dwordx4 v[21:24], v[37:38], off
	global_load_dwordx4 v[25:28], v[37:38], off offset:16
	global_load_dwordx4 v[29:32], v[37:38], off offset:32
	;; [unrolled: 1-line block ×3, first 2 shown]
	s_waitcnt vmcnt(3)
	v_fma_f64 v[17:18], v[1:2], v[21:22], v[17:18]
	v_fma_f64 v[19:20], v[3:4], v[21:22], v[19:20]
	s_waitcnt vmcnt(2)
	v_fma_f64 v[13:14], v[1:2], v[25:26], v[13:14]
	v_fma_f64 v[15:16], v[3:4], v[25:26], v[15:16]
	;; [unrolled: 3-line block ×4, first 2 shown]
	v_fma_f64 v[5:6], -v[3:4], v[23:24], v[17:18]
	v_fma_f64 v[7:8], v[1:2], v[23:24], v[19:20]
	v_fma_f64 v[9:10], -v[3:4], v[27:28], v[13:14]
	v_fma_f64 v[11:12], v[1:2], v[27:28], v[15:16]
	;; [unrolled: 2-line block ×4, first 2 shown]
	global_store_dwordx4 v[37:38], v[5:8], off
	global_store_dwordx4 v[37:38], v[9:12], off offset:16
	global_store_dwordx4 v[37:38], v[13:16], off offset:32
	;; [unrolled: 1-line block ×3, first 2 shown]
	s_endpgm
	.section	.rodata,"a",@progbits
	.p2align	6, 0x0
	.amdhsa_kernel _ZN9rocsparseL18bsrxmvn_4x4_kernelILj128ELj64E21rocsparse_complex_numIdEiiS1_IfES2_S2_EEvT3_20rocsparse_direction_NS_24const_host_device_scalarIT1_EES4_PKS4_PKT2_SD_SA_PKT4_PKT5_S8_PT6_21rocsparse_index_base_b
		.amdhsa_group_segment_fixed_size 0
		.amdhsa_private_segment_fixed_size 0
		.amdhsa_kernarg_size 112
		.amdhsa_user_sgpr_count 6
		.amdhsa_user_sgpr_private_segment_buffer 1
		.amdhsa_user_sgpr_dispatch_ptr 0
		.amdhsa_user_sgpr_queue_ptr 0
		.amdhsa_user_sgpr_kernarg_segment_ptr 1
		.amdhsa_user_sgpr_dispatch_id 0
		.amdhsa_user_sgpr_flat_scratch_init 0
		.amdhsa_user_sgpr_private_segment_size 0
		.amdhsa_wavefront_size32 1
		.amdhsa_uses_dynamic_stack 0
		.amdhsa_system_sgpr_private_segment_wavefront_offset 0
		.amdhsa_system_sgpr_workgroup_id_x 1
		.amdhsa_system_sgpr_workgroup_id_y 0
		.amdhsa_system_sgpr_workgroup_id_z 0
		.amdhsa_system_sgpr_workgroup_info 0
		.amdhsa_system_vgpr_workitem_id 0
		.amdhsa_next_free_vgpr 199
		.amdhsa_next_free_sgpr 16
		.amdhsa_reserve_vcc 1
		.amdhsa_reserve_flat_scratch 0
		.amdhsa_float_round_mode_32 0
		.amdhsa_float_round_mode_16_64 0
		.amdhsa_float_denorm_mode_32 3
		.amdhsa_float_denorm_mode_16_64 3
		.amdhsa_dx10_clamp 1
		.amdhsa_ieee_mode 1
		.amdhsa_fp16_overflow 0
		.amdhsa_workgroup_processor_mode 1
		.amdhsa_memory_ordered 1
		.amdhsa_forward_progress 1
		.amdhsa_shared_vgpr_count 0
		.amdhsa_exception_fp_ieee_invalid_op 0
		.amdhsa_exception_fp_denorm_src 0
		.amdhsa_exception_fp_ieee_div_zero 0
		.amdhsa_exception_fp_ieee_overflow 0
		.amdhsa_exception_fp_ieee_underflow 0
		.amdhsa_exception_fp_ieee_inexact 0
		.amdhsa_exception_int_div_zero 0
	.end_amdhsa_kernel
	.section	.text._ZN9rocsparseL18bsrxmvn_4x4_kernelILj128ELj64E21rocsparse_complex_numIdEiiS1_IfES2_S2_EEvT3_20rocsparse_direction_NS_24const_host_device_scalarIT1_EES4_PKS4_PKT2_SD_SA_PKT4_PKT5_S8_PT6_21rocsparse_index_base_b,"axG",@progbits,_ZN9rocsparseL18bsrxmvn_4x4_kernelILj128ELj64E21rocsparse_complex_numIdEiiS1_IfES2_S2_EEvT3_20rocsparse_direction_NS_24const_host_device_scalarIT1_EES4_PKS4_PKT2_SD_SA_PKT4_PKT5_S8_PT6_21rocsparse_index_base_b,comdat
.Lfunc_end169:
	.size	_ZN9rocsparseL18bsrxmvn_4x4_kernelILj128ELj64E21rocsparse_complex_numIdEiiS1_IfES2_S2_EEvT3_20rocsparse_direction_NS_24const_host_device_scalarIT1_EES4_PKS4_PKT2_SD_SA_PKT4_PKT5_S8_PT6_21rocsparse_index_base_b, .Lfunc_end169-_ZN9rocsparseL18bsrxmvn_4x4_kernelILj128ELj64E21rocsparse_complex_numIdEiiS1_IfES2_S2_EEvT3_20rocsparse_direction_NS_24const_host_device_scalarIT1_EES4_PKS4_PKT2_SD_SA_PKT4_PKT5_S8_PT6_21rocsparse_index_base_b
                                        ; -- End function
	.set _ZN9rocsparseL18bsrxmvn_4x4_kernelILj128ELj64E21rocsparse_complex_numIdEiiS1_IfES2_S2_EEvT3_20rocsparse_direction_NS_24const_host_device_scalarIT1_EES4_PKS4_PKT2_SD_SA_PKT4_PKT5_S8_PT6_21rocsparse_index_base_b.num_vgpr, 199
	.set _ZN9rocsparseL18bsrxmvn_4x4_kernelILj128ELj64E21rocsparse_complex_numIdEiiS1_IfES2_S2_EEvT3_20rocsparse_direction_NS_24const_host_device_scalarIT1_EES4_PKS4_PKT2_SD_SA_PKT4_PKT5_S8_PT6_21rocsparse_index_base_b.num_agpr, 0
	.set _ZN9rocsparseL18bsrxmvn_4x4_kernelILj128ELj64E21rocsparse_complex_numIdEiiS1_IfES2_S2_EEvT3_20rocsparse_direction_NS_24const_host_device_scalarIT1_EES4_PKS4_PKT2_SD_SA_PKT4_PKT5_S8_PT6_21rocsparse_index_base_b.numbered_sgpr, 16
	.set _ZN9rocsparseL18bsrxmvn_4x4_kernelILj128ELj64E21rocsparse_complex_numIdEiiS1_IfES2_S2_EEvT3_20rocsparse_direction_NS_24const_host_device_scalarIT1_EES4_PKS4_PKT2_SD_SA_PKT4_PKT5_S8_PT6_21rocsparse_index_base_b.num_named_barrier, 0
	.set _ZN9rocsparseL18bsrxmvn_4x4_kernelILj128ELj64E21rocsparse_complex_numIdEiiS1_IfES2_S2_EEvT3_20rocsparse_direction_NS_24const_host_device_scalarIT1_EES4_PKS4_PKT2_SD_SA_PKT4_PKT5_S8_PT6_21rocsparse_index_base_b.private_seg_size, 0
	.set _ZN9rocsparseL18bsrxmvn_4x4_kernelILj128ELj64E21rocsparse_complex_numIdEiiS1_IfES2_S2_EEvT3_20rocsparse_direction_NS_24const_host_device_scalarIT1_EES4_PKS4_PKT2_SD_SA_PKT4_PKT5_S8_PT6_21rocsparse_index_base_b.uses_vcc, 1
	.set _ZN9rocsparseL18bsrxmvn_4x4_kernelILj128ELj64E21rocsparse_complex_numIdEiiS1_IfES2_S2_EEvT3_20rocsparse_direction_NS_24const_host_device_scalarIT1_EES4_PKS4_PKT2_SD_SA_PKT4_PKT5_S8_PT6_21rocsparse_index_base_b.uses_flat_scratch, 0
	.set _ZN9rocsparseL18bsrxmvn_4x4_kernelILj128ELj64E21rocsparse_complex_numIdEiiS1_IfES2_S2_EEvT3_20rocsparse_direction_NS_24const_host_device_scalarIT1_EES4_PKS4_PKT2_SD_SA_PKT4_PKT5_S8_PT6_21rocsparse_index_base_b.has_dyn_sized_stack, 0
	.set _ZN9rocsparseL18bsrxmvn_4x4_kernelILj128ELj64E21rocsparse_complex_numIdEiiS1_IfES2_S2_EEvT3_20rocsparse_direction_NS_24const_host_device_scalarIT1_EES4_PKS4_PKT2_SD_SA_PKT4_PKT5_S8_PT6_21rocsparse_index_base_b.has_recursion, 0
	.set _ZN9rocsparseL18bsrxmvn_4x4_kernelILj128ELj64E21rocsparse_complex_numIdEiiS1_IfES2_S2_EEvT3_20rocsparse_direction_NS_24const_host_device_scalarIT1_EES4_PKS4_PKT2_SD_SA_PKT4_PKT5_S8_PT6_21rocsparse_index_base_b.has_indirect_call, 0
	.section	.AMDGPU.csdata,"",@progbits
; Kernel info:
; codeLenInByte = 11792
; TotalNumSgprs: 18
; NumVgprs: 199
; ScratchSize: 0
; MemoryBound: 0
; FloatMode: 240
; IeeeMode: 1
; LDSByteSize: 0 bytes/workgroup (compile time only)
; SGPRBlocks: 0
; VGPRBlocks: 24
; NumSGPRsForWavesPerEU: 18
; NumVGPRsForWavesPerEU: 199
; Occupancy: 4
; WaveLimiterHint : 1
; COMPUTE_PGM_RSRC2:SCRATCH_EN: 0
; COMPUTE_PGM_RSRC2:USER_SGPR: 6
; COMPUTE_PGM_RSRC2:TRAP_HANDLER: 0
; COMPUTE_PGM_RSRC2:TGID_X_EN: 1
; COMPUTE_PGM_RSRC2:TGID_Y_EN: 0
; COMPUTE_PGM_RSRC2:TGID_Z_EN: 0
; COMPUTE_PGM_RSRC2:TIDIG_COMP_CNT: 0
	.section	.text._ZN9rocsparseL18bsrxmvn_4x4_kernelILj128ELj4E21rocsparse_complex_numIdEliS1_IfES2_S2_EEvT3_20rocsparse_direction_NS_24const_host_device_scalarIT1_EES4_PKS4_PKT2_SD_SA_PKT4_PKT5_S8_PT6_21rocsparse_index_base_b,"axG",@progbits,_ZN9rocsparseL18bsrxmvn_4x4_kernelILj128ELj4E21rocsparse_complex_numIdEliS1_IfES2_S2_EEvT3_20rocsparse_direction_NS_24const_host_device_scalarIT1_EES4_PKS4_PKT2_SD_SA_PKT4_PKT5_S8_PT6_21rocsparse_index_base_b,comdat
	.globl	_ZN9rocsparseL18bsrxmvn_4x4_kernelILj128ELj4E21rocsparse_complex_numIdEliS1_IfES2_S2_EEvT3_20rocsparse_direction_NS_24const_host_device_scalarIT1_EES4_PKS4_PKT2_SD_SA_PKT4_PKT5_S8_PT6_21rocsparse_index_base_b ; -- Begin function _ZN9rocsparseL18bsrxmvn_4x4_kernelILj128ELj4E21rocsparse_complex_numIdEliS1_IfES2_S2_EEvT3_20rocsparse_direction_NS_24const_host_device_scalarIT1_EES4_PKS4_PKT2_SD_SA_PKT4_PKT5_S8_PT6_21rocsparse_index_base_b
	.p2align	8
	.type	_ZN9rocsparseL18bsrxmvn_4x4_kernelILj128ELj4E21rocsparse_complex_numIdEliS1_IfES2_S2_EEvT3_20rocsparse_direction_NS_24const_host_device_scalarIT1_EES4_PKS4_PKT2_SD_SA_PKT4_PKT5_S8_PT6_21rocsparse_index_base_b,@function
_ZN9rocsparseL18bsrxmvn_4x4_kernelILj128ELj4E21rocsparse_complex_numIdEliS1_IfES2_S2_EEvT3_20rocsparse_direction_NS_24const_host_device_scalarIT1_EES4_PKS4_PKT2_SD_SA_PKT4_PKT5_S8_PT6_21rocsparse_index_base_b: ; @_ZN9rocsparseL18bsrxmvn_4x4_kernelILj128ELj4E21rocsparse_complex_numIdEliS1_IfES2_S2_EEvT3_20rocsparse_direction_NS_24const_host_device_scalarIT1_EES4_PKS4_PKT2_SD_SA_PKT4_PKT5_S8_PT6_21rocsparse_index_base_b
; %bb.0:
	s_clause 0x1
	s_load_dwordx2 s[2:3], s[4:5], 0x68
	s_load_dwordx2 s[0:1], s[4:5], 0x8
	s_add_u32 s7, s4, 8
	s_addc_u32 s10, s5, 0
	s_add_u32 s11, s4, 0x50
	s_addc_u32 s12, s5, 0
	s_load_dwordx2 s[8:9], s[4:5], 0x50
	s_waitcnt lgkmcnt(0)
	s_bitcmp1_b32 s3, 0
	s_cselect_b32 s0, s7, s0
	s_cselect_b32 s1, s10, s1
	v_mov_b32_e32 v1, s0
	v_mov_b32_e32 v2, s1
	s_cselect_b32 s0, s11, s8
	s_cselect_b32 s1, s12, s9
	flat_load_dwordx4 v[5:8], v[1:2]
	v_mov_b32_e32 v1, s0
	v_mov_b32_e32 v2, s1
	flat_load_dwordx4 v[1:4], v[1:2]
	s_waitcnt vmcnt(1) lgkmcnt(1)
	v_cmp_eq_f64_e32 vcc_lo, 0, v[5:6]
	v_cmp_eq_f64_e64 s0, 0, v[7:8]
	s_and_b32 s3, vcc_lo, s0
	s_mov_b32 s0, -1
	s_and_saveexec_b32 s1, s3
	s_cbranch_execz .LBB170_2
; %bb.1:
	s_waitcnt vmcnt(0) lgkmcnt(0)
	v_cmp_neq_f64_e32 vcc_lo, 1.0, v[1:2]
	v_cmp_neq_f64_e64 s0, 0, v[3:4]
	s_or_b32 s0, vcc_lo, s0
	s_orn2_b32 s0, s0, exec_lo
.LBB170_2:
	s_or_b32 exec_lo, exec_lo, s1
	s_and_saveexec_b32 s1, s0
	s_cbranch_execz .LBB170_8
; %bb.3:
	s_clause 0x1
	s_load_dwordx2 s[8:9], s[4:5], 0x20
	s_load_dwordx2 s[0:1], s[4:5], 0x0
	v_lshrrev_b32_e32 v9, 2, v0
	v_lshl_or_b32 v25, s6, 5, v9
	s_waitcnt lgkmcnt(0)
	s_cmp_lg_u64 s[8:9], 0
	s_cbranch_scc0 .LBB170_9
; %bb.4:
	s_load_dword s3, s[4:5], 0x18
	s_mov_b32 s6, 0
                                        ; implicit-def: $vgpr9
	s_waitcnt lgkmcnt(0)
	v_cmp_gt_i32_e32 vcc_lo, s3, v25
	s_mov_b32 s3, 0
	s_and_saveexec_b32 s7, vcc_lo
	s_xor_b32 s7, exec_lo, s7
	s_cbranch_execz .LBB170_6
; %bb.5:
	v_ashrrev_i32_e32 v26, 31, v25
	s_mov_b32 s3, exec_lo
	v_lshlrev_b64 v[9:10], 2, v[25:26]
	v_add_co_u32 v9, vcc_lo, s8, v9
	v_add_co_ci_u32_e64 v10, null, s9, v10, vcc_lo
	global_load_dword v9, v[9:10], off
	s_waitcnt vmcnt(0)
	v_subrev_nc_u32_e32 v9, s2, v9
.LBB170_6:
	s_or_b32 exec_lo, exec_lo, s7
	s_and_b32 vcc_lo, exec_lo, s6
	s_cbranch_vccz .LBB170_10
.LBB170_7:
	v_cmp_gt_i32_e32 vcc_lo, s0, v25
	s_andn2_b32 s0, s3, exec_lo
	s_and_b32 s3, vcc_lo, exec_lo
	s_or_b32 s3, s0, s3
	s_and_b32 exec_lo, exec_lo, s3
	s_cbranch_execnz .LBB170_11
.LBB170_8:
	s_endpgm
.LBB170_9:
	s_mov_b32 s3, 0
                                        ; implicit-def: $vgpr9
	s_cbranch_execnz .LBB170_7
.LBB170_10:
	v_mov_b32_e32 v25, v9
	s_and_b32 exec_lo, exec_lo, s3
	s_cbranch_execz .LBB170_8
.LBB170_11:
	s_load_dwordx8 s[8:15], s[4:5], 0x28
	v_ashrrev_i32_e32 v26, 31, v25
	v_and_b32_e32 v0, 3, v0
	s_load_dwordx2 s[6:7], s[4:5], 0x48
	v_lshlrev_b64 v[9:10], 3, v[25:26]
	s_waitcnt lgkmcnt(0)
	v_add_co_u32 v11, vcc_lo, s8, v9
	v_add_co_ci_u32_e64 v12, null, s9, v10, vcc_lo
	v_add_co_u32 v9, vcc_lo, s10, v9
	v_add_co_ci_u32_e64 v10, null, s11, v10, vcc_lo
	;; [unrolled: 2-line block ×3, first 2 shown]
	global_load_dwordx2 v[48:49], v[11:12], off
	s_cmp_eq_u64 s[10:11], 0
	s_cselect_b32 vcc_lo, -1, 0
	s_cmp_eq_u32 s1, 1
	v_cndmask_b32_e32 v10, v10, v14, vcc_lo
	v_cndmask_b32_e32 v9, v9, v13, vcc_lo
	global_load_dwordx2 v[9:10], v[9:10], off
	s_waitcnt vmcnt(1)
	v_sub_co_u32 v11, vcc_lo, v48, s2
	v_subrev_co_ci_u32_e64 v12, null, 0, v49, vcc_lo
	v_add_co_u32 v26, vcc_lo, v11, v0
	v_add_co_ci_u32_e64 v27, null, 0, v12, vcc_lo
	s_waitcnt vmcnt(0)
	v_sub_co_u32 v28, vcc_lo, v9, s2
	v_subrev_co_ci_u32_e64 v29, null, 0, v10, vcc_lo
	v_lshlrev_b64 v[9:10], 7, v[26:27]
	v_cmp_lt_i64_e64 s0, v[26:27], v[28:29]
	v_add_co_u32 v30, vcc_lo, s14, v9
	v_add_co_ci_u32_e64 v31, null, s15, v10, vcc_lo
	s_cbranch_scc1 .LBB170_23
; %bb.12:
	v_mov_b32_e32 v44, 0
	v_mov_b32_e32 v46, 0
	;; [unrolled: 1-line block ×16, first 2 shown]
	s_and_saveexec_b32 s3, s0
	s_cbranch_execz .LBB170_22
; %bb.13:
	v_or_b32_e32 v9, 4, v0
	v_not_b32_e32 v13, v48
	v_not_b32_e32 v11, v49
	v_mov_b32_e32 v32, 0
	v_mov_b32_e32 v36, 0
	v_sub_co_u32 v9, s1, v9, s2
	v_sub_co_ci_u32_e64 v10, null, 0, 0, s1
	v_sub_co_u32 v14, s1, s2, v0
	v_add_co_u32 v9, vcc_lo, v9, v48
	v_add_co_ci_u32_e64 v10, null, v10, v49, vcc_lo
	v_sub_co_ci_u32_e64 v15, null, 0, 0, s1
	v_add_co_u32 v13, s1, v14, v13
	v_cmp_gt_i64_e32 vcc_lo, v[9:10], v[28:29]
	v_add_co_ci_u32_e64 v11, null, v15, v11, s1
	v_mov_b32_e32 v40, 0
	v_mov_b32_e32 v38, 0
	;; [unrolled: 1-line block ×3, first 2 shown]
	v_cndmask_b32_e32 v9, v28, v9, vcc_lo
	v_cndmask_b32_e32 v10, v29, v10, vcc_lo
	v_mov_b32_e32 v34, 0
	v_mov_b32_e32 v46, 0
	;; [unrolled: 1-line block ×3, first 2 shown]
	v_add_co_u32 v9, vcc_lo, v13, v9
	v_mov_b32_e32 v53, v31
	v_mov_b32_e32 v51, v27
	;; [unrolled: 1-line block ×7, first 2 shown]
	v_add_co_ci_u32_e64 v10, null, v11, v10, vcc_lo
	v_and_b32_e32 v11, 12, v9
	v_mov_b32_e32 v43, 0
	v_mov_b32_e32 v35, 0
	;; [unrolled: 1-line block ×6, first 2 shown]
	s_mov_b32 s8, exec_lo
	v_cmpx_ne_u64_e32 12, v[11:12]
	s_cbranch_execz .LBB170_17
; %bb.14:
	v_lshrrev_b32_e32 v13, 2, v9
	v_lshlrev_b64 v[11:12], 2, v[26:27]
	v_mov_b32_e32 v44, 0
	v_mov_b32_e32 v51, v27
	;; [unrolled: 1-line block ×3, first 2 shown]
	v_add_nc_u32_e32 v13, 1, v13
	v_mov_b32_e32 v34, 0
	v_add_co_u32 v11, vcc_lo, s12, v11
	v_mov_b32_e32 v42, 0
	v_and_b32_e32 v13, 3, v13
	v_mov_b32_e32 v38, 0
	v_mov_b32_e32 v40, 0
	;; [unrolled: 1-line block ×4, first 2 shown]
	v_sub_co_u32 v13, s1, 0, v13
	v_mov_b32_e32 v53, v31
	v_mov_b32_e32 v45, 0
	;; [unrolled: 1-line block ×5, first 2 shown]
	v_add_co_ci_u32_e64 v12, null, s13, v12, vcc_lo
	v_sub_co_ci_u32_e64 v14, null, 0, 0, s1
	v_mov_b32_e32 v43, 0
	v_mov_b32_e32 v39, 0
	;; [unrolled: 1-line block ×6, first 2 shown]
	s_mov_b32 s9, 0
.LBB170_15:                             ; =>This Inner Loop Header: Depth=1
	global_load_dword v23, v[11:12], off
	s_clause 0x3
	global_load_dwordx4 v[15:18], v[52:53], off
	global_load_dwordx4 v[19:22], v[52:53], off offset:32
	global_load_dwordx4 v[54:57], v[52:53], off offset:64
	;; [unrolled: 1-line block ×3, first 2 shown]
	v_add_co_u32 v11, s1, v11, 16
	v_add_co_ci_u32_e64 v12, null, 0, v12, s1
	s_waitcnt vmcnt(4)
	v_subrev_nc_u32_e32 v23, s2, v23
	s_waitcnt vmcnt(2)
	v_cvt_f64_f32_e32 v[94:95], v19
	v_cvt_f64_f32_e32 v[19:20], v20
	s_waitcnt vmcnt(1)
	v_cvt_f64_f32_e32 v[96:97], v54
	v_lshlrev_b32_e32 v23, 2, v23
	v_cvt_f64_f32_e32 v[54:55], v55
	s_waitcnt vmcnt(0)
	v_cvt_f64_f32_e32 v[98:99], v58
	v_cvt_f64_f32_e32 v[58:59], v59
	;; [unrolled: 1-line block ×3, first 2 shown]
	v_ashrrev_i32_e32 v24, 31, v23
	v_cvt_f64_f32_e32 v[21:22], v22
	v_cvt_f64_f32_e32 v[102:103], v56
	;; [unrolled: 1-line block ×4, first 2 shown]
	v_lshlrev_b64 v[23:24], 4, v[23:24]
	v_cvt_f64_f32_e32 v[60:61], v61
	v_add_co_u32 v23, vcc_lo, s6, v23
	v_add_co_ci_u32_e64 v24, null, s7, v24, vcc_lo
	s_clause 0x1
	global_load_dwordx4 v[62:65], v[23:24], off
	global_load_dwordx4 v[66:69], v[23:24], off offset:16
	s_clause 0x3
	global_load_dwordx4 v[70:73], v[52:53], off offset:16
	global_load_dwordx4 v[74:77], v[52:53], off offset:48
	;; [unrolled: 1-line block ×4, first 2 shown]
	s_clause 0x1
	global_load_dwordx4 v[86:89], v[23:24], off offset:32
	global_load_dwordx4 v[90:93], v[23:24], off offset:48
	v_cvt_f64_f32_e32 v[23:24], v15
	v_cvt_f64_f32_e32 v[15:16], v16
	v_add_co_u32 v52, vcc_lo, 0x200, v52
	v_add_co_ci_u32_e64 v53, null, 0, v53, vcc_lo
	v_add_co_u32 v13, vcc_lo, v13, 1
	v_add_co_ci_u32_e64 v14, null, 0, v14, vcc_lo
	;; [unrolled: 2-line block ×3, first 2 shown]
	v_cmp_eq_u64_e32 vcc_lo, 0, v[13:14]
	s_or_b32 s9, vcc_lo, s9
	s_waitcnt vmcnt(7)
	v_fma_f64 v[46:47], v[23:24], v[62:63], v[46:47]
	v_fma_f64 v[44:45], v[15:16], v[62:63], v[44:45]
	;; [unrolled: 1-line block ×8, first 2 shown]
	v_cvt_f64_f32_e32 v[62:63], v17
	v_cvt_f64_f32_e32 v[17:18], v18
	v_fma_f64 v[15:16], -v[15:16], v[64:65], v[46:47]
	v_fma_f64 v[23:24], v[23:24], v[64:65], v[44:45]
	v_fma_f64 v[19:20], -v[19:20], v[64:65], v[42:43]
	v_fma_f64 v[34:35], v[94:95], v[64:65], v[34:35]
	v_fma_f64 v[40:41], -v[54:55], v[64:65], v[40:41]
	v_fma_f64 v[38:39], v[96:97], v[64:65], v[38:39]
	v_fma_f64 v[32:33], -v[58:59], v[64:65], v[32:33]
	v_fma_f64 v[36:37], v[98:99], v[64:65], v[36:37]
	s_waitcnt vmcnt(5)
	v_cvt_f64_f32_e32 v[42:43], v70
	v_cvt_f64_f32_e32 v[44:45], v71
	s_waitcnt vmcnt(4)
	v_cvt_f64_f32_e32 v[46:47], v74
	v_cvt_f64_f32_e32 v[54:55], v75
	;; [unrolled: 3-line block ×4, first 2 shown]
	v_fma_f64 v[15:16], v[62:63], v[66:67], v[15:16]
	v_fma_f64 v[23:24], v[17:18], v[66:67], v[23:24]
	;; [unrolled: 1-line block ×8, first 2 shown]
	v_cvt_f64_f32_e32 v[66:67], v82
	v_fma_f64 v[15:16], -v[17:18], v[68:69], v[15:16]
	v_fma_f64 v[17:18], v[62:63], v[68:69], v[23:24]
	v_fma_f64 v[19:20], -v[21:22], v[68:69], v[19:20]
	v_fma_f64 v[21:22], v[100:101], v[68:69], v[34:35]
	;; [unrolled: 2-line block ×4, first 2 shown]
	v_cvt_f64_f32_e32 v[38:39], v72
	v_cvt_f64_f32_e32 v[40:41], v73
	;; [unrolled: 1-line block ×7, first 2 shown]
	s_waitcnt vmcnt(1)
	v_fma_f64 v[15:16], v[42:43], v[86:87], v[15:16]
	v_fma_f64 v[17:18], v[44:45], v[86:87], v[17:18]
	;; [unrolled: 1-line block ×8, first 2 shown]
	v_fma_f64 v[15:16], -v[44:45], v[88:89], v[15:16]
	v_fma_f64 v[17:18], v[42:43], v[88:89], v[17:18]
	v_fma_f64 v[19:20], -v[54:55], v[88:89], v[19:20]
	v_fma_f64 v[21:22], v[46:47], v[88:89], v[21:22]
	v_fma_f64 v[23:24], -v[64:65], v[88:89], v[23:24]
	v_fma_f64 v[34:35], v[58:59], v[88:89], v[34:35]
	v_fma_f64 v[32:33], -v[70:71], v[88:89], v[32:33]
	v_fma_f64 v[36:37], v[66:67], v[88:89], v[36:37]
	s_waitcnt vmcnt(0)
	v_fma_f64 v[15:16], v[38:39], v[90:91], v[15:16]
	v_fma_f64 v[17:18], v[40:41], v[90:91], v[17:18]
	v_fma_f64 v[19:20], v[56:57], v[90:91], v[19:20]
	v_fma_f64 v[21:22], v[60:61], v[90:91], v[21:22]
	v_fma_f64 v[23:24], v[62:63], v[90:91], v[23:24]
	v_fma_f64 v[54:55], v[68:69], v[90:91], v[34:35]
	v_fma_f64 v[32:33], v[72:73], v[90:91], v[32:33]
	v_fma_f64 v[36:37], v[74:75], v[90:91], v[36:37]
	v_fma_f64 v[46:47], -v[40:41], v[92:93], v[15:16]
	v_fma_f64 v[44:45], v[38:39], v[92:93], v[17:18]
	v_fma_f64 v[42:43], -v[60:61], v[92:93], v[19:20]
	v_fma_f64 v[34:35], v[56:57], v[92:93], v[21:22]
	;; [unrolled: 2-line block ×4, first 2 shown]
	s_andn2_b32 exec_lo, exec_lo, s9
	s_cbranch_execnz .LBB170_15
; %bb.16:
	s_or_b32 exec_lo, exec_lo, s9
.LBB170_17:
	s_or_b32 exec_lo, exec_lo, s8
	s_mov_b32 s8, exec_lo
	v_cmpx_lt_u64_e32 11, v[9:10]
	s_cbranch_execz .LBB170_21
; %bb.18:
	v_lshlrev_b64 v[9:10], 2, v[50:51]
	s_mov_b32 s9, 0
	v_add_co_u32 v9, vcc_lo, s12, v9
	v_add_co_ci_u32_e64 v10, null, s13, v10, vcc_lo
	v_add_co_u32 v54, vcc_lo, v9, 32
	v_add_co_ci_u32_e64 v55, null, 0, v10, vcc_lo
.LBB170_19:                             ; =>This Inner Loop Header: Depth=1
	s_clause 0x1
	global_load_dword v9, v[54:55], off offset:-32
	global_load_dword v11, v[54:55], off offset:-16
	s_clause 0x3
	global_load_dwordx4 v[56:59], v[52:53], off
	global_load_dwordx4 v[60:63], v[52:53], off offset:32
	global_load_dwordx4 v[64:67], v[52:53], off offset:64
	;; [unrolled: 1-line block ×3, first 2 shown]
	s_clause 0x1
	global_load_dword v198, v[54:55], off
	global_load_dword v204, v[54:55], off offset:16
	v_add_co_u32 v54, s1, v54, 64
	v_add_co_ci_u32_e64 v55, null, 0, v55, s1
	s_waitcnt vmcnt(7)
	v_subrev_nc_u32_e32 v9, s2, v9
	s_waitcnt vmcnt(5)
	v_cvt_f64_f32_e32 v[182:183], v56
	v_cvt_f64_f32_e32 v[184:185], v57
	s_waitcnt vmcnt(4)
	v_cvt_f64_f32_e32 v[190:191], v60
	v_lshlrev_b32_e32 v9, 2, v9
	v_cvt_f64_f32_e32 v[60:61], v61
	s_waitcnt vmcnt(3)
	v_cvt_f64_f32_e32 v[194:195], v64
	v_cvt_f64_f32_e32 v[64:65], v65
	s_waitcnt vmcnt(2)
	v_cvt_f64_f32_e32 v[196:197], v68
	v_ashrrev_i32_e32 v10, 31, v9
	v_cvt_f64_f32_e32 v[68:69], v69
	s_waitcnt vmcnt(1)
	v_subrev_nc_u32_e32 v56, s2, v198
	v_cvt_f64_f32_e32 v[186:187], v58
	v_cvt_f64_f32_e32 v[188:189], v59
	v_lshlrev_b64 v[9:10], 4, v[9:10]
	v_cvt_f64_f32_e32 v[192:193], v62
	v_lshlrev_b32_e32 v202, 2, v56
	v_cvt_f64_f32_e32 v[62:63], v63
	v_cvt_f64_f32_e32 v[198:199], v66
	;; [unrolled: 1-line block ×3, first 2 shown]
	v_add_co_u32 v9, vcc_lo, s6, v9
	v_add_co_ci_u32_e64 v10, null, s7, v10, vcc_lo
	v_ashrrev_i32_e32 v203, 31, v202
	v_cvt_f64_f32_e32 v[200:201], v70
	v_cvt_f64_f32_e32 v[70:71], v71
	s_clause 0x1
	global_load_dwordx4 v[72:75], v[9:10], off
	global_load_dwordx4 v[76:79], v[9:10], off offset:16
	s_clause 0x3
	global_load_dwordx4 v[80:83], v[52:53], off offset:16
	global_load_dwordx4 v[84:87], v[52:53], off offset:48
	;; [unrolled: 1-line block ×7, first 2 shown]
	s_clause 0x2
	global_load_dwordx4 v[108:111], v[52:53], off offset:544
	global_load_dwordx4 v[112:115], v[52:53], off offset:576
	;; [unrolled: 1-line block ×3, first 2 shown]
	v_subrev_nc_u32_e32 v9, s2, v11
	v_lshlrev_b32_e32 v9, 2, v9
	v_ashrrev_i32_e32 v10, 31, v9
	v_lshlrev_b64 v[9:10], 4, v[9:10]
	v_add_co_u32 v180, vcc_lo, s6, v9
	v_add_co_ci_u32_e64 v181, null, s7, v10, vcc_lo
	s_clause 0x1
	global_load_dwordx4 v[120:123], v[180:181], off
	global_load_dwordx4 v[124:127], v[180:181], off offset:16
	s_clause 0x3
	global_load_dwordx4 v[128:131], v[52:53], off offset:528
	global_load_dwordx4 v[132:135], v[52:53], off offset:560
	global_load_dwordx4 v[136:139], v[52:53], off offset:592
	global_load_dwordx4 v[140:143], v[52:53], off offset:624
	global_load_dwordx4 v[144:147], v[180:181], off offset:32
	s_clause 0xb
	global_load_dwordx4 v[148:151], v[52:53], off offset:1056
	global_load_dwordx4 v[152:155], v[52:53], off offset:1072
	;; [unrolled: 1-line block ×13, first 2 shown]
	s_waitcnt vmcnt(31)
	v_fma_f64 v[46:47], v[182:183], v[72:73], v[46:47]
	v_fma_f64 v[44:45], v[184:185], v[72:73], v[44:45]
	;; [unrolled: 1-line block ×8, first 2 shown]
	v_lshlrev_b64 v[72:73], 4, v[202:203]
	v_add_co_u32 v72, vcc_lo, s6, v72
	v_add_co_ci_u32_e64 v73, null, s7, v73, vcc_lo
	v_fma_f64 v[46:47], -v[184:185], v[74:75], v[46:47]
	v_fma_f64 v[44:45], v[182:183], v[74:75], v[44:45]
	v_fma_f64 v[42:43], -v[60:61], v[74:75], v[42:43]
	v_fma_f64 v[60:61], v[190:191], v[74:75], v[34:35]
	;; [unrolled: 2-line block ×4, first 2 shown]
	global_load_dwordx4 v[32:35], v[72:73], off
	s_waitcnt vmcnt(30)
	v_cvt_f64_f32_e32 v[182:183], v80
	v_cvt_f64_f32_e32 v[80:81], v81
	s_waitcnt vmcnt(29)
	v_cvt_f64_f32_e32 v[184:185], v84
	v_cvt_f64_f32_e32 v[84:85], v85
	;; [unrolled: 3-line block ×4, first 2 shown]
	v_fma_f64 v[46:47], v[186:187], v[76:77], v[46:47]
	v_fma_f64 v[44:45], v[188:189], v[76:77], v[44:45]
	;; [unrolled: 1-line block ×8, first 2 shown]
	s_clause 0x1
	global_load_dwordx4 v[36:39], v[52:53], off offset:1632
	global_load_dwordx4 v[40:43], v[52:53], off offset:1600
	v_fma_f64 v[188:189], -v[188:189], v[78:79], v[46:47]
	v_fma_f64 v[186:187], v[186:187], v[78:79], v[44:45]
	v_fma_f64 v[62:63], -v[62:63], v[78:79], v[68:69]
	v_cvt_f64_f32_e32 v[68:69], v92
	v_fma_f64 v[60:61], v[192:193], v[78:79], v[60:61]
	v_cvt_f64_f32_e32 v[92:93], v93
	v_fma_f64 v[66:67], -v[66:67], v[78:79], v[74:75]
	v_fma_f64 v[74:75], v[198:199], v[78:79], v[180:181]
	v_fma_f64 v[64:65], -v[70:71], v[78:79], v[64:65]
	v_fma_f64 v[70:71], v[200:201], v[78:79], v[76:77]
	global_load_dwordx4 v[44:47], v[72:73], off offset:16
	v_cvt_f64_f32_e32 v[76:77], v82
	v_cvt_f64_f32_e32 v[78:79], v83
	;; [unrolled: 1-line block ×4, first 2 shown]
	v_fma_f64 v[82:83], v[182:183], v[96:97], v[188:189]
	v_fma_f64 v[180:181], v[80:81], v[96:97], v[186:187]
	;; [unrolled: 1-line block ×3, first 2 shown]
	v_cvt_f64_f32_e32 v[186:187], v90
	v_fma_f64 v[60:61], v[84:85], v[96:97], v[60:61]
	v_cvt_f64_f32_e32 v[90:91], v91
	v_fma_f64 v[66:67], v[190:191], v[96:97], v[66:67]
	v_fma_f64 v[74:75], v[88:89], v[96:97], v[74:75]
	v_fma_f64 v[64:65], v[68:69], v[96:97], v[64:65]
	v_fma_f64 v[70:71], v[92:93], v[96:97], v[70:71]
	v_cvt_f64_f32_e32 v[96:97], v86
	v_cvt_f64_f32_e32 v[86:87], v87
	v_cvt_f64_f32_e32 v[188:189], v94
	v_cvt_f64_f32_e32 v[94:95], v95
	v_fma_f64 v[80:81], -v[80:81], v[98:99], v[82:83]
	v_fma_f64 v[82:83], v[182:183], v[98:99], v[180:181]
	v_fma_f64 v[84:85], -v[84:85], v[98:99], v[62:63]
	s_waitcnt vmcnt(24)
	v_cvt_f64_f32_e32 v[182:183], v118
	v_fma_f64 v[180:181], v[184:185], v[98:99], v[60:61]
	global_load_dwordx4 v[60:63], v[72:73], off offset:32
	v_fma_f64 v[66:67], -v[88:89], v[98:99], v[66:67]
	v_fma_f64 v[74:75], v[190:191], v[98:99], v[74:75]
	v_fma_f64 v[64:65], -v[92:93], v[98:99], v[64:65]
	v_fma_f64 v[68:69], v[68:69], v[98:99], v[70:71]
	v_cvt_f64_f32_e32 v[70:71], v108
	v_cvt_f64_f32_e32 v[88:89], v109
	;; [unrolled: 1-line block ×4, first 2 shown]
	v_subrev_nc_u32_e32 v118, s2, v204
	v_fma_f64 v[80:81], v[76:77], v[104:105], v[80:81]
	v_fma_f64 v[82:83], v[78:79], v[104:105], v[82:83]
	;; [unrolled: 1-line block ×4, first 2 shown]
	v_cvt_f64_f32_e32 v[180:181], v116
	v_fma_f64 v[66:67], v[186:187], v[104:105], v[66:67]
	v_fma_f64 v[74:75], v[90:91], v[104:105], v[74:75]
	;; [unrolled: 1-line block ×4, first 2 shown]
	v_cvt_f64_f32_e32 v[104:105], v111
	v_cvt_f64_f32_e32 v[110:111], v113
	;; [unrolled: 1-line block ×5, first 2 shown]
	v_fma_f64 v[78:79], -v[78:79], v[106:107], v[80:81]
	v_fma_f64 v[76:77], v[76:77], v[106:107], v[82:83]
	v_fma_f64 v[80:81], -v[86:87], v[106:107], v[84:85]
	v_fma_f64 v[82:83], v[96:97], v[106:107], v[92:93]
	v_lshlrev_b32_e32 v92, 2, v118
	v_fma_f64 v[84:85], -v[90:91], v[106:107], v[66:67]
	v_fma_f64 v[74:75], v[186:187], v[106:107], v[74:75]
	v_fma_f64 v[86:87], -v[94:95], v[106:107], v[64:65]
	v_fma_f64 v[68:69], v[188:189], v[106:107], v[68:69]
	global_load_dwordx4 v[64:67], v[72:73], off offset:48
	v_ashrrev_i32_e32 v93, 31, v92
	v_cvt_f64_f32_e32 v[90:91], v119
	s_waitcnt vmcnt(23)
	v_cvt_f64_f32_e32 v[94:95], v129
	s_waitcnt vmcnt(22)
	;; [unrolled: 2-line block ×3, first 2 shown]
	v_cvt_f64_f32_e32 v[106:107], v136
	v_fma_f64 v[72:73], v[192:193], v[120:121], v[78:79]
	v_fma_f64 v[76:77], v[100:101], v[120:121], v[76:77]
	;; [unrolled: 1-line block ×8, first 2 shown]
	v_lshlrev_b64 v[86:87], 4, v[92:93]
	v_cvt_f64_f32_e32 v[120:121], v131
	v_add_co_u32 v92, vcc_lo, s6, v86
	v_add_co_ci_u32_e64 v93, null, s7, v87, vcc_lo
	v_add_co_u32 v50, vcc_lo, v50, 16
	v_fma_f64 v[72:73], -v[100:101], v[122:123], v[72:73]
	v_fma_f64 v[76:77], v[192:193], v[122:123], v[76:77]
	v_fma_f64 v[78:79], -v[88:89], v[122:123], v[78:79]
	v_cvt_f64_f32_e32 v[100:101], v133
	v_fma_f64 v[80:81], v[70:71], v[122:123], v[80:81]
	s_waitcnt vmcnt(20)
	v_cvt_f64_f32_e32 v[132:133], v143
	v_fma_f64 v[82:83], -v[110:111], v[122:123], v[82:83]
	v_fma_f64 v[74:75], v[108:109], v[122:123], v[74:75]
	v_fma_f64 v[84:85], -v[116:117], v[122:123], v[84:85]
	v_fma_f64 v[88:89], v[180:181], v[122:123], v[68:69]
	global_load_dwordx4 v[68:71], v[92:93], off
	v_cvt_f64_f32_e32 v[108:109], v137
	v_cvt_f64_f32_e32 v[110:111], v140
	v_cvt_f64_f32_e32 v[116:117], v141
	v_cvt_f64_f32_e32 v[122:123], v134
	v_add_co_ci_u32_e64 v51, null, 0, v51, vcc_lo
	v_fma_f64 v[72:73], v[194:195], v[124:125], v[72:73]
	v_fma_f64 v[76:77], v[102:103], v[124:125], v[76:77]
	;; [unrolled: 1-line block ×8, first 2 shown]
	v_cvt_f64_f32_e32 v[88:89], v128
	v_cvt_f64_f32_e32 v[124:125], v135
	;; [unrolled: 1-line block ×3, first 2 shown]
	s_waitcnt vmcnt(14)
	v_cvt_f64_f32_e32 v[134:135], v169
	v_fma_f64 v[102:103], -v[102:103], v[126:127], v[72:73]
	v_fma_f64 v[118:119], v[194:195], v[126:127], v[76:77]
	v_fma_f64 v[104:105], -v[104:105], v[126:127], v[78:79]
	v_fma_f64 v[80:81], v[98:99], v[126:127], v[80:81]
	;; [unrolled: 2-line block ×4, first 2 shown]
	global_load_dwordx4 v[72:75], v[92:93], off offset:16
	global_load_dwordx4 v[76:79], v[52:53], off offset:1616
	v_cvt_f64_f32_e32 v[126:127], v138
	v_fma_f64 v[90:91], v[88:89], v[144:145], v[102:103]
	v_fma_f64 v[102:103], v[94:95], v[144:145], v[118:119]
	;; [unrolled: 1-line block ×3, first 2 shown]
	v_cvt_f64_f32_e32 v[118:119], v130
	v_fma_f64 v[112:113], v[100:101], v[144:145], v[80:81]
	v_cvt_f64_f32_e32 v[130:131], v142
	v_fma_f64 v[114:115], v[106:107], v[144:145], v[82:83]
	v_fma_f64 v[98:99], v[108:109], v[144:145], v[98:99]
	;; [unrolled: 1-line block ×4, first 2 shown]
	global_load_dwordx4 v[80:83], v[52:53], off offset:1648
	v_add_co_u32 v52, vcc_lo, 0x800, v52
	v_add_co_ci_u32_e64 v53, null, 0, v53, vcc_lo
	v_cmp_ge_i64_e32 vcc_lo, v[50:51], v[28:29]
	s_or_b32 s9, vcc_lo, s9
	v_fma_f64 v[90:91], -v[94:95], v[146:147], v[90:91]
	v_fma_f64 v[88:89], v[88:89], v[146:147], v[102:103]
	v_fma_f64 v[94:95], -v[100:101], v[146:147], v[104:105]
	v_fma_f64 v[96:97], v[96:97], v[146:147], v[112:113]
	s_waitcnt vmcnt(15)
	v_cvt_f64_f32_e32 v[112:113], v176
	v_fma_f64 v[100:101], -v[108:109], v[146:147], v[114:115]
	v_fma_f64 v[98:99], v[106:107], v[146:147], v[98:99]
	v_fma_f64 v[102:103], -v[116:117], v[146:147], v[84:85]
	v_fma_f64 v[104:105], v[110:111], v[146:147], v[86:87]
	global_load_dwordx4 v[84:87], v[92:93], off offset:32
	v_cvt_f64_f32_e32 v[106:107], v157
	v_cvt_f64_f32_e32 v[108:109], v148
	;; [unrolled: 1-line block ×5, first 2 shown]
	s_waitcnt vmcnt(11)
	v_fma_f64 v[90:91], v[118:119], v[56:57], v[90:91]
	v_fma_f64 v[88:89], v[120:121], v[56:57], v[88:89]
	;; [unrolled: 1-line block ×8, first 2 shown]
	v_cvt_f64_f32_e32 v[104:105], v156
	v_fma_f64 v[90:91], -v[120:121], v[58:59], v[90:91]
	v_fma_f64 v[88:89], v[118:119], v[58:59], v[88:89]
	v_fma_f64 v[94:95], -v[124:125], v[58:59], v[94:95]
	v_cvt_f64_f32_e32 v[120:121], v150
	v_fma_f64 v[96:97], v[122:123], v[58:59], v[96:97]
	v_cvt_f64_f32_e32 v[122:123], v151
	v_fma_f64 v[100:101], -v[128:129], v[58:59], v[100:101]
	v_fma_f64 v[98:99], v[126:127], v[58:59], v[98:99]
	v_fma_f64 v[102:103], -v[132:133], v[58:59], v[102:103]
	v_fma_f64 v[118:119], v[130:131], v[58:59], v[56:57]
	global_load_dwordx4 v[56:59], v[92:93], off offset:48
	v_cvt_f64_f32_e32 v[124:125], v178
	v_cvt_f64_f32_e32 v[126:127], v179
	;; [unrolled: 1-line block ×4, first 2 shown]
	s_waitcnt vmcnt(11)
	v_fma_f64 v[90:91], v[104:105], v[32:33], v[90:91]
	v_fma_f64 v[88:89], v[106:107], v[32:33], v[88:89]
	;; [unrolled: 1-line block ×8, first 2 shown]
	v_cvt_f64_f32_e32 v[102:103], v158
	v_cvt_f64_f32_e32 v[118:119], v159
	v_fma_f64 v[90:91], -v[106:107], v[34:35], v[90:91]
	v_fma_f64 v[88:89], v[104:105], v[34:35], v[88:89]
	v_fma_f64 v[92:93], -v[110:111], v[34:35], v[92:93]
	v_cvt_f64_f32_e32 v[104:105], v152
	v_fma_f64 v[94:95], v[108:109], v[34:35], v[94:95]
	v_cvt_f64_f32_e32 v[106:107], v153
	v_fma_f64 v[96:97], -v[114:115], v[34:35], v[96:97]
	v_fma_f64 v[98:99], v[112:113], v[34:35], v[98:99]
	v_fma_f64 v[100:101], -v[134:135], v[34:35], v[100:101]
	v_fma_f64 v[32:33], v[116:117], v[34:35], v[32:33]
	v_cvt_f64_f32_e32 v[108:109], v172
	v_cvt_f64_f32_e32 v[110:111], v173
	;; [unrolled: 1-line block ×5, first 2 shown]
	s_waitcnt vmcnt(8)
	v_fma_f64 v[34:35], v[102:103], v[44:45], v[90:91]
	v_fma_f64 v[88:89], v[118:119], v[44:45], v[88:89]
	;; [unrolled: 1-line block ×8, first 2 shown]
	v_cvt_f64_f32_e32 v[44:45], v160
	v_cvt_f64_f32_e32 v[100:101], v161
	v_fma_f64 v[34:35], -v[118:119], v[46:47], v[34:35]
	v_fma_f64 v[88:89], v[102:103], v[46:47], v[88:89]
	v_fma_f64 v[90:91], -v[122:123], v[46:47], v[90:91]
	v_cvt_f64_f32_e32 v[102:103], v154
	v_fma_f64 v[92:93], v[120:121], v[46:47], v[92:93]
	v_cvt_f64_f32_e32 v[118:119], v174
	v_fma_f64 v[94:95], -v[126:127], v[46:47], v[94:95]
	v_fma_f64 v[96:97], v[124:125], v[46:47], v[96:97]
	v_fma_f64 v[98:99], -v[130:131], v[46:47], v[98:99]
	v_fma_f64 v[32:33], v[128:129], v[46:47], v[32:33]
	v_cvt_f64_f32_e32 v[120:121], v175
	v_cvt_f64_f32_e32 v[122:123], v166
	;; [unrolled: 1-line block ×3, first 2 shown]
	s_waitcnt vmcnt(7)
	v_fma_f64 v[34:35], v[44:45], v[60:61], v[34:35]
	v_fma_f64 v[46:47], v[100:101], v[60:61], v[88:89]
	;; [unrolled: 1-line block ×8, first 2 shown]
	v_cvt_f64_f32_e32 v[60:61], v162
	v_cvt_f64_f32_e32 v[98:99], v163
	v_fma_f64 v[34:35], -v[100:101], v[62:63], v[34:35]
	v_fma_f64 v[44:45], v[44:45], v[62:63], v[46:47]
	v_fma_f64 v[46:47], -v[106:107], v[62:63], v[88:89]
	v_cvt_f64_f32_e32 v[100:101], v36
	v_fma_f64 v[88:89], v[104:105], v[62:63], v[90:91]
	v_cvt_f64_f32_e32 v[36:37], v37
	v_fma_f64 v[90:91], -v[110:111], v[62:63], v[92:93]
	v_fma_f64 v[92:93], v[108:109], v[62:63], v[94:95]
	v_fma_f64 v[94:95], -v[114:115], v[62:63], v[96:97]
	v_fma_f64 v[32:33], v[112:113], v[62:63], v[32:33]
	v_cvt_f64_f32_e32 v[96:97], v40
	v_cvt_f64_f32_e32 v[40:41], v41
	s_waitcnt vmcnt(6)
	v_fma_f64 v[34:35], v[60:61], v[64:65], v[34:35]
	v_fma_f64 v[44:45], v[98:99], v[64:65], v[44:45]
	;; [unrolled: 1-line block ×8, first 2 shown]
	v_cvt_f64_f32_e32 v[64:65], v21
	v_cvt_f64_f32_e32 v[21:22], v22
	;; [unrolled: 1-line block ×4, first 2 shown]
	v_fma_f64 v[34:35], -v[98:99], v[66:67], v[34:35]
	v_fma_f64 v[44:45], v[60:61], v[66:67], v[44:45]
	v_fma_f64 v[46:47], -v[116:117], v[66:67], v[46:47]
	v_cvt_f64_f32_e32 v[98:99], v38
	v_fma_f64 v[60:61], v[102:103], v[66:67], v[62:63]
	v_cvt_f64_f32_e32 v[38:39], v39
	v_fma_f64 v[62:63], -v[120:121], v[66:67], v[88:89]
	v_fma_f64 v[88:89], v[118:119], v[66:67], v[90:91]
	v_fma_f64 v[90:91], -v[124:125], v[66:67], v[92:93]
	v_fma_f64 v[32:33], v[122:123], v[66:67], v[32:33]
	v_cvt_f64_f32_e32 v[92:93], v42
	v_cvt_f64_f32_e32 v[42:43], v43
	s_waitcnt vmcnt(5)
	v_fma_f64 v[34:35], v[64:65], v[68:69], v[34:35]
	v_fma_f64 v[44:45], v[21:22], v[68:69], v[44:45]
	;; [unrolled: 1-line block ×8, first 2 shown]
	v_cvt_f64_f32_e32 v[68:69], v23
	v_cvt_f64_f32_e32 v[23:24], v24
	;; [unrolled: 1-line block ×4, first 2 shown]
	v_fma_f64 v[21:22], -v[21:22], v[70:71], v[34:35]
	v_fma_f64 v[34:35], v[64:65], v[70:71], v[44:45]
	v_fma_f64 v[17:18], -v[17:18], v[70:71], v[46:47]
	v_fma_f64 v[44:45], v[94:95], v[70:71], v[60:61]
	v_cvt_f64_f32_e32 v[60:61], v13
	v_fma_f64 v[40:41], -v[40:41], v[70:71], v[62:63]
	v_fma_f64 v[46:47], v[96:97], v[70:71], v[66:67]
	v_fma_f64 v[36:37], -v[36:37], v[70:71], v[88:89]
	v_fma_f64 v[32:33], v[100:101], v[70:71], v[32:33]
	v_cvt_f64_f32_e32 v[13:14], v14
	v_cvt_f64_f32_e32 v[62:63], v9
	;; [unrolled: 1-line block ×3, first 2 shown]
	s_waitcnt vmcnt(3)
	v_cvt_f64_f32_e32 v[64:65], v76
	v_fma_f64 v[21:22], v[68:69], v[72:73], v[21:22]
	v_fma_f64 v[34:35], v[23:24], v[72:73], v[34:35]
	;; [unrolled: 1-line block ×4, first 2 shown]
	v_cvt_f64_f32_e32 v[66:67], v77
	v_fma_f64 v[40:41], v[92:93], v[72:73], v[40:41]
	v_fma_f64 v[46:47], v[42:43], v[72:73], v[46:47]
	;; [unrolled: 1-line block ×4, first 2 shown]
	v_cvt_f64_f32_e32 v[76:77], v79
	s_waitcnt vmcnt(2)
	v_cvt_f64_f32_e32 v[70:71], v80
	v_cvt_f64_f32_e32 v[72:73], v81
	v_fma_f64 v[21:22], -v[23:24], v[74:75], v[21:22]
	v_fma_f64 v[23:24], v[68:69], v[74:75], v[34:35]
	v_fma_f64 v[17:18], -v[19:20], v[74:75], v[17:18]
	v_fma_f64 v[19:20], v[90:91], v[74:75], v[44:45]
	;; [unrolled: 2-line block ×4, first 2 shown]
	v_cvt_f64_f32_e32 v[68:69], v11
	v_cvt_f64_f32_e32 v[11:12], v12
	v_cvt_f64_f32_e32 v[74:75], v78
	v_cvt_f64_f32_e32 v[78:79], v82
	v_cvt_f64_f32_e32 v[80:81], v83
	s_waitcnt vmcnt(1)
	v_fma_f64 v[21:22], v[60:61], v[84:85], v[21:22]
	v_fma_f64 v[23:24], v[13:14], v[84:85], v[23:24]
	;; [unrolled: 1-line block ×8, first 2 shown]
	v_cvt_f64_f32_e32 v[40:41], v15
	v_cvt_f64_f32_e32 v[15:16], v16
	v_fma_f64 v[13:14], -v[13:14], v[86:87], v[21:22]
	v_fma_f64 v[21:22], v[60:61], v[86:87], v[23:24]
	v_fma_f64 v[9:10], -v[9:10], v[86:87], v[17:18]
	v_fma_f64 v[17:18], v[62:63], v[86:87], v[19:20]
	;; [unrolled: 2-line block ×4, first 2 shown]
	s_waitcnt vmcnt(0)
	v_fma_f64 v[13:14], v[40:41], v[56:57], v[13:14]
	v_fma_f64 v[21:22], v[15:16], v[56:57], v[21:22]
	;; [unrolled: 1-line block ×8, first 2 shown]
	v_fma_f64 v[46:47], -v[15:16], v[58:59], v[13:14]
	v_fma_f64 v[44:45], v[40:41], v[58:59], v[21:22]
	v_fma_f64 v[42:43], -v[11:12], v[58:59], v[9:10]
	v_fma_f64 v[34:35], v[68:69], v[58:59], v[17:18]
	;; [unrolled: 2-line block ×4, first 2 shown]
	s_andn2_b32 exec_lo, exec_lo, s9
	s_cbranch_execnz .LBB170_19
; %bb.20:
	s_or_b32 exec_lo, exec_lo, s9
.LBB170_21:
	s_or_b32 exec_lo, exec_lo, s8
.LBB170_22:
	s_or_b32 exec_lo, exec_lo, s3
	s_cbranch_execz .LBB170_24
	s_branch .LBB170_35
.LBB170_23:
                                        ; implicit-def: $vgpr44_vgpr45
                                        ; implicit-def: $vgpr46_vgpr47
                                        ; implicit-def: $vgpr34_vgpr35
                                        ; implicit-def: $vgpr42_vgpr43
                                        ; implicit-def: $vgpr38_vgpr39
                                        ; implicit-def: $vgpr40_vgpr41
                                        ; implicit-def: $vgpr36_vgpr37
                                        ; implicit-def: $vgpr32_vgpr33
.LBB170_24:
	v_mov_b32_e32 v44, 0
	v_mov_b32_e32 v46, 0
	;; [unrolled: 1-line block ×16, first 2 shown]
	s_and_saveexec_b32 s1, s0
	s_cbranch_execz .LBB170_34
; %bb.25:
	v_or_b32_e32 v9, 4, v0
	v_not_b32_e32 v13, v48
	v_not_b32_e32 v11, v49
	v_mov_b32_e32 v32, 0
	v_mov_b32_e32 v36, 0
	v_sub_co_u32 v9, s0, v9, s2
	v_sub_co_ci_u32_e64 v10, null, 0, 0, s0
	v_sub_co_u32 v14, s0, s2, v0
	v_add_co_u32 v9, vcc_lo, v9, v48
	v_add_co_ci_u32_e64 v10, null, v10, v49, vcc_lo
	v_sub_co_ci_u32_e64 v15, null, 0, 0, s0
	v_add_co_u32 v13, s0, v14, v13
	v_cmp_gt_i64_e32 vcc_lo, v[9:10], v[28:29]
	v_add_co_ci_u32_e64 v11, null, v15, v11, s0
	v_mov_b32_e32 v40, 0
	v_mov_b32_e32 v38, 0
	v_mov_b32_e32 v42, 0
	v_cndmask_b32_e32 v9, v28, v9, vcc_lo
	v_cndmask_b32_e32 v10, v29, v10, vcc_lo
	v_mov_b32_e32 v34, 0
	v_mov_b32_e32 v46, 0
	;; [unrolled: 1-line block ×3, first 2 shown]
	v_add_co_u32 v9, vcc_lo, v13, v9
	v_mov_b32_e32 v12, 0
	v_mov_b32_e32 v33, 0
	;; [unrolled: 1-line block ×4, first 2 shown]
	v_add_co_ci_u32_e64 v10, null, v11, v10, vcc_lo
	v_and_b32_e32 v11, 12, v9
	v_mov_b32_e32 v39, 0
	v_mov_b32_e32 v43, 0
	;; [unrolled: 1-line block ×5, first 2 shown]
	s_mov_b32 s3, exec_lo
	v_cmpx_ne_u64_e32 12, v[11:12]
	s_cbranch_execz .LBB170_29
; %bb.26:
	v_lshrrev_b32_e32 v13, 2, v9
	v_lshlrev_b64 v[11:12], 2, v[26:27]
	v_mov_b32_e32 v44, 0
	v_mov_b32_e32 v46, 0
	;; [unrolled: 1-line block ×3, first 2 shown]
	v_add_nc_u32_e32 v13, 1, v13
	v_mov_b32_e32 v42, 0
	v_add_co_u32 v11, vcc_lo, s12, v11
	v_mov_b32_e32 v38, 0
	v_and_b32_e32 v13, 3, v13
	v_mov_b32_e32 v40, 0
	v_mov_b32_e32 v36, 0
	;; [unrolled: 1-line block ×4, first 2 shown]
	v_sub_co_u32 v13, s0, 0, v13
	v_mov_b32_e32 v47, 0
	v_mov_b32_e32 v35, 0
	v_add_co_ci_u32_e64 v12, null, s13, v12, vcc_lo
	v_mov_b32_e32 v43, 0
	v_mov_b32_e32 v39, 0
	;; [unrolled: 1-line block ×5, first 2 shown]
	v_sub_co_ci_u32_e64 v14, null, 0, 0, s0
	s_mov_b32 s8, 0
.LBB170_27:                             ; =>This Inner Loop Header: Depth=1
	global_load_dword v23, v[11:12], off
	s_clause 0x1
	global_load_dwordx4 v[15:18], v[30:31], off offset:16
	global_load_dwordx4 v[19:22], v[30:31], off
	v_add_co_u32 v11, s0, v11, 16
	v_add_co_ci_u32_e64 v12, null, 0, v12, s0
	s_waitcnt vmcnt(2)
	v_subrev_nc_u32_e32 v23, s2, v23
	s_waitcnt vmcnt(1)
	v_cvt_f64_f32_e32 v[90:91], v15
	s_waitcnt vmcnt(0)
	v_cvt_f64_f32_e32 v[88:89], v21
	v_cvt_f64_f32_e32 v[21:22], v22
	;; [unrolled: 1-line block ×3, first 2 shown]
	v_lshlrev_b32_e32 v23, 2, v23
	v_cvt_f64_f32_e32 v[92:93], v17
	v_cvt_f64_f32_e32 v[17:18], v18
	v_ashrrev_i32_e32 v24, 31, v23
	v_lshlrev_b64 v[23:24], 4, v[23:24]
	v_add_co_u32 v23, vcc_lo, s6, v23
	v_add_co_ci_u32_e64 v24, null, s7, v24, vcc_lo
	s_clause 0x1
	global_load_dwordx4 v[48:51], v[23:24], off
	global_load_dwordx4 v[52:55], v[23:24], off offset:16
	s_clause 0x3
	global_load_dwordx4 v[56:59], v[30:31], off offset:32
	global_load_dwordx4 v[60:63], v[30:31], off offset:48
	global_load_dwordx4 v[64:67], v[30:31], off offset:64
	global_load_dwordx4 v[68:71], v[30:31], off offset:80
	s_clause 0x1
	global_load_dwordx4 v[72:75], v[23:24], off offset:32
	global_load_dwordx4 v[76:79], v[23:24], off offset:48
	s_clause 0x1
	global_load_dwordx4 v[80:83], v[30:31], off offset:96
	global_load_dwordx4 v[84:87], v[30:31], off offset:112
	v_cvt_f64_f32_e32 v[23:24], v19
	v_cvt_f64_f32_e32 v[19:20], v20
	v_add_co_u32 v30, vcc_lo, 0x200, v30
	v_add_co_ci_u32_e64 v31, null, 0, v31, vcc_lo
	v_add_co_u32 v13, vcc_lo, v13, 1
	v_add_co_ci_u32_e64 v14, null, 0, v14, vcc_lo
	;; [unrolled: 2-line block ×3, first 2 shown]
	v_cmp_eq_u64_e32 vcc_lo, 0, v[13:14]
	s_or_b32 s8, vcc_lo, s8
	s_waitcnt vmcnt(9)
	v_fma_f64 v[46:47], v[23:24], v[48:49], v[46:47]
	v_fma_f64 v[44:45], v[19:20], v[48:49], v[44:45]
	;; [unrolled: 1-line block ×8, first 2 shown]
	s_waitcnt vmcnt(7)
	v_cvt_f64_f32_e32 v[48:49], v56
	v_cvt_f64_f32_e32 v[56:57], v57
	;; [unrolled: 1-line block ×4, first 2 shown]
	s_waitcnt vmcnt(6)
	v_cvt_f64_f32_e32 v[96:97], v60
	v_cvt_f64_f32_e32 v[60:61], v61
	;; [unrolled: 1-line block ×4, first 2 shown]
	v_fma_f64 v[19:20], -v[19:20], v[50:51], v[46:47]
	v_fma_f64 v[23:24], v[23:24], v[50:51], v[44:45]
	v_fma_f64 v[21:22], -v[21:22], v[50:51], v[42:43]
	v_fma_f64 v[34:35], v[88:89], v[50:51], v[34:35]
	;; [unrolled: 2-line block ×4, first 2 shown]
	s_waitcnt vmcnt(5)
	v_cvt_f64_f32_e32 v[40:41], v65
	v_cvt_f64_f32_e32 v[42:43], v66
	;; [unrolled: 1-line block ×3, first 2 shown]
	s_waitcnt vmcnt(4)
	v_cvt_f64_f32_e32 v[46:47], v68
	v_cvt_f64_f32_e32 v[50:51], v69
	s_waitcnt vmcnt(0)
	v_cvt_f64_f32_e32 v[66:67], v86
	v_cvt_f64_f32_e32 v[68:69], v87
	v_fma_f64 v[19:20], v[48:49], v[52:53], v[19:20]
	v_fma_f64 v[23:24], v[56:57], v[52:53], v[23:24]
	;; [unrolled: 1-line block ×8, first 2 shown]
	v_cvt_f64_f32_e32 v[38:39], v64
	v_cvt_f64_f32_e32 v[52:53], v70
	;; [unrolled: 1-line block ×3, first 2 shown]
	v_fma_f64 v[19:20], -v[56:57], v[54:55], v[19:20]
	v_fma_f64 v[23:24], v[48:49], v[54:55], v[23:24]
	v_fma_f64 v[21:22], -v[58:59], v[54:55], v[21:22]
	v_fma_f64 v[34:35], v[94:95], v[54:55], v[34:35]
	;; [unrolled: 2-line block ×4, first 2 shown]
	v_cvt_f64_f32_e32 v[48:49], v80
	v_cvt_f64_f32_e32 v[54:55], v81
	;; [unrolled: 1-line block ×6, first 2 shown]
	v_fma_f64 v[19:20], v[38:39], v[72:73], v[19:20]
	v_fma_f64 v[23:24], v[40:41], v[72:73], v[23:24]
	v_fma_f64 v[21:22], v[42:43], v[72:73], v[21:22]
	v_fma_f64 v[34:35], v[44:45], v[72:73], v[34:35]
	v_fma_f64 v[15:16], v[46:47], v[72:73], v[15:16]
	v_fma_f64 v[36:37], v[50:51], v[72:73], v[36:37]
	v_fma_f64 v[17:18], v[52:53], v[72:73], v[17:18]
	v_fma_f64 v[32:33], v[64:65], v[72:73], v[32:33]
	v_fma_f64 v[19:20], -v[40:41], v[74:75], v[19:20]
	v_fma_f64 v[23:24], v[38:39], v[74:75], v[23:24]
	v_fma_f64 v[21:22], -v[44:45], v[74:75], v[21:22]
	v_fma_f64 v[34:35], v[42:43], v[74:75], v[34:35]
	v_fma_f64 v[15:16], -v[50:51], v[74:75], v[15:16]
	v_fma_f64 v[36:37], v[46:47], v[74:75], v[36:37]
	v_fma_f64 v[17:18], -v[64:65], v[74:75], v[17:18]
	v_fma_f64 v[32:33], v[52:53], v[74:75], v[32:33]
	v_fma_f64 v[19:20], v[48:49], v[76:77], v[19:20]
	v_fma_f64 v[23:24], v[54:55], v[76:77], v[23:24]
	;; [unrolled: 1-line block ×8, first 2 shown]
	v_fma_f64 v[46:47], -v[54:55], v[78:79], v[19:20]
	v_fma_f64 v[44:45], v[48:49], v[78:79], v[23:24]
	v_fma_f64 v[42:43], -v[58:59], v[78:79], v[21:22]
	v_fma_f64 v[34:35], v[56:57], v[78:79], v[34:35]
	;; [unrolled: 2-line block ×4, first 2 shown]
	s_andn2_b32 exec_lo, exec_lo, s8
	s_cbranch_execnz .LBB170_27
; %bb.28:
	s_or_b32 exec_lo, exec_lo, s8
.LBB170_29:
	s_or_b32 exec_lo, exec_lo, s3
	s_mov_b32 s3, exec_lo
	v_cmpx_lt_u64_e32 11, v[9:10]
	s_cbranch_execz .LBB170_33
; %bb.30:
	v_lshlrev_b64 v[9:10], 2, v[26:27]
	s_mov_b32 s8, 0
	v_add_co_u32 v9, vcc_lo, s12, v9
	v_add_co_ci_u32_e64 v10, null, s13, v10, vcc_lo
	v_add_co_u32 v9, vcc_lo, v9, 32
	v_add_co_ci_u32_e64 v10, null, 0, v10, vcc_lo
.LBB170_31:                             ; =>This Inner Loop Header: Depth=1
	s_clause 0x1
	global_load_dword v23, v[9:10], off offset:-32
	global_load_dword v92, v[9:10], off offset:-16
	s_clause 0x4
	global_load_dwordx4 v[11:14], v[30:31], off
	global_load_dwordx4 v[15:18], v[30:31], off offset:16
	global_load_dwordx4 v[19:22], v[30:31], off offset:32
	;; [unrolled: 1-line block ×4, first 2 shown]
	s_clause 0x1
	global_load_dword v174, v[9:10], off
	global_load_dword v175, v[9:10], off offset:16
	v_add_co_u32 v9, s0, v9, 64
	v_add_co_ci_u32_e64 v10, null, 0, v10, s0
	s_waitcnt vmcnt(8)
	v_subrev_nc_u32_e32 v23, s2, v23
	s_waitcnt vmcnt(7)
	v_subrev_nc_u32_e32 v92, s2, v92
	s_waitcnt vmcnt(6)
	v_cvt_f64_f32_e32 v[136:137], v11
	v_cvt_f64_f32_e32 v[138:139], v12
	;; [unrolled: 1-line block ×3, first 2 shown]
	v_lshlrev_b32_e32 v23, 2, v23
	v_lshlrev_b32_e32 v92, 2, v92
	v_cvt_f64_f32_e32 v[142:143], v14
	s_waitcnt vmcnt(5)
	v_cvt_f64_f32_e32 v[144:145], v15
	v_cvt_f64_f32_e32 v[146:147], v16
	v_ashrrev_i32_e32 v24, 31, v23
	v_ashrrev_i32_e32 v93, 31, v92
	v_cvt_f64_f32_e32 v[148:149], v17
	v_cvt_f64_f32_e32 v[150:151], v18
	s_waitcnt vmcnt(4)
	v_cvt_f64_f32_e32 v[152:153], v19
	v_lshlrev_b64 v[23:24], 4, v[23:24]
	v_lshlrev_b64 v[96:97], 4, v[92:93]
	v_cvt_f64_f32_e32 v[154:155], v20
	v_cvt_f64_f32_e32 v[156:157], v21
	;; [unrolled: 1-line block ×3, first 2 shown]
	s_waitcnt vmcnt(2)
	v_cvt_f64_f32_e32 v[166:167], v54
	v_add_co_u32 v23, vcc_lo, s6, v23
	v_add_co_ci_u32_e64 v24, null, s7, v24, vcc_lo
	s_waitcnt vmcnt(1)
	v_subrev_nc_u32_e32 v54, s2, v174
	v_cvt_f64_f32_e32 v[160:161], v48
	v_cvt_f64_f32_e32 v[48:49], v49
	global_load_dwordx4 v[56:59], v[23:24], off
	global_load_dwordx4 v[60:63], v[30:31], off offset:80
	global_load_dwordx4 v[64:67], v[23:24], off offset:16
	s_clause 0x1
	global_load_dwordx4 v[68:71], v[30:31], off offset:96
	global_load_dwordx4 v[72:75], v[30:31], off offset:112
	;; [unrolled: 1-line block ×3, first 2 shown]
	s_clause 0x2
	global_load_dwordx4 v[80:83], v[30:31], off offset:512
	global_load_dwordx4 v[84:87], v[30:31], off offset:528
	global_load_dwordx4 v[88:91], v[30:31], off offset:544
	global_load_dwordx4 v[92:95], v[23:24], off offset:48
	v_add_co_u32 v23, vcc_lo, s6, v96
	v_add_co_ci_u32_e64 v24, null, s7, v97, vcc_lo
	v_cvt_f64_f32_e32 v[162:163], v50
	global_load_dwordx4 v[96:99], v[23:24], off
	global_load_dwordx4 v[100:103], v[30:31], off offset:560
	global_load_dwordx4 v[104:107], v[23:24], off offset:16
	s_clause 0x6
	global_load_dwordx4 v[108:111], v[30:31], off offset:576
	global_load_dwordx4 v[112:115], v[30:31], off offset:592
	;; [unrolled: 1-line block ×8, first 2 shown]
	v_cvt_f64_f32_e32 v[50:51], v51
	v_cvt_f64_f32_e32 v[168:169], v55
	;; [unrolled: 1-line block ×4, first 2 shown]
	s_waitcnt vmcnt(20)
	v_fma_f64 v[15:16], v[136:137], v[56:57], v[46:47]
	v_fma_f64 v[19:20], v[138:139], v[56:57], v[44:45]
	;; [unrolled: 1-line block ×6, first 2 shown]
	s_waitcnt vmcnt(19)
	v_cvt_f64_f32_e32 v[170:171], v60
	v_cvt_f64_f32_e32 v[60:61], v61
	;; [unrolled: 1-line block ×4, first 2 shown]
	v_fma_f64 v[44:45], -v[138:139], v[58:59], v[15:16]
	global_load_dwordx4 v[15:18], v[23:24], off offset:48
	v_fma_f64 v[23:24], v[142:143], v[56:57], v[34:35]
	v_fma_f64 v[34:35], v[144:145], v[56:57], v[40:41]
	v_lshlrev_b32_e32 v40, 2, v54
	v_fma_f64 v[42:43], v[136:137], v[58:59], v[19:20]
	v_fma_f64 v[46:47], -v[142:143], v[58:59], v[21:22]
	v_fma_f64 v[38:39], v[144:145], v[58:59], v[38:39]
	v_fma_f64 v[56:57], -v[150:151], v[58:59], v[32:33]
	v_ashrrev_i32_e32 v41, 31, v40
	v_fma_f64 v[36:37], v[148:149], v[58:59], v[36:37]
	global_load_dwordx4 v[19:22], v[30:31], off offset:1072
	s_waitcnt vmcnt(19)
	v_cvt_f64_f32_e32 v[138:139], v70
	v_cvt_f64_f32_e32 v[70:71], v71
	v_lshlrev_b64 v[40:41], 4, v[40:41]
	s_waitcnt vmcnt(18)
	v_cvt_f64_f32_e32 v[148:149], v74
	v_cvt_f64_f32_e32 v[74:75], v75
	v_add_co_u32 v136, vcc_lo, s6, v40
	v_add_co_ci_u32_e64 v137, null, s7, v41, vcc_lo
	v_fma_f64 v[23:24], v[140:141], v[58:59], v[23:24]
	v_fma_f64 v[54:55], -v[146:147], v[58:59], v[34:35]
	v_fma_f64 v[40:41], v[152:153], v[64:65], v[44:45]
	global_load_dwordx4 v[32:35], v[136:137], off
	v_fma_f64 v[42:43], v[154:155], v[64:65], v[42:43]
	v_fma_f64 v[44:45], v[156:157], v[64:65], v[46:47]
	;; [unrolled: 1-line block ×3, first 2 shown]
	v_cvt_f64_f32_e32 v[146:147], v72
	v_fma_f64 v[58:59], v[50:51], v[64:65], v[36:37]
	v_cvt_f64_f32_e32 v[72:73], v73
	v_fma_f64 v[23:24], v[158:159], v[64:65], v[23:24]
	v_fma_f64 v[46:47], v[160:161], v[64:65], v[54:55]
	;; [unrolled: 1-line block ×3, first 2 shown]
	v_fma_f64 v[140:141], -v[154:155], v[66:67], v[40:41]
	v_fma_f64 v[142:143], v[152:153], v[66:67], v[42:43]
	v_fma_f64 v[144:145], -v[158:159], v[66:67], v[44:45]
	v_fma_f64 v[50:51], -v[50:51], v[66:67], v[56:57]
	global_load_dwordx4 v[36:39], v[30:31], off offset:1088
	v_fma_f64 v[56:57], v[162:163], v[66:67], v[58:59]
	global_load_dwordx4 v[40:43], v[30:31], off offset:1104
	v_cvt_f64_f32_e32 v[64:65], v68
	v_cvt_f64_f32_e32 v[68:69], v69
	s_waitcnt vmcnt(19)
	v_cvt_f64_f32_e32 v[152:153], v82
	v_cvt_f64_f32_e32 v[82:83], v83
	v_fma_f64 v[23:24], v[156:157], v[66:67], v[23:24]
	v_fma_f64 v[48:49], -v[48:49], v[66:67], v[46:47]
	v_fma_f64 v[54:55], v[160:161], v[66:67], v[54:55]
	global_load_dwordx4 v[44:47], v[136:137], off offset:16
	v_fma_f64 v[58:59], v[164:165], v[76:77], v[140:141]
	v_fma_f64 v[66:67], v[52:53], v[76:77], v[142:143]
	;; [unrolled: 1-line block ×5, first 2 shown]
	s_waitcnt vmcnt(19)
	v_cvt_f64_f32_e32 v[156:157], v84
	v_cvt_f64_f32_e32 v[84:85], v85
	s_waitcnt vmcnt(18)
	v_cvt_f64_f32_e32 v[160:161], v90
	v_cvt_f64_f32_e32 v[90:91], v91
	v_fma_f64 v[23:24], v[168:169], v[76:77], v[23:24]
	v_fma_f64 v[142:143], v[170:171], v[76:77], v[48:49]
	;; [unrolled: 1-line block ×3, first 2 shown]
	global_load_dwordx4 v[48:51], v[30:31], off offset:1120
	v_fma_f64 v[154:155], -v[52:53], v[78:79], v[58:59]
	v_fma_f64 v[66:67], v[164:165], v[78:79], v[66:67]
	v_fma_f64 v[140:141], -v[168:169], v[78:79], v[140:141]
	v_fma_f64 v[62:63], -v[62:63], v[78:79], v[150:151]
	global_load_dwordx4 v[52:55], v[30:31], off offset:1136
	v_cvt_f64_f32_e32 v[76:77], v80
	v_cvt_f64_f32_e32 v[80:81], v81
	s_waitcnt vmcnt(17)
	v_cvt_f64_f32_e32 v[164:165], v100
	v_cvt_f64_f32_e32 v[100:101], v101
	v_fma_f64 v[23:24], v[166:167], v[78:79], v[23:24]
	v_fma_f64 v[60:61], -v[60:61], v[78:79], v[142:143]
	v_fma_f64 v[142:143], v[170:171], v[78:79], v[144:145]
	v_fma_f64 v[78:79], v[172:173], v[78:79], v[56:57]
	global_load_dwordx4 v[56:59], v[136:137], off offset:32
	v_fma_f64 v[150:151], v[64:65], v[92:93], v[154:155]
	v_fma_f64 v[66:67], v[68:69], v[92:93], v[66:67]
	;; [unrolled: 1-line block ×4, first 2 shown]
	v_cvt_f64_f32_e32 v[144:145], v86
	v_cvt_f64_f32_e32 v[86:87], v87
	v_fma_f64 v[23:24], v[70:71], v[92:93], v[23:24]
	v_fma_f64 v[154:155], v[146:147], v[92:93], v[60:61]
	;; [unrolled: 1-line block ×4, first 2 shown]
	global_load_dwordx4 v[60:63], v[30:31], off offset:1552
	v_fma_f64 v[150:151], -v[68:69], v[94:95], v[150:151]
	v_fma_f64 v[162:163], v[64:65], v[94:95], v[66:67]
	v_fma_f64 v[140:141], -v[70:71], v[94:95], v[140:141]
	v_fma_f64 v[74:75], -v[74:75], v[94:95], v[158:159]
	v_subrev_nc_u32_e32 v68, s2, v175
	global_load_dwordx4 v[64:67], v[30:31], off offset:1536
	v_cvt_f64_f32_e32 v[92:93], v88
	v_cvt_f64_f32_e32 v[88:89], v89
	v_fma_f64 v[23:24], v[138:139], v[94:95], v[23:24]
	v_fma_f64 v[72:73], -v[72:73], v[94:95], v[154:155]
	v_fma_f64 v[142:143], v[146:147], v[94:95], v[142:143]
	v_fma_f64 v[78:79], v[148:149], v[94:95], v[78:79]
	v_cvt_f64_f32_e32 v[138:139], v102
	v_lshlrev_b32_e32 v102, 2, v68
	global_load_dwordx4 v[68:71], v[136:137], off offset:48
	v_fma_f64 v[136:137], v[76:77], v[96:97], v[150:151]
	v_fma_f64 v[146:147], v[80:81], v[96:97], v[162:163]
	;; [unrolled: 1-line block ×4, first 2 shown]
	v_cvt_f64_f32_e32 v[94:95], v103
	v_ashrrev_i32_e32 v103, 31, v102
	s_waitcnt vmcnt(18)
	v_cvt_f64_f32_e32 v[148:149], v114
	v_cvt_f64_f32_e32 v[114:115], v115
	s_waitcnt vmcnt(17)
	v_cvt_f64_f32_e32 v[150:151], v118
	v_cvt_f64_f32_e32 v[118:119], v119
	;; [unrolled: 3-line block ×3, first 2 shown]
	v_fma_f64 v[23:24], v[82:83], v[96:97], v[23:24]
	v_fma_f64 v[72:73], v[156:157], v[96:97], v[72:73]
	;; [unrolled: 1-line block ×4, first 2 shown]
	v_lshlrev_b64 v[96:97], 4, v[102:103]
	v_fma_f64 v[80:81], -v[80:81], v[98:99], v[136:137]
	v_fma_f64 v[102:103], v[76:77], v[98:99], v[146:147]
	v_fma_f64 v[82:83], -v[82:83], v[98:99], v[140:141]
	v_fma_f64 v[86:87], -v[86:87], v[98:99], v[74:75]
	v_add_co_u32 v96, vcc_lo, s6, v96
	v_add_co_ci_u32_e64 v97, null, s7, v97, vcc_lo
	v_cvt_f64_f32_e32 v[146:147], v112
	v_cvt_f64_f32_e32 v[112:113], v113
	v_add_co_u32 v26, vcc_lo, v26, 16
	v_add_co_ci_u32_e64 v27, null, 0, v27, vcc_lo
	v_fma_f64 v[23:24], v[152:153], v[98:99], v[23:24]
	v_fma_f64 v[84:85], -v[84:85], v[98:99], v[72:73]
	v_fma_f64 v[136:137], v[156:157], v[98:99], v[142:143]
	v_fma_f64 v[98:99], v[144:145], v[98:99], v[78:79]
	global_load_dwordx4 v[72:75], v[96:97], off
	global_load_dwordx4 v[76:79], v[30:31], off offset:1568
	v_cvt_f64_f32_e32 v[144:145], v110
	v_cvt_f64_f32_e32 v[110:111], v111
	v_fma_f64 v[140:141], v[92:93], v[104:105], v[80:81]
	v_fma_f64 v[102:103], v[88:89], v[104:105], v[102:103]
	;; [unrolled: 1-line block ×4, first 2 shown]
	global_load_dwordx4 v[80:83], v[30:31], off offset:1584
	v_cvt_f64_f32_e32 v[152:153], v120
	v_cvt_f64_f32_e32 v[120:121], v121
	v_fma_f64 v[23:24], v[90:91], v[104:105], v[23:24]
	v_fma_f64 v[84:85], v[164:165], v[104:105], v[84:85]
	v_fma_f64 v[136:137], v[100:101], v[104:105], v[136:137]
	v_fma_f64 v[98:99], v[94:95], v[104:105], v[98:99]
	v_cvt_f64_f32_e32 v[104:105], v108
	v_cvt_f64_f32_e32 v[108:109], v109
	v_fma_f64 v[140:141], -v[88:89], v[106:107], v[140:141]
	v_fma_f64 v[92:93], v[92:93], v[106:107], v[102:103]
	v_fma_f64 v[102:103], -v[90:91], v[106:107], v[142:143]
	v_fma_f64 v[94:95], -v[94:95], v[106:107], v[86:87]
	v_cvt_f64_f32_e32 v[142:143], v116
	v_cvt_f64_f32_e32 v[116:117], v117
	v_fma_f64 v[23:24], v[160:161], v[106:107], v[23:24]
	v_fma_f64 v[100:101], -v[100:101], v[106:107], v[84:85]
	v_fma_f64 v[136:137], v[164:165], v[106:107], v[136:137]
	v_fma_f64 v[98:99], v[138:139], v[106:107], v[98:99]
	global_load_dwordx4 v[84:87], v[96:97], off offset:16
	global_load_dwordx4 v[88:91], v[30:31], off offset:1600
	s_waitcnt vmcnt(17)
	v_fma_f64 v[106:107], v[104:105], v[11:12], v[140:141]
	v_fma_f64 v[138:139], v[108:109], v[11:12], v[92:93]
	v_fma_f64 v[102:103], v[144:145], v[11:12], v[102:103]
	v_fma_f64 v[140:141], v[148:149], v[11:12], v[94:95]
	global_load_dwordx4 v[92:95], v[30:31], off offset:1616
	v_fma_f64 v[23:24], v[110:111], v[11:12], v[23:24]
	v_fma_f64 v[100:101], v[146:147], v[11:12], v[100:101]
	v_fma_f64 v[136:137], v[112:113], v[11:12], v[136:137]
	v_fma_f64 v[11:12], v[114:115], v[11:12], v[98:99]
	v_fma_f64 v[106:107], -v[108:109], v[13:14], v[106:107]
	v_fma_f64 v[104:105], v[104:105], v[13:14], v[138:139]
	v_fma_f64 v[108:109], -v[110:111], v[13:14], v[102:103]
	v_fma_f64 v[114:115], -v[114:115], v[13:14], v[140:141]
	v_fma_f64 v[23:24], v[144:145], v[13:14], v[23:24]
	v_fma_f64 v[110:111], -v[112:113], v[13:14], v[100:101]
	v_fma_f64 v[112:113], v[146:147], v[13:14], v[136:137]
	v_fma_f64 v[136:137], v[148:149], v[13:14], v[11:12]
	s_clause 0x1
	global_load_dwordx4 v[11:14], v[96:97], off offset:32
	global_load_dwordx4 v[96:99], v[96:97], off offset:48
	;; [unrolled: 1-line block ×3, first 2 shown]
	v_cvt_f64_f32_e32 v[144:145], v126
	v_cvt_f64_f32_e32 v[126:127], v127
	;; [unrolled: 1-line block ×6, first 2 shown]
	s_waitcnt vmcnt(20)
	v_fma_f64 v[138:139], v[142:143], v[15:16], v[106:107]
	v_fma_f64 v[140:141], v[116:117], v[15:16], v[104:105]
	;; [unrolled: 1-line block ×8, first 2 shown]
	global_load_dwordx4 v[104:107], v[30:31], off offset:1648
	v_cvt_f64_f32_e32 v[136:137], v124
	v_cvt_f64_f32_e32 v[124:125], v125
	v_add_co_u32 v30, vcc_lo, 0x800, v30
	v_add_co_ci_u32_e64 v31, null, 0, v31, vcc_lo
	v_cmp_ge_i64_e32 vcc_lo, v[26:27], v[28:29]
	s_or_b32 s8, vcc_lo, s8
	v_fma_f64 v[116:117], -v[116:117], v[17:18], v[138:139]
	v_fma_f64 v[138:139], v[142:143], v[17:18], v[140:141]
	v_fma_f64 v[108:109], -v[118:119], v[17:18], v[108:109]
	v_fma_f64 v[23:24], v[150:151], v[17:18], v[23:24]
	;; [unrolled: 2-line block ×4, first 2 shown]
	v_cvt_f64_f32_e32 v[118:119], v133
	v_cvt_f64_f32_e32 v[120:121], v134
	;; [unrolled: 1-line block ×3, first 2 shown]
	s_waitcnt vmcnt(20)
	v_cvt_f64_f32_e32 v[134:135], v21
	v_cvt_f64_f32_e32 v[21:22], v22
	s_waitcnt vmcnt(19)
	v_fma_f64 v[17:18], v[136:137], v[32:33], v[116:117]
	v_fma_f64 v[116:117], v[124:125], v[32:33], v[138:139]
	;; [unrolled: 1-line block ×8, first 2 shown]
	v_cvt_f64_f32_e32 v[32:33], v132
	v_cvt_f64_f32_e32 v[132:133], v19
	;; [unrolled: 1-line block ×3, first 2 shown]
	v_fma_f64 v[17:18], -v[124:125], v[34:35], v[17:18]
	v_fma_f64 v[116:117], v[136:137], v[34:35], v[116:117]
	v_fma_f64 v[108:109], -v[126:127], v[34:35], v[108:109]
	v_fma_f64 v[23:24], v[144:145], v[34:35], v[23:24]
	;; [unrolled: 2-line block ×4, first 2 shown]
	s_waitcnt vmcnt(17)
	v_cvt_f64_f32_e32 v[124:125], v40
	v_cvt_f64_f32_e32 v[40:41], v41
	;; [unrolled: 1-line block ×4, first 2 shown]
	s_waitcnt vmcnt(16)
	v_fma_f64 v[17:18], v[32:33], v[44:45], v[17:18]
	v_fma_f64 v[34:35], v[118:119], v[44:45], v[116:117]
	;; [unrolled: 1-line block ×8, first 2 shown]
	v_cvt_f64_f32_e32 v[44:45], v36
	v_cvt_f64_f32_e32 v[36:37], v37
	;; [unrolled: 1-line block ×4, first 2 shown]
	v_fma_f64 v[17:18], -v[118:119], v[46:47], v[17:18]
	v_fma_f64 v[32:33], v[32:33], v[46:47], v[34:35]
	v_fma_f64 v[34:35], -v[122:123], v[46:47], v[108:109]
	v_fma_f64 v[23:24], v[120:121], v[46:47], v[23:24]
	;; [unrolled: 2-line block ×4, first 2 shown]
	s_waitcnt vmcnt(14)
	v_cvt_f64_f32_e32 v[110:111], v52
	v_cvt_f64_f32_e32 v[52:53], v53
	;; [unrolled: 1-line block ×4, first 2 shown]
	s_waitcnt vmcnt(13)
	v_fma_f64 v[17:18], v[44:45], v[56:57], v[17:18]
	v_fma_f64 v[32:33], v[36:37], v[56:57], v[32:33]
	;; [unrolled: 1-line block ×8, first 2 shown]
	v_cvt_f64_f32_e32 v[56:57], v48
	v_cvt_f64_f32_e32 v[48:49], v49
	;; [unrolled: 1-line block ×4, first 2 shown]
	v_fma_f64 v[17:18], -v[36:37], v[58:59], v[17:18]
	v_fma_f64 v[32:33], v[44:45], v[58:59], v[32:33]
	v_fma_f64 v[34:35], -v[38:39], v[58:59], v[34:35]
	v_fma_f64 v[23:24], v[116:117], v[58:59], v[23:24]
	;; [unrolled: 2-line block ×4, first 2 shown]
	s_waitcnt vmcnt(11)
	v_cvt_f64_f32_e32 v[38:39], v64
	v_cvt_f64_f32_e32 v[40:41], v65
	;; [unrolled: 1-line block ×8, first 2 shown]
	s_waitcnt vmcnt(10)
	v_fma_f64 v[17:18], v[56:57], v[68:69], v[17:18]
	v_fma_f64 v[32:33], v[48:49], v[68:69], v[32:33]
	;; [unrolled: 1-line block ×8, first 2 shown]
	v_fma_f64 v[17:18], -v[48:49], v[70:71], v[17:18]
	v_fma_f64 v[32:33], v[56:57], v[70:71], v[32:33]
	v_fma_f64 v[34:35], -v[50:51], v[70:71], v[34:35]
	v_fma_f64 v[23:24], v[108:109], v[70:71], v[23:24]
	;; [unrolled: 2-line block ×4, first 2 shown]
	s_waitcnt vmcnt(8)
	v_cvt_f64_f32_e32 v[48:49], v76
	v_cvt_f64_f32_e32 v[50:51], v77
	;; [unrolled: 1-line block ×4, first 2 shown]
	s_waitcnt vmcnt(7)
	v_cvt_f64_f32_e32 v[56:57], v80
	v_cvt_f64_f32_e32 v[64:65], v81
	;; [unrolled: 1-line block ×4, first 2 shown]
	v_fma_f64 v[17:18], v[38:39], v[72:73], v[17:18]
	v_fma_f64 v[32:33], v[40:41], v[72:73], v[32:33]
	;; [unrolled: 1-line block ×8, first 2 shown]
	v_fma_f64 v[17:18], -v[40:41], v[74:75], v[17:18]
	v_fma_f64 v[32:33], v[38:39], v[74:75], v[32:33]
	v_fma_f64 v[34:35], -v[44:45], v[74:75], v[34:35]
	v_fma_f64 v[23:24], v[42:43], v[74:75], v[23:24]
	;; [unrolled: 2-line block ×4, first 2 shown]
	s_waitcnt vmcnt(5)
	v_cvt_f64_f32_e32 v[38:39], v88
	v_cvt_f64_f32_e32 v[40:41], v89
	;; [unrolled: 1-line block ×4, first 2 shown]
	s_waitcnt vmcnt(4)
	v_cvt_f64_f32_e32 v[46:47], v92
	v_cvt_f64_f32_e32 v[58:59], v93
	;; [unrolled: 1-line block ×4, first 2 shown]
	v_fma_f64 v[17:18], v[48:49], v[84:85], v[17:18]
	v_fma_f64 v[32:33], v[50:51], v[84:85], v[32:33]
	;; [unrolled: 1-line block ×8, first 2 shown]
	v_fma_f64 v[17:18], -v[50:51], v[86:87], v[17:18]
	v_fma_f64 v[32:33], v[48:49], v[86:87], v[32:33]
	v_fma_f64 v[34:35], -v[54:55], v[86:87], v[34:35]
	v_fma_f64 v[23:24], v[52:53], v[86:87], v[23:24]
	;; [unrolled: 2-line block ×4, first 2 shown]
	s_waitcnt vmcnt(1)
	v_cvt_f64_f32_e32 v[48:49], v101
	v_cvt_f64_f32_e32 v[50:51], v102
	v_cvt_f64_f32_e32 v[52:53], v103
	v_fma_f64 v[17:18], v[38:39], v[11:12], v[17:18]
	v_fma_f64 v[32:33], v[40:41], v[11:12], v[32:33]
	;; [unrolled: 1-line block ×8, first 2 shown]
	v_cvt_f64_f32_e32 v[15:16], v100
	s_waitcnt vmcnt(0)
	v_cvt_f64_f32_e32 v[54:55], v104
	v_cvt_f64_f32_e32 v[56:57], v105
	;; [unrolled: 1-line block ×4, first 2 shown]
	v_fma_f64 v[17:18], -v[40:41], v[13:14], v[17:18]
	v_fma_f64 v[32:33], v[38:39], v[13:14], v[32:33]
	v_fma_f64 v[34:35], -v[44:45], v[13:14], v[34:35]
	v_fma_f64 v[23:24], v[42:43], v[13:14], v[23:24]
	;; [unrolled: 2-line block ×4, first 2 shown]
	v_fma_f64 v[13:14], v[15:16], v[96:97], v[17:18]
	v_fma_f64 v[17:18], v[48:49], v[96:97], v[32:33]
	;; [unrolled: 1-line block ×8, first 2 shown]
	v_fma_f64 v[46:47], -v[48:49], v[98:99], v[13:14]
	v_fma_f64 v[44:45], v[15:16], v[98:99], v[17:18]
	v_fma_f64 v[42:43], -v[52:53], v[98:99], v[32:33]
	v_fma_f64 v[34:35], v[50:51], v[98:99], v[23:24]
	;; [unrolled: 2-line block ×4, first 2 shown]
	s_andn2_b32 exec_lo, exec_lo, s8
	s_cbranch_execnz .LBB170_31
; %bb.32:
	s_or_b32 exec_lo, exec_lo, s8
.LBB170_33:
	s_or_b32 exec_lo, exec_lo, s3
.LBB170_34:
	s_or_b32 exec_lo, exec_lo, s1
.LBB170_35:
	v_mbcnt_lo_u32_b32 v30, -1, 0
	v_xor_b32_e32 v9, 2, v30
	v_xor_b32_e32 v31, 1, v30
	v_cmp_gt_i32_e32 vcc_lo, 32, v9
	v_cndmask_b32_e32 v9, v30, v9, vcc_lo
	v_cmp_gt_i32_e32 vcc_lo, 32, v31
	v_lshlrev_b32_e32 v23, 2, v9
	v_cndmask_b32_e32 v30, v30, v31, vcc_lo
	v_cmp_eq_u32_e32 vcc_lo, 3, v0
	ds_bpermute_b32 v9, v23, v46
	ds_bpermute_b32 v10, v23, v47
	;; [unrolled: 1-line block ×16, first 2 shown]
	s_waitcnt lgkmcnt(14)
	v_add_f64 v[9:10], v[46:47], v[9:10]
	s_waitcnt lgkmcnt(12)
	v_add_f64 v[28:29], v[44:45], v[11:12]
	;; [unrolled: 2-line block ×4, first 2 shown]
	v_lshlrev_b32_e32 v35, 2, v30
	s_waitcnt lgkmcnt(6)
	v_add_f64 v[13:14], v[40:41], v[17:18]
	s_waitcnt lgkmcnt(4)
	v_add_f64 v[17:18], v[38:39], v[19:20]
	;; [unrolled: 2-line block ×4, first 2 shown]
	ds_bpermute_b32 v21, v35, v9
	ds_bpermute_b32 v22, v35, v10
	;; [unrolled: 1-line block ×16, first 2 shown]
	s_and_b32 exec_lo, exec_lo, vcc_lo
	s_cbranch_execz .LBB170_8
; %bb.36:
	s_waitcnt lgkmcnt(12)
	v_add_f64 v[28:29], v[28:29], v[40:41]
	s_waitcnt lgkmcnt(8)
	v_add_f64 v[23:24], v[23:24], v[38:39]
	;; [unrolled: 2-line block ×4, first 2 shown]
	v_add_f64 v[9:10], v[9:10], v[21:22]
	v_add_f64 v[11:12], v[11:12], v[26:27]
	;; [unrolled: 1-line block ×4, first 2 shown]
	v_cmp_eq_f64_e32 vcc_lo, 0, v[1:2]
	v_cmp_eq_f64_e64 s0, 0, v[3:4]
	s_load_dwordx2 s[2:3], s[4:5], 0x60
	v_mul_f64 v[13:14], v[28:29], -v[7:8]
	v_mul_f64 v[15:16], v[5:6], v[28:29]
	v_mul_f64 v[28:29], v[23:24], -v[7:8]
	v_mul_f64 v[23:24], v[5:6], v[23:24]
	;; [unrolled: 2-line block ×4, first 2 shown]
	s_and_b32 s0, vcc_lo, s0
	v_fma_f64 v[17:18], v[5:6], v[9:10], v[13:14]
	v_fma_f64 v[19:20], v[7:8], v[9:10], v[15:16]
	;; [unrolled: 1-line block ×8, first 2 shown]
	v_lshlrev_b32_e32 v21, 2, v25
	s_and_saveexec_b32 s1, s0
	s_xor_b32 s0, exec_lo, s1
	s_cbranch_execz .LBB170_38
; %bb.37:
	v_ashrrev_i32_e32 v22, 31, v21
	v_lshlrev_b64 v[0:1], 4, v[21:22]
                                        ; implicit-def: $vgpr21
	s_waitcnt lgkmcnt(0)
	v_add_co_u32 v0, vcc_lo, s2, v0
	v_add_co_ci_u32_e64 v1, null, s3, v1, vcc_lo
	global_store_dwordx4 v[0:1], v[17:20], off
	global_store_dwordx4 v[0:1], v[13:16], off offset:16
	global_store_dwordx4 v[0:1], v[9:12], off offset:32
	;; [unrolled: 1-line block ×3, first 2 shown]
                                        ; implicit-def: $vgpr3_vgpr4
                                        ; implicit-def: $vgpr17_vgpr18
                                        ; implicit-def: $vgpr13_vgpr14
                                        ; implicit-def: $vgpr9_vgpr10
                                        ; implicit-def: $vgpr5_vgpr6
.LBB170_38:
	s_andn2_saveexec_b32 s0, s0
	s_cbranch_execz .LBB170_8
; %bb.39:
	v_ashrrev_i32_e32 v22, 31, v21
	v_lshlrev_b64 v[21:22], 4, v[21:22]
	s_waitcnt lgkmcnt(0)
	v_add_co_u32 v37, vcc_lo, s2, v21
	v_add_co_ci_u32_e64 v38, null, s3, v22, vcc_lo
	s_clause 0x3
	global_load_dwordx4 v[21:24], v[37:38], off
	global_load_dwordx4 v[25:28], v[37:38], off offset:16
	global_load_dwordx4 v[29:32], v[37:38], off offset:32
	;; [unrolled: 1-line block ×3, first 2 shown]
	s_waitcnt vmcnt(3)
	v_fma_f64 v[17:18], v[1:2], v[21:22], v[17:18]
	v_fma_f64 v[19:20], v[3:4], v[21:22], v[19:20]
	s_waitcnt vmcnt(2)
	v_fma_f64 v[13:14], v[1:2], v[25:26], v[13:14]
	v_fma_f64 v[15:16], v[3:4], v[25:26], v[15:16]
	;; [unrolled: 3-line block ×4, first 2 shown]
	v_fma_f64 v[5:6], -v[3:4], v[23:24], v[17:18]
	v_fma_f64 v[7:8], v[1:2], v[23:24], v[19:20]
	v_fma_f64 v[9:10], -v[3:4], v[27:28], v[13:14]
	v_fma_f64 v[11:12], v[1:2], v[27:28], v[15:16]
	;; [unrolled: 2-line block ×4, first 2 shown]
	global_store_dwordx4 v[37:38], v[5:8], off
	global_store_dwordx4 v[37:38], v[9:12], off offset:16
	global_store_dwordx4 v[37:38], v[13:16], off offset:32
	;; [unrolled: 1-line block ×3, first 2 shown]
	s_endpgm
	.section	.rodata,"a",@progbits
	.p2align	6, 0x0
	.amdhsa_kernel _ZN9rocsparseL18bsrxmvn_4x4_kernelILj128ELj4E21rocsparse_complex_numIdEliS1_IfES2_S2_EEvT3_20rocsparse_direction_NS_24const_host_device_scalarIT1_EES4_PKS4_PKT2_SD_SA_PKT4_PKT5_S8_PT6_21rocsparse_index_base_b
		.amdhsa_group_segment_fixed_size 0
		.amdhsa_private_segment_fixed_size 0
		.amdhsa_kernarg_size 112
		.amdhsa_user_sgpr_count 6
		.amdhsa_user_sgpr_private_segment_buffer 1
		.amdhsa_user_sgpr_dispatch_ptr 0
		.amdhsa_user_sgpr_queue_ptr 0
		.amdhsa_user_sgpr_kernarg_segment_ptr 1
		.amdhsa_user_sgpr_dispatch_id 0
		.amdhsa_user_sgpr_flat_scratch_init 0
		.amdhsa_user_sgpr_private_segment_size 0
		.amdhsa_wavefront_size32 1
		.amdhsa_uses_dynamic_stack 0
		.amdhsa_system_sgpr_private_segment_wavefront_offset 0
		.amdhsa_system_sgpr_workgroup_id_x 1
		.amdhsa_system_sgpr_workgroup_id_y 0
		.amdhsa_system_sgpr_workgroup_id_z 0
		.amdhsa_system_sgpr_workgroup_info 0
		.amdhsa_system_vgpr_workitem_id 0
		.amdhsa_next_free_vgpr 205
		.amdhsa_next_free_sgpr 16
		.amdhsa_reserve_vcc 1
		.amdhsa_reserve_flat_scratch 0
		.amdhsa_float_round_mode_32 0
		.amdhsa_float_round_mode_16_64 0
		.amdhsa_float_denorm_mode_32 3
		.amdhsa_float_denorm_mode_16_64 3
		.amdhsa_dx10_clamp 1
		.amdhsa_ieee_mode 1
		.amdhsa_fp16_overflow 0
		.amdhsa_workgroup_processor_mode 1
		.amdhsa_memory_ordered 1
		.amdhsa_forward_progress 1
		.amdhsa_shared_vgpr_count 0
		.amdhsa_exception_fp_ieee_invalid_op 0
		.amdhsa_exception_fp_denorm_src 0
		.amdhsa_exception_fp_ieee_div_zero 0
		.amdhsa_exception_fp_ieee_overflow 0
		.amdhsa_exception_fp_ieee_underflow 0
		.amdhsa_exception_fp_ieee_inexact 0
		.amdhsa_exception_int_div_zero 0
	.end_amdhsa_kernel
	.section	.text._ZN9rocsparseL18bsrxmvn_4x4_kernelILj128ELj4E21rocsparse_complex_numIdEliS1_IfES2_S2_EEvT3_20rocsparse_direction_NS_24const_host_device_scalarIT1_EES4_PKS4_PKT2_SD_SA_PKT4_PKT5_S8_PT6_21rocsparse_index_base_b,"axG",@progbits,_ZN9rocsparseL18bsrxmvn_4x4_kernelILj128ELj4E21rocsparse_complex_numIdEliS1_IfES2_S2_EEvT3_20rocsparse_direction_NS_24const_host_device_scalarIT1_EES4_PKS4_PKT2_SD_SA_PKT4_PKT5_S8_PT6_21rocsparse_index_base_b,comdat
.Lfunc_end170:
	.size	_ZN9rocsparseL18bsrxmvn_4x4_kernelILj128ELj4E21rocsparse_complex_numIdEliS1_IfES2_S2_EEvT3_20rocsparse_direction_NS_24const_host_device_scalarIT1_EES4_PKS4_PKT2_SD_SA_PKT4_PKT5_S8_PT6_21rocsparse_index_base_b, .Lfunc_end170-_ZN9rocsparseL18bsrxmvn_4x4_kernelILj128ELj4E21rocsparse_complex_numIdEliS1_IfES2_S2_EEvT3_20rocsparse_direction_NS_24const_host_device_scalarIT1_EES4_PKS4_PKT2_SD_SA_PKT4_PKT5_S8_PT6_21rocsparse_index_base_b
                                        ; -- End function
	.set _ZN9rocsparseL18bsrxmvn_4x4_kernelILj128ELj4E21rocsparse_complex_numIdEliS1_IfES2_S2_EEvT3_20rocsparse_direction_NS_24const_host_device_scalarIT1_EES4_PKS4_PKT2_SD_SA_PKT4_PKT5_S8_PT6_21rocsparse_index_base_b.num_vgpr, 205
	.set _ZN9rocsparseL18bsrxmvn_4x4_kernelILj128ELj4E21rocsparse_complex_numIdEliS1_IfES2_S2_EEvT3_20rocsparse_direction_NS_24const_host_device_scalarIT1_EES4_PKS4_PKT2_SD_SA_PKT4_PKT5_S8_PT6_21rocsparse_index_base_b.num_agpr, 0
	.set _ZN9rocsparseL18bsrxmvn_4x4_kernelILj128ELj4E21rocsparse_complex_numIdEliS1_IfES2_S2_EEvT3_20rocsparse_direction_NS_24const_host_device_scalarIT1_EES4_PKS4_PKT2_SD_SA_PKT4_PKT5_S8_PT6_21rocsparse_index_base_b.numbered_sgpr, 16
	.set _ZN9rocsparseL18bsrxmvn_4x4_kernelILj128ELj4E21rocsparse_complex_numIdEliS1_IfES2_S2_EEvT3_20rocsparse_direction_NS_24const_host_device_scalarIT1_EES4_PKS4_PKT2_SD_SA_PKT4_PKT5_S8_PT6_21rocsparse_index_base_b.num_named_barrier, 0
	.set _ZN9rocsparseL18bsrxmvn_4x4_kernelILj128ELj4E21rocsparse_complex_numIdEliS1_IfES2_S2_EEvT3_20rocsparse_direction_NS_24const_host_device_scalarIT1_EES4_PKS4_PKT2_SD_SA_PKT4_PKT5_S8_PT6_21rocsparse_index_base_b.private_seg_size, 0
	.set _ZN9rocsparseL18bsrxmvn_4x4_kernelILj128ELj4E21rocsparse_complex_numIdEliS1_IfES2_S2_EEvT3_20rocsparse_direction_NS_24const_host_device_scalarIT1_EES4_PKS4_PKT2_SD_SA_PKT4_PKT5_S8_PT6_21rocsparse_index_base_b.uses_vcc, 1
	.set _ZN9rocsparseL18bsrxmvn_4x4_kernelILj128ELj4E21rocsparse_complex_numIdEliS1_IfES2_S2_EEvT3_20rocsparse_direction_NS_24const_host_device_scalarIT1_EES4_PKS4_PKT2_SD_SA_PKT4_PKT5_S8_PT6_21rocsparse_index_base_b.uses_flat_scratch, 0
	.set _ZN9rocsparseL18bsrxmvn_4x4_kernelILj128ELj4E21rocsparse_complex_numIdEliS1_IfES2_S2_EEvT3_20rocsparse_direction_NS_24const_host_device_scalarIT1_EES4_PKS4_PKT2_SD_SA_PKT4_PKT5_S8_PT6_21rocsparse_index_base_b.has_dyn_sized_stack, 0
	.set _ZN9rocsparseL18bsrxmvn_4x4_kernelILj128ELj4E21rocsparse_complex_numIdEliS1_IfES2_S2_EEvT3_20rocsparse_direction_NS_24const_host_device_scalarIT1_EES4_PKS4_PKT2_SD_SA_PKT4_PKT5_S8_PT6_21rocsparse_index_base_b.has_recursion, 0
	.set _ZN9rocsparseL18bsrxmvn_4x4_kernelILj128ELj4E21rocsparse_complex_numIdEliS1_IfES2_S2_EEvT3_20rocsparse_direction_NS_24const_host_device_scalarIT1_EES4_PKS4_PKT2_SD_SA_PKT4_PKT5_S8_PT6_21rocsparse_index_base_b.has_indirect_call, 0
	.section	.AMDGPU.csdata,"",@progbits
; Kernel info:
; codeLenInByte = 11032
; TotalNumSgprs: 18
; NumVgprs: 205
; ScratchSize: 0
; MemoryBound: 0
; FloatMode: 240
; IeeeMode: 1
; LDSByteSize: 0 bytes/workgroup (compile time only)
; SGPRBlocks: 0
; VGPRBlocks: 25
; NumSGPRsForWavesPerEU: 18
; NumVGPRsForWavesPerEU: 205
; Occupancy: 4
; WaveLimiterHint : 1
; COMPUTE_PGM_RSRC2:SCRATCH_EN: 0
; COMPUTE_PGM_RSRC2:USER_SGPR: 6
; COMPUTE_PGM_RSRC2:TRAP_HANDLER: 0
; COMPUTE_PGM_RSRC2:TGID_X_EN: 1
; COMPUTE_PGM_RSRC2:TGID_Y_EN: 0
; COMPUTE_PGM_RSRC2:TGID_Z_EN: 0
; COMPUTE_PGM_RSRC2:TIDIG_COMP_CNT: 0
	.section	.text._ZN9rocsparseL18bsrxmvn_4x4_kernelILj128ELj8E21rocsparse_complex_numIdEliS1_IfES2_S2_EEvT3_20rocsparse_direction_NS_24const_host_device_scalarIT1_EES4_PKS4_PKT2_SD_SA_PKT4_PKT5_S8_PT6_21rocsparse_index_base_b,"axG",@progbits,_ZN9rocsparseL18bsrxmvn_4x4_kernelILj128ELj8E21rocsparse_complex_numIdEliS1_IfES2_S2_EEvT3_20rocsparse_direction_NS_24const_host_device_scalarIT1_EES4_PKS4_PKT2_SD_SA_PKT4_PKT5_S8_PT6_21rocsparse_index_base_b,comdat
	.globl	_ZN9rocsparseL18bsrxmvn_4x4_kernelILj128ELj8E21rocsparse_complex_numIdEliS1_IfES2_S2_EEvT3_20rocsparse_direction_NS_24const_host_device_scalarIT1_EES4_PKS4_PKT2_SD_SA_PKT4_PKT5_S8_PT6_21rocsparse_index_base_b ; -- Begin function _ZN9rocsparseL18bsrxmvn_4x4_kernelILj128ELj8E21rocsparse_complex_numIdEliS1_IfES2_S2_EEvT3_20rocsparse_direction_NS_24const_host_device_scalarIT1_EES4_PKS4_PKT2_SD_SA_PKT4_PKT5_S8_PT6_21rocsparse_index_base_b
	.p2align	8
	.type	_ZN9rocsparseL18bsrxmvn_4x4_kernelILj128ELj8E21rocsparse_complex_numIdEliS1_IfES2_S2_EEvT3_20rocsparse_direction_NS_24const_host_device_scalarIT1_EES4_PKS4_PKT2_SD_SA_PKT4_PKT5_S8_PT6_21rocsparse_index_base_b,@function
_ZN9rocsparseL18bsrxmvn_4x4_kernelILj128ELj8E21rocsparse_complex_numIdEliS1_IfES2_S2_EEvT3_20rocsparse_direction_NS_24const_host_device_scalarIT1_EES4_PKS4_PKT2_SD_SA_PKT4_PKT5_S8_PT6_21rocsparse_index_base_b: ; @_ZN9rocsparseL18bsrxmvn_4x4_kernelILj128ELj8E21rocsparse_complex_numIdEliS1_IfES2_S2_EEvT3_20rocsparse_direction_NS_24const_host_device_scalarIT1_EES4_PKS4_PKT2_SD_SA_PKT4_PKT5_S8_PT6_21rocsparse_index_base_b
; %bb.0:
	s_clause 0x1
	s_load_dwordx2 s[2:3], s[4:5], 0x68
	s_load_dwordx2 s[0:1], s[4:5], 0x8
	s_add_u32 s7, s4, 8
	s_addc_u32 s10, s5, 0
	s_add_u32 s11, s4, 0x50
	s_addc_u32 s12, s5, 0
	s_load_dwordx2 s[8:9], s[4:5], 0x50
	s_waitcnt lgkmcnt(0)
	s_bitcmp1_b32 s3, 0
	s_cselect_b32 s0, s7, s0
	s_cselect_b32 s1, s10, s1
	v_mov_b32_e32 v1, s0
	v_mov_b32_e32 v2, s1
	s_cselect_b32 s0, s11, s8
	s_cselect_b32 s1, s12, s9
	flat_load_dwordx4 v[5:8], v[1:2]
	v_mov_b32_e32 v1, s0
	v_mov_b32_e32 v2, s1
	flat_load_dwordx4 v[1:4], v[1:2]
	s_waitcnt vmcnt(1) lgkmcnt(1)
	v_cmp_eq_f64_e32 vcc_lo, 0, v[5:6]
	v_cmp_eq_f64_e64 s0, 0, v[7:8]
	s_and_b32 s3, vcc_lo, s0
	s_mov_b32 s0, -1
	s_and_saveexec_b32 s1, s3
	s_cbranch_execz .LBB171_2
; %bb.1:
	s_waitcnt vmcnt(0) lgkmcnt(0)
	v_cmp_neq_f64_e32 vcc_lo, 1.0, v[1:2]
	v_cmp_neq_f64_e64 s0, 0, v[3:4]
	s_or_b32 s0, vcc_lo, s0
	s_orn2_b32 s0, s0, exec_lo
.LBB171_2:
	s_or_b32 exec_lo, exec_lo, s1
	s_and_saveexec_b32 s1, s0
	s_cbranch_execz .LBB171_8
; %bb.3:
	s_clause 0x1
	s_load_dwordx2 s[8:9], s[4:5], 0x20
	s_load_dwordx2 s[0:1], s[4:5], 0x0
	v_lshrrev_b32_e32 v9, 3, v0
	v_lshl_or_b32 v25, s6, 4, v9
	s_waitcnt lgkmcnt(0)
	s_cmp_lg_u64 s[8:9], 0
	s_cbranch_scc0 .LBB171_9
; %bb.4:
	s_load_dword s3, s[4:5], 0x18
	s_mov_b32 s6, 0
                                        ; implicit-def: $vgpr9
	s_waitcnt lgkmcnt(0)
	v_cmp_gt_i32_e32 vcc_lo, s3, v25
	s_mov_b32 s3, 0
	s_and_saveexec_b32 s7, vcc_lo
	s_xor_b32 s7, exec_lo, s7
	s_cbranch_execz .LBB171_6
; %bb.5:
	v_ashrrev_i32_e32 v26, 31, v25
	s_mov_b32 s3, exec_lo
	v_lshlrev_b64 v[9:10], 2, v[25:26]
	v_add_co_u32 v9, vcc_lo, s8, v9
	v_add_co_ci_u32_e64 v10, null, s9, v10, vcc_lo
	global_load_dword v9, v[9:10], off
	s_waitcnt vmcnt(0)
	v_subrev_nc_u32_e32 v9, s2, v9
.LBB171_6:
	s_or_b32 exec_lo, exec_lo, s7
	s_and_b32 vcc_lo, exec_lo, s6
	s_cbranch_vccz .LBB171_10
.LBB171_7:
	v_cmp_gt_i32_e32 vcc_lo, s0, v25
	s_andn2_b32 s0, s3, exec_lo
	s_and_b32 s3, vcc_lo, exec_lo
	s_or_b32 s3, s0, s3
	s_and_b32 exec_lo, exec_lo, s3
	s_cbranch_execnz .LBB171_11
.LBB171_8:
	s_endpgm
.LBB171_9:
	s_mov_b32 s3, 0
                                        ; implicit-def: $vgpr9
	s_cbranch_execnz .LBB171_7
.LBB171_10:
	v_mov_b32_e32 v25, v9
	s_and_b32 exec_lo, exec_lo, s3
	s_cbranch_execz .LBB171_8
.LBB171_11:
	s_load_dwordx8 s[8:15], s[4:5], 0x28
	v_ashrrev_i32_e32 v26, 31, v25
	v_and_b32_e32 v0, 7, v0
	s_load_dwordx2 s[6:7], s[4:5], 0x48
	v_lshlrev_b64 v[9:10], 3, v[25:26]
	s_waitcnt lgkmcnt(0)
	v_add_co_u32 v11, vcc_lo, s8, v9
	v_add_co_ci_u32_e64 v12, null, s9, v10, vcc_lo
	v_add_co_u32 v9, vcc_lo, s10, v9
	v_add_co_ci_u32_e64 v10, null, s11, v10, vcc_lo
	;; [unrolled: 2-line block ×3, first 2 shown]
	global_load_dwordx2 v[48:49], v[11:12], off
	s_cmp_eq_u64 s[10:11], 0
	s_cselect_b32 vcc_lo, -1, 0
	s_cmp_eq_u32 s1, 1
	v_cndmask_b32_e32 v10, v10, v14, vcc_lo
	v_cndmask_b32_e32 v9, v9, v13, vcc_lo
	global_load_dwordx2 v[9:10], v[9:10], off
	s_waitcnt vmcnt(1)
	v_sub_co_u32 v11, vcc_lo, v48, s2
	v_subrev_co_ci_u32_e64 v12, null, 0, v49, vcc_lo
	v_add_co_u32 v26, vcc_lo, v11, v0
	v_add_co_ci_u32_e64 v27, null, 0, v12, vcc_lo
	s_waitcnt vmcnt(0)
	v_sub_co_u32 v28, vcc_lo, v9, s2
	v_subrev_co_ci_u32_e64 v29, null, 0, v10, vcc_lo
	v_lshlrev_b64 v[9:10], 7, v[26:27]
	v_cmp_lt_i64_e64 s0, v[26:27], v[28:29]
	v_add_co_u32 v30, vcc_lo, s14, v9
	v_add_co_ci_u32_e64 v31, null, s15, v10, vcc_lo
	s_cbranch_scc1 .LBB171_23
; %bb.12:
	v_mov_b32_e32 v40, 0
	v_mov_b32_e32 v44, 0
	;; [unrolled: 1-line block ×16, first 2 shown]
	s_and_saveexec_b32 s3, s0
	s_cbranch_execz .LBB171_22
; %bb.13:
	v_or_b32_e32 v9, 8, v0
	v_not_b32_e32 v13, v48
	v_not_b32_e32 v11, v49
	v_mov_b32_e32 v32, 0
	v_mov_b32_e32 v34, 0
	v_sub_co_u32 v9, s1, v9, s2
	v_sub_co_ci_u32_e64 v10, null, 0, 0, s1
	v_sub_co_u32 v14, s1, s2, v0
	v_add_co_u32 v9, vcc_lo, v9, v48
	v_add_co_ci_u32_e64 v10, null, v10, v49, vcc_lo
	v_sub_co_ci_u32_e64 v15, null, 0, 0, s1
	v_add_co_u32 v13, s1, v14, v13
	v_cmp_gt_i64_e32 vcc_lo, v[9:10], v[28:29]
	v_add_co_ci_u32_e64 v11, null, v15, v11, s1
	v_mov_b32_e32 v38, 0
	v_mov_b32_e32 v36, 0
	;; [unrolled: 1-line block ×3, first 2 shown]
	v_cndmask_b32_e32 v9, v28, v9, vcc_lo
	v_cndmask_b32_e32 v10, v29, v10, vcc_lo
	v_mov_b32_e32 v42, 0
	v_mov_b32_e32 v44, 0
	;; [unrolled: 1-line block ×3, first 2 shown]
	v_add_co_u32 v9, vcc_lo, v13, v9
	v_mov_b32_e32 v53, v31
	v_mov_b32_e32 v51, v27
	;; [unrolled: 1-line block ×7, first 2 shown]
	v_add_co_ci_u32_e64 v10, null, v11, v10, vcc_lo
	v_and_b32_e32 v11, 24, v9
	v_mov_b32_e32 v47, 0
	v_mov_b32_e32 v43, 0
	;; [unrolled: 1-line block ×6, first 2 shown]
	s_mov_b32 s8, exec_lo
	v_cmpx_ne_u64_e32 24, v[11:12]
	s_cbranch_execz .LBB171_17
; %bb.14:
	v_lshrrev_b32_e32 v13, 3, v9
	v_lshlrev_b64 v[11:12], 2, v[26:27]
	v_mov_b32_e32 v40, 0
	v_mov_b32_e32 v51, v27
	;; [unrolled: 1-line block ×3, first 2 shown]
	v_add_nc_u32_e32 v13, 1, v13
	v_mov_b32_e32 v42, 0
	v_add_co_u32 v11, vcc_lo, s12, v11
	v_mov_b32_e32 v46, 0
	v_and_b32_e32 v13, 3, v13
	v_mov_b32_e32 v36, 0
	v_mov_b32_e32 v38, 0
	;; [unrolled: 1-line block ×4, first 2 shown]
	v_sub_co_u32 v13, s1, 0, v13
	v_mov_b32_e32 v53, v31
	v_mov_b32_e32 v41, 0
	;; [unrolled: 1-line block ×5, first 2 shown]
	v_add_co_ci_u32_e64 v12, null, s13, v12, vcc_lo
	v_sub_co_ci_u32_e64 v14, null, 0, 0, s1
	v_mov_b32_e32 v47, 0
	v_mov_b32_e32 v37, 0
	;; [unrolled: 1-line block ×6, first 2 shown]
	s_mov_b32 s9, 0
.LBB171_15:                             ; =>This Inner Loop Header: Depth=1
	global_load_dword v23, v[11:12], off
	s_clause 0x3
	global_load_dwordx4 v[15:18], v[52:53], off
	global_load_dwordx4 v[19:22], v[52:53], off offset:32
	global_load_dwordx4 v[54:57], v[52:53], off offset:64
	;; [unrolled: 1-line block ×3, first 2 shown]
	v_add_co_u32 v11, s1, v11, 32
	v_add_co_ci_u32_e64 v12, null, 0, v12, s1
	s_waitcnt vmcnt(4)
	v_subrev_nc_u32_e32 v23, s2, v23
	s_waitcnt vmcnt(2)
	v_cvt_f64_f32_e32 v[94:95], v19
	v_cvt_f64_f32_e32 v[19:20], v20
	s_waitcnt vmcnt(1)
	v_cvt_f64_f32_e32 v[96:97], v54
	v_lshlrev_b32_e32 v23, 2, v23
	v_cvt_f64_f32_e32 v[54:55], v55
	s_waitcnt vmcnt(0)
	v_cvt_f64_f32_e32 v[98:99], v58
	v_cvt_f64_f32_e32 v[58:59], v59
	;; [unrolled: 1-line block ×3, first 2 shown]
	v_ashrrev_i32_e32 v24, 31, v23
	v_cvt_f64_f32_e32 v[21:22], v22
	v_cvt_f64_f32_e32 v[102:103], v56
	;; [unrolled: 1-line block ×4, first 2 shown]
	v_lshlrev_b64 v[23:24], 4, v[23:24]
	v_cvt_f64_f32_e32 v[60:61], v61
	v_add_co_u32 v23, vcc_lo, s6, v23
	v_add_co_ci_u32_e64 v24, null, s7, v24, vcc_lo
	s_clause 0x1
	global_load_dwordx4 v[62:65], v[23:24], off
	global_load_dwordx4 v[66:69], v[23:24], off offset:16
	s_clause 0x3
	global_load_dwordx4 v[70:73], v[52:53], off offset:16
	global_load_dwordx4 v[74:77], v[52:53], off offset:48
	global_load_dwordx4 v[78:81], v[52:53], off offset:80
	global_load_dwordx4 v[82:85], v[52:53], off offset:112
	s_clause 0x1
	global_load_dwordx4 v[86:89], v[23:24], off offset:32
	global_load_dwordx4 v[90:93], v[23:24], off offset:48
	v_cvt_f64_f32_e32 v[23:24], v15
	v_cvt_f64_f32_e32 v[15:16], v16
	v_add_co_u32 v52, vcc_lo, 0x400, v52
	v_add_co_ci_u32_e64 v53, null, 0, v53, vcc_lo
	v_add_co_u32 v13, vcc_lo, v13, 1
	v_add_co_ci_u32_e64 v14, null, 0, v14, vcc_lo
	;; [unrolled: 2-line block ×3, first 2 shown]
	v_cmp_eq_u64_e32 vcc_lo, 0, v[13:14]
	s_or_b32 s9, vcc_lo, s9
	s_waitcnt vmcnt(7)
	v_fma_f64 v[44:45], v[23:24], v[62:63], v[44:45]
	v_fma_f64 v[40:41], v[15:16], v[62:63], v[40:41]
	;; [unrolled: 1-line block ×8, first 2 shown]
	v_cvt_f64_f32_e32 v[62:63], v17
	v_cvt_f64_f32_e32 v[17:18], v18
	v_fma_f64 v[15:16], -v[15:16], v[64:65], v[44:45]
	v_fma_f64 v[23:24], v[23:24], v[64:65], v[40:41]
	v_fma_f64 v[19:20], -v[19:20], v[64:65], v[46:47]
	v_fma_f64 v[40:41], v[94:95], v[64:65], v[42:43]
	;; [unrolled: 2-line block ×4, first 2 shown]
	s_waitcnt vmcnt(5)
	v_cvt_f64_f32_e32 v[42:43], v70
	v_cvt_f64_f32_e32 v[44:45], v71
	s_waitcnt vmcnt(4)
	v_cvt_f64_f32_e32 v[46:47], v74
	v_cvt_f64_f32_e32 v[54:55], v75
	s_waitcnt vmcnt(3)
	v_cvt_f64_f32_e32 v[58:59], v78
	v_cvt_f64_f32_e32 v[64:65], v79
	s_waitcnt vmcnt(2)
	v_cvt_f64_f32_e32 v[70:71], v83
	v_cvt_f64_f32_e32 v[74:75], v85
	v_fma_f64 v[15:16], v[62:63], v[66:67], v[15:16]
	v_fma_f64 v[23:24], v[17:18], v[66:67], v[23:24]
	;; [unrolled: 1-line block ×8, first 2 shown]
	v_cvt_f64_f32_e32 v[66:67], v82
	v_fma_f64 v[15:16], -v[17:18], v[68:69], v[15:16]
	v_fma_f64 v[17:18], v[62:63], v[68:69], v[23:24]
	v_fma_f64 v[19:20], -v[21:22], v[68:69], v[19:20]
	v_fma_f64 v[21:22], v[100:101], v[68:69], v[40:41]
	v_fma_f64 v[23:24], -v[56:57], v[68:69], v[38:39]
	v_fma_f64 v[36:37], v[102:103], v[68:69], v[36:37]
	v_fma_f64 v[32:33], -v[60:61], v[68:69], v[32:33]
	v_fma_f64 v[34:35], v[104:105], v[68:69], v[34:35]
	v_cvt_f64_f32_e32 v[38:39], v72
	v_cvt_f64_f32_e32 v[40:41], v73
	;; [unrolled: 1-line block ×7, first 2 shown]
	s_waitcnt vmcnt(1)
	v_fma_f64 v[15:16], v[42:43], v[86:87], v[15:16]
	v_fma_f64 v[17:18], v[44:45], v[86:87], v[17:18]
	;; [unrolled: 1-line block ×8, first 2 shown]
	v_fma_f64 v[15:16], -v[44:45], v[88:89], v[15:16]
	v_fma_f64 v[17:18], v[42:43], v[88:89], v[17:18]
	v_fma_f64 v[19:20], -v[54:55], v[88:89], v[19:20]
	v_fma_f64 v[21:22], v[46:47], v[88:89], v[21:22]
	;; [unrolled: 2-line block ×4, first 2 shown]
	s_waitcnt vmcnt(0)
	v_fma_f64 v[15:16], v[38:39], v[90:91], v[15:16]
	v_fma_f64 v[17:18], v[40:41], v[90:91], v[17:18]
	;; [unrolled: 1-line block ×8, first 2 shown]
	v_fma_f64 v[44:45], -v[40:41], v[92:93], v[15:16]
	v_fma_f64 v[40:41], v[38:39], v[92:93], v[17:18]
	v_fma_f64 v[46:47], -v[60:61], v[92:93], v[19:20]
	v_fma_f64 v[42:43], v[56:57], v[92:93], v[21:22]
	;; [unrolled: 2-line block ×4, first 2 shown]
	s_andn2_b32 exec_lo, exec_lo, s9
	s_cbranch_execnz .LBB171_15
; %bb.16:
	s_or_b32 exec_lo, exec_lo, s9
.LBB171_17:
	s_or_b32 exec_lo, exec_lo, s8
	s_mov_b32 s8, exec_lo
	v_cmpx_lt_u64_e32 23, v[9:10]
	s_cbranch_execz .LBB171_21
; %bb.18:
	v_lshlrev_b64 v[9:10], 2, v[50:51]
	s_mov_b32 s9, 0
	v_add_co_u32 v9, vcc_lo, s12, v9
	v_add_co_ci_u32_e64 v10, null, s13, v10, vcc_lo
	v_add_co_u32 v54, vcc_lo, v9, 64
	v_add_co_ci_u32_e64 v55, null, 0, v10, vcc_lo
.LBB171_19:                             ; =>This Inner Loop Header: Depth=1
	s_clause 0x1
	global_load_dword v9, v[54:55], off offset:-64
	global_load_dword v11, v[54:55], off offset:-32
	s_clause 0x3
	global_load_dwordx4 v[56:59], v[52:53], off
	global_load_dwordx4 v[60:63], v[52:53], off offset:32
	global_load_dwordx4 v[64:67], v[52:53], off offset:64
	;; [unrolled: 1-line block ×3, first 2 shown]
	s_clause 0x1
	global_load_dword v200, v[54:55], off
	global_load_dword v206, v[54:55], off offset:32
	s_waitcnt vmcnt(7)
	v_subrev_nc_u32_e32 v9, s2, v9
	s_waitcnt vmcnt(5)
	v_cvt_f64_f32_e32 v[180:181], v56
	v_cvt_f64_f32_e32 v[182:183], v57
	v_cvt_f64_f32_e32 v[184:185], v58
	v_lshlrev_b32_e32 v9, 2, v9
	v_cvt_f64_f32_e32 v[186:187], v59
	s_waitcnt vmcnt(4)
	v_cvt_f64_f32_e32 v[188:189], v60
	v_cvt_f64_f32_e32 v[190:191], v61
	s_waitcnt vmcnt(3)
	v_cvt_f64_f32_e32 v[196:197], v64
	v_ashrrev_i32_e32 v10, 31, v9
	v_cvt_f64_f32_e32 v[64:65], v65
	s_waitcnt vmcnt(1)
	v_subrev_nc_u32_e32 v60, s2, v200
	v_cvt_f64_f32_e32 v[200:201], v68
	v_cvt_f64_f32_e32 v[68:69], v69
	v_lshlrev_b64 v[9:10], 4, v[9:10]
	v_cvt_f64_f32_e32 v[192:193], v62
	v_cvt_f64_f32_e32 v[194:195], v63
	v_lshlrev_b32_e32 v204, 2, v60
	v_cvt_f64_f32_e32 v[198:199], v66
	v_cvt_f64_f32_e32 v[66:67], v67
	v_add_co_u32 v9, vcc_lo, s6, v9
	v_add_co_ci_u32_e64 v10, null, s7, v10, vcc_lo
	v_ashrrev_i32_e32 v205, 31, v204
	v_cvt_f64_f32_e32 v[202:203], v70
	v_cvt_f64_f32_e32 v[70:71], v71
	s_clause 0x1
	global_load_dwordx4 v[72:75], v[9:10], off
	global_load_dwordx4 v[76:79], v[9:10], off offset:16
	s_clause 0x3
	global_load_dwordx4 v[80:83], v[52:53], off offset:16
	global_load_dwordx4 v[84:87], v[52:53], off offset:48
	;; [unrolled: 1-line block ×7, first 2 shown]
	s_clause 0x2
	global_load_dwordx4 v[108:111], v[52:53], off offset:1056
	global_load_dwordx4 v[112:115], v[52:53], off offset:1088
	;; [unrolled: 1-line block ×3, first 2 shown]
	v_subrev_nc_u32_e32 v9, s2, v11
	v_lshlrev_b32_e32 v9, 2, v9
	v_ashrrev_i32_e32 v10, 31, v9
	v_lshlrev_b64 v[9:10], 4, v[9:10]
	v_add_co_u32 v176, vcc_lo, s6, v9
	v_add_co_ci_u32_e64 v177, null, s7, v10, vcc_lo
	v_add_co_u32 v178, vcc_lo, 0x800, v52
	s_clause 0x1
	global_load_dwordx4 v[120:123], v[176:177], off
	global_load_dwordx4 v[124:127], v[176:177], off offset:16
	s_clause 0x3
	global_load_dwordx4 v[128:131], v[52:53], off offset:1040
	global_load_dwordx4 v[132:135], v[52:53], off offset:1072
	;; [unrolled: 1-line block ×4, first 2 shown]
	v_add_co_ci_u32_e64 v179, null, 0, v53, vcc_lo
	s_clause 0xb
	global_load_dwordx4 v[144:147], v[178:179], off
	global_load_dwordx4 v[148:151], v[178:179], off offset:16
	global_load_dwordx4 v[152:155], v[178:179], off offset:48
	;; [unrolled: 1-line block ×11, first 2 shown]
	s_clause 0x1
	global_load_dwordx4 v[56:59], v[176:177], off offset:32
	global_load_dwordx4 v[60:63], v[176:177], off offset:48
	v_add_co_u32 v52, s1, 0x1000, v52
	v_add_co_ci_u32_e64 v53, null, 0, v53, s1
	s_waitcnt vmcnt(31)
	v_fma_f64 v[44:45], v[180:181], v[72:73], v[44:45]
	v_fma_f64 v[40:41], v[182:183], v[72:73], v[40:41]
	;; [unrolled: 1-line block ×8, first 2 shown]
	v_lshlrev_b64 v[72:73], 4, v[204:205]
	v_add_co_u32 v72, vcc_lo, s6, v72
	v_add_co_ci_u32_e64 v73, null, s7, v73, vcc_lo
	v_fma_f64 v[44:45], -v[182:183], v[74:75], v[44:45]
	v_fma_f64 v[40:41], v[180:181], v[74:75], v[40:41]
	v_fma_f64 v[46:47], -v[190:191], v[74:75], v[46:47]
	v_fma_f64 v[42:43], v[188:189], v[74:75], v[42:43]
	;; [unrolled: 2-line block ×4, first 2 shown]
	global_load_dwordx4 v[32:35], v[72:73], off
	s_waitcnt vmcnt(29)
	v_cvt_f64_f32_e32 v[188:189], v84
	v_cvt_f64_f32_e32 v[84:85], v85
	s_waitcnt vmcnt(25)
	v_cvt_f64_f32_e32 v[196:197], v102
	v_cvt_f64_f32_e32 v[102:103], v103
	v_fma_f64 v[44:45], v[184:185], v[76:77], v[44:45]
	v_fma_f64 v[74:75], v[186:187], v[76:77], v[40:41]
	;; [unrolled: 1-line block ×8, first 2 shown]
	v_cvt_f64_f32_e32 v[76:77], v80
	v_cvt_f64_f32_e32 v[80:81], v81
	s_clause 0x1
	global_load_dwordx4 v[36:39], v[178:179], off offset:1120
	global_load_dwordx4 v[40:43], v[178:179], off offset:1088
	v_fma_f64 v[186:187], -v[186:187], v[78:79], v[44:45]
	v_fma_f64 v[74:75], v[184:185], v[78:79], v[74:75]
	v_cvt_f64_f32_e32 v[184:185], v88
	v_fma_f64 v[190:191], -v[194:195], v[78:79], v[46:47]
	v_cvt_f64_f32_e32 v[88:89], v89
	v_fma_f64 v[176:177], v[192:193], v[78:79], v[176:177]
	v_cvt_f64_f32_e32 v[192:193], v92
	v_fma_f64 v[66:67], -v[66:67], v[78:79], v[180:181]
	v_cvt_f64_f32_e32 v[92:93], v93
	v_fma_f64 v[180:181], v[198:199], v[78:79], v[182:183]
	v_fma_f64 v[64:65], -v[70:71], v[78:79], v[64:65]
	v_fma_f64 v[68:69], v[202:203], v[78:79], v[68:69]
	global_load_dwordx4 v[44:47], v[72:73], off offset:16
	v_cvt_f64_f32_e32 v[70:71], v82
	v_cvt_f64_f32_e32 v[78:79], v83
	v_cvt_f64_f32_e32 v[194:195], v100
	v_cvt_f64_f32_e32 v[100:101], v101
	v_fma_f64 v[82:83], v[76:77], v[96:97], v[186:187]
	v_fma_f64 v[74:75], v[80:81], v[96:97], v[74:75]
	v_cvt_f64_f32_e32 v[186:187], v90
	v_fma_f64 v[182:183], v[188:189], v[96:97], v[190:191]
	v_cvt_f64_f32_e32 v[90:91], v91
	v_fma_f64 v[176:177], v[84:85], v[96:97], v[176:177]
	v_cvt_f64_f32_e32 v[190:191], v94
	v_fma_f64 v[66:67], v[184:185], v[96:97], v[66:67]
	v_cvt_f64_f32_e32 v[94:95], v95
	v_fma_f64 v[180:181], v[88:89], v[96:97], v[180:181]
	v_fma_f64 v[64:65], v[192:193], v[96:97], v[64:65]
	;; [unrolled: 1-line block ×3, first 2 shown]
	v_cvt_f64_f32_e32 v[96:97], v86
	v_cvt_f64_f32_e32 v[86:87], v87
	v_fma_f64 v[80:81], -v[80:81], v[98:99], v[82:83]
	v_fma_f64 v[74:75], v[76:77], v[98:99], v[74:75]
	v_fma_f64 v[76:77], -v[84:85], v[98:99], v[182:183]
	s_waitcnt vmcnt(24)
	v_cvt_f64_f32_e32 v[182:183], v116
	v_fma_f64 v[82:83], v[188:189], v[98:99], v[176:177]
	v_cvt_f64_f32_e32 v[176:177], v112
	v_fma_f64 v[84:85], -v[88:89], v[98:99], v[66:67]
	v_cvt_f64_f32_e32 v[112:113], v113
	v_fma_f64 v[88:89], v[184:185], v[98:99], v[180:181]
	v_fma_f64 v[92:93], -v[92:93], v[98:99], v[64:65]
	v_fma_f64 v[68:69], v[192:193], v[98:99], v[68:69]
	global_load_dwordx4 v[64:67], v[72:73], off offset:32
	v_cvt_f64_f32_e32 v[98:99], v108
	v_cvt_f64_f32_e32 v[108:109], v109
	;; [unrolled: 1-line block ×4, first 2 shown]
	v_subrev_nc_u32_e32 v118, s2, v206
	v_cvt_f64_f32_e32 v[180:181], v114
	v_cvt_f64_f32_e32 v[114:115], v115
	v_fma_f64 v[80:81], v[70:71], v[104:105], v[80:81]
	v_fma_f64 v[74:75], v[78:79], v[104:105], v[74:75]
	;; [unrolled: 1-line block ×8, first 2 shown]
	v_cvt_f64_f32_e32 v[104:105], v110
	v_cvt_f64_f32_e32 v[110:111], v111
	v_fma_f64 v[78:79], -v[78:79], v[106:107], v[80:81]
	v_fma_f64 v[74:75], v[70:71], v[106:107], v[74:75]
	v_fma_f64 v[76:77], -v[86:87], v[106:107], v[76:77]
	v_fma_f64 v[80:81], v[96:97], v[106:107], v[82:83]
	s_waitcnt vmcnt(22)
	v_cvt_f64_f32_e32 v[96:97], v128
	v_fma_f64 v[82:83], -v[90:91], v[106:107], v[84:85]
	v_cvt_f64_f32_e32 v[90:91], v119
	v_fma_f64 v[84:85], v[186:187], v[106:107], v[88:89]
	v_fma_f64 v[86:87], -v[94:95], v[106:107], v[92:93]
	v_fma_f64 v[88:89], v[190:191], v[106:107], v[68:69]
	global_load_dwordx4 v[68:71], v[72:73], off offset:48
	v_lshlrev_b32_e32 v92, 2, v118
	s_waitcnt vmcnt(22)
	v_cvt_f64_f32_e32 v[106:107], v133
	s_waitcnt vmcnt(20)
	v_cvt_f64_f32_e32 v[118:119], v141
	v_ashrrev_i32_e32 v93, 31, v92
	v_fma_f64 v[72:73], v[194:195], v[120:121], v[78:79]
	v_fma_f64 v[74:75], v[100:101], v[120:121], v[74:75]
	;; [unrolled: 1-line block ×8, first 2 shown]
	v_lshlrev_b64 v[88:89], 4, v[92:93]
	v_cvt_f64_f32_e32 v[120:121], v130
	v_add_co_u32 v88, vcc_lo, s6, v88
	v_add_co_ci_u32_e64 v89, null, s7, v89, vcc_lo
	v_fma_f64 v[92:93], -v[100:101], v[122:123], v[72:73]
	v_fma_f64 v[94:95], v[194:195], v[122:123], v[74:75]
	v_cvt_f64_f32_e32 v[100:101], v132
	v_fma_f64 v[76:77], -v[108:109], v[122:123], v[76:77]
	global_load_dwordx4 v[72:75], v[88:89], off
	v_fma_f64 v[78:79], v[98:99], v[122:123], v[78:79]
	v_cvt_f64_f32_e32 v[98:99], v129
	v_fma_f64 v[80:81], -v[112:113], v[122:123], v[80:81]
	v_cvt_f64_f32_e32 v[108:109], v136
	v_fma_f64 v[82:83], v[176:177], v[122:123], v[82:83]
	v_fma_f64 v[84:85], -v[116:117], v[122:123], v[84:85]
	v_fma_f64 v[86:87], v[182:183], v[122:123], v[86:87]
	v_cvt_f64_f32_e32 v[112:113], v137
	v_cvt_f64_f32_e32 v[116:117], v140
	;; [unrolled: 1-line block ×6, first 2 shown]
	v_add_co_u32 v50, vcc_lo, v50, 32
	v_add_co_ci_u32_e64 v51, null, 0, v51, vcc_lo
	v_fma_f64 v[92:93], v[196:197], v[124:125], v[92:93]
	v_fma_f64 v[94:95], v[102:103], v[124:125], v[94:95]
	v_add_co_u32 v54, vcc_lo, 0x80, v54
	v_fma_f64 v[76:77], v[104:105], v[124:125], v[76:77]
	v_fma_f64 v[78:79], v[110:111], v[124:125], v[78:79]
	v_add_co_ci_u32_e64 v55, null, 0, v55, vcc_lo
	v_fma_f64 v[80:81], v[180:181], v[124:125], v[80:81]
	v_fma_f64 v[82:83], v[114:115], v[124:125], v[82:83]
	;; [unrolled: 1-line block ×4, first 2 shown]
	v_cvt_f64_f32_e32 v[124:125], v134
	v_cmp_ge_i64_e32 vcc_lo, v[50:51], v[28:29]
	s_or_b32 s9, vcc_lo, s9
	v_fma_f64 v[92:93], -v[102:103], v[126:127], v[92:93]
	v_fma_f64 v[94:95], v[196:197], v[126:127], v[94:95]
	v_fma_f64 v[102:103], -v[110:111], v[126:127], v[76:77]
	v_fma_f64 v[104:105], v[104:105], v[126:127], v[78:79]
	v_fma_f64 v[110:111], -v[114:115], v[126:127], v[80:81]
	v_fma_f64 v[114:115], v[180:181], v[126:127], v[82:83]
	v_fma_f64 v[84:85], -v[90:91], v[126:127], v[84:85]
	v_fma_f64 v[86:87], v[184:185], v[126:127], v[86:87]
	global_load_dwordx4 v[76:79], v[88:89], off offset:16
	global_load_dwordx4 v[80:83], v[178:179], off offset:1104
	v_cvt_f64_f32_e32 v[126:127], v135
	v_cvt_f64_f32_e32 v[134:135], v143
	s_waitcnt vmcnt(10)
	v_fma_f64 v[90:91], v[96:97], v[56:57], v[92:93]
	v_fma_f64 v[92:93], v[98:99], v[56:57], v[94:95]
	;; [unrolled: 1-line block ×8, first 2 shown]
	global_load_dwordx4 v[84:87], v[178:179], off offset:1136
	v_fma_f64 v[90:91], -v[98:99], v[58:59], v[90:91]
	v_fma_f64 v[92:93], v[96:97], v[58:59], v[92:93]
	v_fma_f64 v[94:95], -v[106:107], v[58:59], v[94:95]
	v_fma_f64 v[96:97], v[100:101], v[58:59], v[102:103]
	v_cvt_f64_f32_e32 v[106:107], v145
	v_fma_f64 v[98:99], -v[112:113], v[58:59], v[104:105]
	v_fma_f64 v[100:101], v[108:109], v[58:59], v[110:111]
	v_fma_f64 v[102:103], -v[118:119], v[58:59], v[114:115]
	v_fma_f64 v[104:105], v[116:117], v[58:59], v[56:57]
	global_load_dwordx4 v[56:59], v[88:89], off offset:32
	v_cvt_f64_f32_e32 v[108:109], v156
	v_cvt_f64_f32_e32 v[110:111], v157
	;; [unrolled: 1-line block ×6, first 2 shown]
	s_waitcnt vmcnt(11)
	v_fma_f64 v[90:91], v[120:121], v[60:61], v[90:91]
	v_fma_f64 v[92:93], v[122:123], v[60:61], v[92:93]
	;; [unrolled: 1-line block ×8, first 2 shown]
	v_cvt_f64_f32_e32 v[104:105], v144
	v_fma_f64 v[90:91], -v[122:123], v[62:63], v[90:91]
	v_fma_f64 v[92:93], v[120:121], v[62:63], v[92:93]
	v_cvt_f64_f32_e32 v[122:123], v158
	v_fma_f64 v[94:95], -v[126:127], v[62:63], v[94:95]
	v_fma_f64 v[96:97], v[124:125], v[62:63], v[96:97]
	v_cvt_f64_f32_e32 v[124:125], v159
	v_cvt_f64_f32_e32 v[126:127], v174
	v_fma_f64 v[98:99], -v[130:131], v[62:63], v[98:99]
	v_fma_f64 v[100:101], v[128:129], v[62:63], v[100:101]
	v_fma_f64 v[102:103], -v[134:135], v[62:63], v[102:103]
	v_fma_f64 v[120:121], v[132:133], v[62:63], v[60:61]
	global_load_dwordx4 v[60:63], v[88:89], off offset:48
	v_cvt_f64_f32_e32 v[128:129], v175
	v_cvt_f64_f32_e32 v[130:131], v166
	;; [unrolled: 1-line block ×3, first 2 shown]
	s_waitcnt vmcnt(11)
	v_fma_f64 v[88:89], v[104:105], v[32:33], v[90:91]
	v_fma_f64 v[90:91], v[106:107], v[32:33], v[92:93]
	;; [unrolled: 1-line block ×8, first 2 shown]
	v_cvt_f64_f32_e32 v[102:103], v146
	v_cvt_f64_f32_e32 v[120:121], v147
	v_fma_f64 v[88:89], -v[106:107], v[34:35], v[88:89]
	v_fma_f64 v[90:91], v[104:105], v[34:35], v[90:91]
	v_cvt_f64_f32_e32 v[104:105], v152
	v_cvt_f64_f32_e32 v[106:107], v153
	v_fma_f64 v[92:93], -v[110:111], v[34:35], v[92:93]
	v_fma_f64 v[94:95], v[108:109], v[34:35], v[94:95]
	;; [unrolled: 4-line block ×3, first 2 shown]
	v_fma_f64 v[100:101], -v[118:119], v[34:35], v[100:101]
	v_fma_f64 v[32:33], v[116:117], v[34:35], v[32:33]
	v_cvt_f64_f32_e32 v[112:113], v160
	v_cvt_f64_f32_e32 v[114:115], v161
	;; [unrolled: 1-line block ×4, first 2 shown]
	s_waitcnt vmcnt(8)
	v_fma_f64 v[34:35], v[102:103], v[44:45], v[88:89]
	v_fma_f64 v[88:89], v[120:121], v[44:45], v[90:91]
	;; [unrolled: 1-line block ×8, first 2 shown]
	v_cvt_f64_f32_e32 v[44:45], v148
	v_cvt_f64_f32_e32 v[100:101], v149
	v_fma_f64 v[34:35], -v[120:121], v[46:47], v[34:35]
	v_fma_f64 v[88:89], v[102:103], v[46:47], v[88:89]
	v_fma_f64 v[90:91], -v[124:125], v[46:47], v[90:91]
	v_fma_f64 v[92:93], v[122:123], v[46:47], v[92:93]
	v_cvt_f64_f32_e32 v[102:103], v154
	v_cvt_f64_f32_e32 v[120:121], v171
	v_fma_f64 v[94:95], -v[128:129], v[46:47], v[94:95]
	v_fma_f64 v[96:97], v[126:127], v[46:47], v[96:97]
	v_fma_f64 v[98:99], -v[132:133], v[46:47], v[98:99]
	v_fma_f64 v[32:33], v[130:131], v[46:47], v[32:33]
	v_cvt_f64_f32_e32 v[122:123], v162
	v_cvt_f64_f32_e32 v[124:125], v163
	s_waitcnt vmcnt(7)
	v_fma_f64 v[34:35], v[44:45], v[64:65], v[34:35]
	v_fma_f64 v[46:47], v[100:101], v[64:65], v[88:89]
	;; [unrolled: 1-line block ×8, first 2 shown]
	v_cvt_f64_f32_e32 v[64:65], v150
	v_cvt_f64_f32_e32 v[98:99], v151
	v_fma_f64 v[34:35], -v[100:101], v[66:67], v[34:35]
	v_fma_f64 v[44:45], v[44:45], v[66:67], v[46:47]
	v_fma_f64 v[46:47], -v[106:107], v[66:67], v[88:89]
	v_fma_f64 v[88:89], v[104:105], v[66:67], v[90:91]
	v_cvt_f64_f32_e32 v[100:101], v36
	v_cvt_f64_f32_e32 v[36:37], v37
	v_fma_f64 v[90:91], -v[110:111], v[66:67], v[92:93]
	v_fma_f64 v[92:93], v[108:109], v[66:67], v[94:95]
	v_fma_f64 v[94:95], -v[114:115], v[66:67], v[96:97]
	v_fma_f64 v[32:33], v[112:113], v[66:67], v[32:33]
	v_cvt_f64_f32_e32 v[96:97], v40
	v_cvt_f64_f32_e32 v[40:41], v41
	s_waitcnt vmcnt(6)
	v_fma_f64 v[34:35], v[64:65], v[68:69], v[34:35]
	v_fma_f64 v[44:45], v[98:99], v[68:69], v[44:45]
	;; [unrolled: 1-line block ×8, first 2 shown]
	v_cvt_f64_f32_e32 v[68:69], v21
	v_cvt_f64_f32_e32 v[21:22], v22
	;; [unrolled: 1-line block ×4, first 2 shown]
	v_fma_f64 v[34:35], -v[98:99], v[70:71], v[34:35]
	v_fma_f64 v[44:45], v[64:65], v[70:71], v[44:45]
	v_fma_f64 v[46:47], -v[116:117], v[70:71], v[46:47]
	v_fma_f64 v[64:65], v[102:103], v[70:71], v[66:67]
	v_cvt_f64_f32_e32 v[98:99], v38
	v_cvt_f64_f32_e32 v[38:39], v39
	v_fma_f64 v[66:67], -v[120:121], v[70:71], v[88:89]
	v_fma_f64 v[88:89], v[118:119], v[70:71], v[90:91]
	v_fma_f64 v[90:91], -v[124:125], v[70:71], v[92:93]
	v_fma_f64 v[32:33], v[122:123], v[70:71], v[32:33]
	v_cvt_f64_f32_e32 v[92:93], v42
	v_cvt_f64_f32_e32 v[42:43], v43
	s_waitcnt vmcnt(5)
	v_fma_f64 v[34:35], v[68:69], v[72:73], v[34:35]
	v_fma_f64 v[44:45], v[21:22], v[72:73], v[44:45]
	;; [unrolled: 1-line block ×8, first 2 shown]
	v_cvt_f64_f32_e32 v[72:73], v23
	v_cvt_f64_f32_e32 v[23:24], v24
	;; [unrolled: 1-line block ×4, first 2 shown]
	v_fma_f64 v[21:22], -v[21:22], v[74:75], v[34:35]
	v_fma_f64 v[34:35], v[68:69], v[74:75], v[44:45]
	v_fma_f64 v[17:18], -v[17:18], v[74:75], v[46:47]
	v_fma_f64 v[44:45], v[94:95], v[74:75], v[64:65]
	v_cvt_f64_f32_e32 v[64:65], v13
	v_cvt_f64_f32_e32 v[13:14], v14
	v_fma_f64 v[40:41], -v[40:41], v[74:75], v[66:67]
	v_fma_f64 v[46:47], v[96:97], v[74:75], v[70:71]
	v_fma_f64 v[36:37], -v[36:37], v[74:75], v[88:89]
	v_fma_f64 v[32:33], v[100:101], v[74:75], v[32:33]
	v_cvt_f64_f32_e32 v[66:67], v9
	v_cvt_f64_f32_e32 v[9:10], v10
	s_waitcnt vmcnt(3)
	v_cvt_f64_f32_e32 v[68:69], v80
	v_fma_f64 v[21:22], v[72:73], v[76:77], v[21:22]
	v_fma_f64 v[34:35], v[23:24], v[76:77], v[34:35]
	;; [unrolled: 1-line block ×4, first 2 shown]
	v_cvt_f64_f32_e32 v[70:71], v81
	v_fma_f64 v[40:41], v[92:93], v[76:77], v[40:41]
	v_fma_f64 v[46:47], v[42:43], v[76:77], v[46:47]
	;; [unrolled: 1-line block ×4, first 2 shown]
	s_waitcnt vmcnt(2)
	v_cvt_f64_f32_e32 v[74:75], v84
	v_cvt_f64_f32_e32 v[76:77], v85
	v_fma_f64 v[21:22], -v[23:24], v[78:79], v[21:22]
	v_fma_f64 v[23:24], v[72:73], v[78:79], v[34:35]
	v_fma_f64 v[17:18], -v[19:20], v[78:79], v[17:18]
	v_fma_f64 v[19:20], v[90:91], v[78:79], v[44:45]
	;; [unrolled: 2-line block ×4, first 2 shown]
	v_cvt_f64_f32_e32 v[42:43], v11
	v_cvt_f64_f32_e32 v[11:12], v12
	;; [unrolled: 1-line block ×5, first 2 shown]
	s_waitcnt vmcnt(1)
	v_fma_f64 v[21:22], v[64:65], v[56:57], v[21:22]
	v_fma_f64 v[23:24], v[13:14], v[56:57], v[23:24]
	;; [unrolled: 1-line block ×8, first 2 shown]
	v_cvt_f64_f32_e32 v[40:41], v15
	v_cvt_f64_f32_e32 v[15:16], v16
	;; [unrolled: 1-line block ×3, first 2 shown]
	v_fma_f64 v[13:14], -v[13:14], v[58:59], v[21:22]
	v_fma_f64 v[21:22], v[64:65], v[58:59], v[23:24]
	v_fma_f64 v[9:10], -v[9:10], v[58:59], v[17:18]
	v_fma_f64 v[17:18], v[66:67], v[58:59], v[19:20]
	;; [unrolled: 2-line block ×4, first 2 shown]
	s_waitcnt vmcnt(0)
	v_fma_f64 v[13:14], v[40:41], v[60:61], v[13:14]
	v_fma_f64 v[21:22], v[15:16], v[60:61], v[21:22]
	;; [unrolled: 1-line block ×8, first 2 shown]
	v_fma_f64 v[44:45], -v[15:16], v[62:63], v[13:14]
	v_fma_f64 v[40:41], v[40:41], v[62:63], v[21:22]
	v_fma_f64 v[46:47], -v[11:12], v[62:63], v[9:10]
	v_fma_f64 v[42:43], v[42:43], v[62:63], v[17:18]
	;; [unrolled: 2-line block ×4, first 2 shown]
	s_andn2_b32 exec_lo, exec_lo, s9
	s_cbranch_execnz .LBB171_19
; %bb.20:
	s_or_b32 exec_lo, exec_lo, s9
.LBB171_21:
	s_or_b32 exec_lo, exec_lo, s8
.LBB171_22:
	s_or_b32 exec_lo, exec_lo, s3
	s_cbranch_execz .LBB171_24
	s_branch .LBB171_35
.LBB171_23:
                                        ; implicit-def: $vgpr40_vgpr41
                                        ; implicit-def: $vgpr44_vgpr45
                                        ; implicit-def: $vgpr42_vgpr43
                                        ; implicit-def: $vgpr46_vgpr47
                                        ; implicit-def: $vgpr36_vgpr37
                                        ; implicit-def: $vgpr38_vgpr39
                                        ; implicit-def: $vgpr34_vgpr35
                                        ; implicit-def: $vgpr32_vgpr33
.LBB171_24:
	v_mov_b32_e32 v40, 0
	v_mov_b32_e32 v44, 0
	;; [unrolled: 1-line block ×16, first 2 shown]
	s_and_saveexec_b32 s1, s0
	s_cbranch_execz .LBB171_34
; %bb.25:
	v_or_b32_e32 v9, 8, v0
	v_not_b32_e32 v13, v48
	v_not_b32_e32 v11, v49
	v_mov_b32_e32 v32, 0
	v_mov_b32_e32 v34, 0
	v_sub_co_u32 v9, s0, v9, s2
	v_sub_co_ci_u32_e64 v10, null, 0, 0, s0
	v_sub_co_u32 v14, s0, s2, v0
	v_add_co_u32 v9, vcc_lo, v9, v48
	v_add_co_ci_u32_e64 v10, null, v10, v49, vcc_lo
	v_sub_co_ci_u32_e64 v15, null, 0, 0, s0
	v_add_co_u32 v13, s0, v14, v13
	v_cmp_gt_i64_e32 vcc_lo, v[9:10], v[28:29]
	v_add_co_ci_u32_e64 v11, null, v15, v11, s0
	v_mov_b32_e32 v38, 0
	v_mov_b32_e32 v36, 0
	v_mov_b32_e32 v46, 0
	v_cndmask_b32_e32 v9, v28, v9, vcc_lo
	v_cndmask_b32_e32 v10, v29, v10, vcc_lo
	v_mov_b32_e32 v42, 0
	v_mov_b32_e32 v44, 0
	;; [unrolled: 1-line block ×3, first 2 shown]
	v_add_co_u32 v9, vcc_lo, v13, v9
	v_mov_b32_e32 v12, 0
	v_mov_b32_e32 v33, 0
	;; [unrolled: 1-line block ×4, first 2 shown]
	v_add_co_ci_u32_e64 v10, null, v11, v10, vcc_lo
	v_and_b32_e32 v11, 24, v9
	v_mov_b32_e32 v37, 0
	v_mov_b32_e32 v47, 0
	;; [unrolled: 1-line block ×5, first 2 shown]
	s_mov_b32 s3, exec_lo
	v_cmpx_ne_u64_e32 24, v[11:12]
	s_cbranch_execz .LBB171_29
; %bb.26:
	v_lshrrev_b32_e32 v13, 3, v9
	v_lshlrev_b64 v[11:12], 2, v[26:27]
	v_mov_b32_e32 v40, 0
	v_mov_b32_e32 v44, 0
	;; [unrolled: 1-line block ×3, first 2 shown]
	v_add_nc_u32_e32 v13, 1, v13
	v_mov_b32_e32 v46, 0
	v_add_co_u32 v11, vcc_lo, s12, v11
	v_mov_b32_e32 v36, 0
	v_and_b32_e32 v13, 3, v13
	v_mov_b32_e32 v38, 0
	v_mov_b32_e32 v34, 0
	;; [unrolled: 1-line block ×4, first 2 shown]
	v_sub_co_u32 v13, s0, 0, v13
	v_mov_b32_e32 v45, 0
	v_mov_b32_e32 v43, 0
	v_add_co_ci_u32_e64 v12, null, s13, v12, vcc_lo
	v_mov_b32_e32 v47, 0
	v_mov_b32_e32 v37, 0
	;; [unrolled: 1-line block ×5, first 2 shown]
	v_sub_co_ci_u32_e64 v14, null, 0, 0, s0
	s_mov_b32 s8, 0
.LBB171_27:                             ; =>This Inner Loop Header: Depth=1
	global_load_dword v23, v[11:12], off
	s_clause 0x1
	global_load_dwordx4 v[15:18], v[30:31], off offset:16
	global_load_dwordx4 v[19:22], v[30:31], off
	v_add_co_u32 v11, s0, v11, 32
	v_add_co_ci_u32_e64 v12, null, 0, v12, s0
	s_waitcnt vmcnt(2)
	v_subrev_nc_u32_e32 v23, s2, v23
	s_waitcnt vmcnt(1)
	v_cvt_f64_f32_e32 v[90:91], v15
	s_waitcnt vmcnt(0)
	v_cvt_f64_f32_e32 v[88:89], v21
	v_cvt_f64_f32_e32 v[21:22], v22
	;; [unrolled: 1-line block ×3, first 2 shown]
	v_lshlrev_b32_e32 v23, 2, v23
	v_cvt_f64_f32_e32 v[92:93], v17
	v_cvt_f64_f32_e32 v[17:18], v18
	v_ashrrev_i32_e32 v24, 31, v23
	v_lshlrev_b64 v[23:24], 4, v[23:24]
	v_add_co_u32 v23, vcc_lo, s6, v23
	v_add_co_ci_u32_e64 v24, null, s7, v24, vcc_lo
	s_clause 0x1
	global_load_dwordx4 v[48:51], v[23:24], off
	global_load_dwordx4 v[52:55], v[23:24], off offset:16
	s_clause 0x3
	global_load_dwordx4 v[56:59], v[30:31], off offset:32
	global_load_dwordx4 v[60:63], v[30:31], off offset:48
	;; [unrolled: 1-line block ×4, first 2 shown]
	s_clause 0x1
	global_load_dwordx4 v[72:75], v[23:24], off offset:32
	global_load_dwordx4 v[76:79], v[23:24], off offset:48
	s_clause 0x1
	global_load_dwordx4 v[80:83], v[30:31], off offset:96
	global_load_dwordx4 v[84:87], v[30:31], off offset:112
	v_cvt_f64_f32_e32 v[23:24], v19
	v_cvt_f64_f32_e32 v[19:20], v20
	v_add_co_u32 v30, vcc_lo, 0x400, v30
	v_add_co_ci_u32_e64 v31, null, 0, v31, vcc_lo
	v_add_co_u32 v13, vcc_lo, v13, 1
	v_add_co_ci_u32_e64 v14, null, 0, v14, vcc_lo
	;; [unrolled: 2-line block ×3, first 2 shown]
	v_cmp_eq_u64_e32 vcc_lo, 0, v[13:14]
	s_or_b32 s8, vcc_lo, s8
	s_waitcnt vmcnt(9)
	v_fma_f64 v[44:45], v[23:24], v[48:49], v[44:45]
	v_fma_f64 v[40:41], v[19:20], v[48:49], v[40:41]
	;; [unrolled: 1-line block ×8, first 2 shown]
	s_waitcnt vmcnt(7)
	v_cvt_f64_f32_e32 v[48:49], v56
	v_cvt_f64_f32_e32 v[56:57], v57
	;; [unrolled: 1-line block ×4, first 2 shown]
	s_waitcnt vmcnt(6)
	v_cvt_f64_f32_e32 v[96:97], v60
	v_cvt_f64_f32_e32 v[60:61], v61
	v_cvt_f64_f32_e32 v[98:99], v62
	v_cvt_f64_f32_e32 v[62:63], v63
	v_fma_f64 v[19:20], -v[19:20], v[50:51], v[44:45]
	v_fma_f64 v[23:24], v[23:24], v[50:51], v[40:41]
	v_fma_f64 v[21:22], -v[21:22], v[50:51], v[46:47]
	v_fma_f64 v[40:41], v[88:89], v[50:51], v[42:43]
	v_fma_f64 v[15:16], -v[15:16], v[50:51], v[38:39]
	v_fma_f64 v[36:37], v[90:91], v[50:51], v[36:37]
	v_fma_f64 v[17:18], -v[17:18], v[50:51], v[32:33]
	v_fma_f64 v[32:33], v[92:93], v[50:51], v[34:35]
	s_waitcnt vmcnt(5)
	v_cvt_f64_f32_e32 v[38:39], v64
	v_cvt_f64_f32_e32 v[42:43], v66
	;; [unrolled: 1-line block ×3, first 2 shown]
	s_waitcnt vmcnt(4)
	v_cvt_f64_f32_e32 v[46:47], v68
	v_cvt_f64_f32_e32 v[50:51], v69
	s_waitcnt vmcnt(0)
	v_cvt_f64_f32_e32 v[66:67], v86
	v_cvt_f64_f32_e32 v[68:69], v87
	v_fma_f64 v[19:20], v[48:49], v[52:53], v[19:20]
	v_fma_f64 v[23:24], v[56:57], v[52:53], v[23:24]
	;; [unrolled: 1-line block ×8, first 2 shown]
	v_cvt_f64_f32_e32 v[40:41], v65
	v_cvt_f64_f32_e32 v[52:53], v70
	;; [unrolled: 1-line block ×3, first 2 shown]
	v_fma_f64 v[19:20], -v[56:57], v[54:55], v[19:20]
	v_fma_f64 v[23:24], v[48:49], v[54:55], v[23:24]
	v_fma_f64 v[21:22], -v[58:59], v[54:55], v[21:22]
	v_fma_f64 v[34:35], v[94:95], v[54:55], v[34:35]
	;; [unrolled: 2-line block ×4, first 2 shown]
	v_cvt_f64_f32_e32 v[48:49], v80
	v_cvt_f64_f32_e32 v[54:55], v81
	v_cvt_f64_f32_e32 v[56:57], v82
	v_cvt_f64_f32_e32 v[58:59], v83
	v_cvt_f64_f32_e32 v[60:61], v84
	v_cvt_f64_f32_e32 v[62:63], v85
	v_fma_f64 v[19:20], v[38:39], v[72:73], v[19:20]
	v_fma_f64 v[23:24], v[40:41], v[72:73], v[23:24]
	;; [unrolled: 1-line block ×8, first 2 shown]
	v_fma_f64 v[19:20], -v[40:41], v[74:75], v[19:20]
	v_fma_f64 v[23:24], v[38:39], v[74:75], v[23:24]
	v_fma_f64 v[21:22], -v[44:45], v[74:75], v[21:22]
	v_fma_f64 v[34:35], v[42:43], v[74:75], v[34:35]
	;; [unrolled: 2-line block ×4, first 2 shown]
	v_fma_f64 v[19:20], v[48:49], v[76:77], v[19:20]
	v_fma_f64 v[23:24], v[54:55], v[76:77], v[23:24]
	;; [unrolled: 1-line block ×8, first 2 shown]
	v_fma_f64 v[44:45], -v[54:55], v[78:79], v[19:20]
	v_fma_f64 v[40:41], v[48:49], v[78:79], v[23:24]
	v_fma_f64 v[46:47], -v[58:59], v[78:79], v[21:22]
	v_fma_f64 v[42:43], v[56:57], v[78:79], v[34:35]
	;; [unrolled: 2-line block ×4, first 2 shown]
	s_andn2_b32 exec_lo, exec_lo, s8
	s_cbranch_execnz .LBB171_27
; %bb.28:
	s_or_b32 exec_lo, exec_lo, s8
.LBB171_29:
	s_or_b32 exec_lo, exec_lo, s3
	s_mov_b32 s3, exec_lo
	v_cmpx_lt_u64_e32 23, v[9:10]
	s_cbranch_execz .LBB171_33
; %bb.30:
	v_lshlrev_b64 v[9:10], 2, v[26:27]
	s_mov_b32 s8, 0
	v_add_co_u32 v9, vcc_lo, s12, v9
	v_add_co_ci_u32_e64 v10, null, s13, v10, vcc_lo
	v_add_co_u32 v9, vcc_lo, v9, 64
	v_add_co_ci_u32_e64 v10, null, 0, v10, vcc_lo
.LBB171_31:                             ; =>This Inner Loop Header: Depth=1
	s_clause 0x1
	global_load_dword v23, v[9:10], off offset:-64
	global_load_dword v92, v[9:10], off offset:-32
	s_clause 0x4
	global_load_dwordx4 v[11:14], v[30:31], off
	global_load_dwordx4 v[15:18], v[30:31], off offset:16
	global_load_dwordx4 v[19:22], v[30:31], off offset:32
	;; [unrolled: 1-line block ×4, first 2 shown]
	s_clause 0x1
	global_load_dword v172, v[9:10], off
	global_load_dword v173, v[9:10], off offset:32
	s_waitcnt vmcnt(8)
	v_subrev_nc_u32_e32 v23, s2, v23
	s_waitcnt vmcnt(7)
	v_subrev_nc_u32_e32 v92, s2, v92
	s_waitcnt vmcnt(6)
	v_cvt_f64_f32_e32 v[134:135], v11
	v_cvt_f64_f32_e32 v[136:137], v12
	;; [unrolled: 1-line block ×3, first 2 shown]
	v_lshlrev_b32_e32 v23, 2, v23
	v_lshlrev_b32_e32 v96, 2, v92
	v_cvt_f64_f32_e32 v[140:141], v14
	s_waitcnt vmcnt(4)
	v_cvt_f64_f32_e32 v[150:151], v19
	v_cvt_f64_f32_e32 v[152:153], v20
	v_ashrrev_i32_e32 v24, 31, v23
	v_ashrrev_i32_e32 v97, 31, v96
	v_cvt_f64_f32_e32 v[142:143], v15
	v_cvt_f64_f32_e32 v[144:145], v16
	;; [unrolled: 1-line block ×3, first 2 shown]
	v_lshlrev_b64 v[23:24], 4, v[23:24]
	v_cvt_f64_f32_e32 v[148:149], v18
	v_cvt_f64_f32_e32 v[154:155], v21
	;; [unrolled: 1-line block ×3, first 2 shown]
	s_waitcnt vmcnt(3)
	v_cvt_f64_f32_e32 v[158:159], v48
	v_cvt_f64_f32_e32 v[48:49], v49
	v_add_co_u32 v23, vcc_lo, s6, v23
	v_add_co_ci_u32_e64 v24, null, s7, v24, vcc_lo
	v_cvt_f64_f32_e32 v[160:161], v50
	v_cvt_f64_f32_e32 v[50:51], v51
	s_waitcnt vmcnt(2)
	v_cvt_f64_f32_e32 v[164:165], v54
	global_load_dwordx4 v[56:59], v[23:24], off
	global_load_dwordx4 v[60:63], v[30:31], off offset:80
	global_load_dwordx4 v[64:67], v[23:24], off offset:16
	s_clause 0x1
	global_load_dwordx4 v[68:71], v[30:31], off offset:96
	global_load_dwordx4 v[72:75], v[30:31], off offset:112
	;; [unrolled: 1-line block ×3, first 2 shown]
	s_clause 0x2
	global_load_dwordx4 v[80:83], v[30:31], off offset:1024
	global_load_dwordx4 v[84:87], v[30:31], off offset:1040
	;; [unrolled: 1-line block ×4, first 2 shown]
	v_lshlrev_b64 v[23:24], 4, v[96:97]
	v_cvt_f64_f32_e32 v[166:167], v55
	v_cvt_f64_f32_e32 v[162:163], v52
	;; [unrolled: 1-line block ×3, first 2 shown]
	v_add_co_u32 v23, vcc_lo, s6, v23
	v_add_co_ci_u32_e64 v24, null, s7, v24, vcc_lo
	v_add_co_u32 v132, vcc_lo, 0x800, v30
	global_load_dwordx4 v[96:99], v[23:24], off
	global_load_dwordx4 v[100:103], v[30:31], off offset:1072
	v_add_co_ci_u32_e64 v133, null, 0, v31, vcc_lo
	s_clause 0x5
	global_load_dwordx4 v[104:107], v[30:31], off offset:1088
	global_load_dwordx4 v[108:111], v[30:31], off offset:1104
	;; [unrolled: 1-line block ×4, first 2 shown]
	global_load_dwordx4 v[120:123], v[132:133], off
	global_load_dwordx4 v[124:127], v[132:133], off offset:16
	s_clause 0x1
	global_load_dwordx4 v[128:131], v[23:24], off offset:16
	global_load_dwordx4 v[11:14], v[23:24], off offset:32
	v_add_co_u32 v30, s0, 0x1000, v30
	v_add_co_ci_u32_e64 v31, null, 0, v31, s0
	s_waitcnt vmcnt(19)
	v_fma_f64 v[19:20], v[136:137], v[56:57], v[40:41]
	v_fma_f64 v[40:41], v[140:141], v[56:57], v[42:43]
	;; [unrolled: 1-line block ×7, first 2 shown]
	s_waitcnt vmcnt(18)
	v_cvt_f64_f32_e32 v[168:169], v60
	v_cvt_f64_f32_e32 v[60:61], v61
	;; [unrolled: 1-line block ×4, first 2 shown]
	v_fma_f64 v[46:47], v[134:135], v[58:59], v[19:20]
	v_fma_f64 v[134:135], v[138:139], v[58:59], v[40:41]
	global_load_dwordx4 v[40:43], v[23:24], off offset:48
	v_fma_f64 v[23:24], v[142:143], v[56:57], v[38:39]
	v_fma_f64 v[44:45], -v[136:137], v[58:59], v[15:16]
	v_subrev_nc_u32_e32 v136, s2, v172
	v_fma_f64 v[54:55], -v[140:141], v[58:59], v[21:22]
	v_fma_f64 v[36:37], v[142:143], v[58:59], v[36:37]
	v_fma_f64 v[56:57], -v[148:149], v[58:59], v[32:33]
	s_clause 0x1
	global_load_dwordx4 v[15:18], v[132:133], off offset:32
	global_load_dwordx4 v[19:22], v[132:133], off offset:48
	v_lshlrev_b32_e32 v38, 2, v136
	s_waitcnt vmcnt(19)
	v_cvt_f64_f32_e32 v[138:139], v68
	v_cvt_f64_f32_e32 v[140:141], v70
	s_waitcnt vmcnt(18)
	v_cvt_f64_f32_e32 v[148:149], v74
	v_cvt_f64_f32_e32 v[74:75], v75
	v_ashrrev_i32_e32 v39, 31, v38
	v_lshlrev_b64 v[38:39], 4, v[38:39]
	v_fma_f64 v[23:24], -v[144:145], v[58:59], v[23:24]
	v_fma_f64 v[58:59], v[146:147], v[58:59], v[34:35]
	v_add_co_u32 v136, vcc_lo, s6, v38
	v_add_co_ci_u32_e64 v137, null, s7, v39, vcc_lo
	v_fma_f64 v[38:39], v[150:151], v[64:65], v[44:45]
	v_fma_f64 v[44:45], v[152:153], v[64:65], v[46:47]
	;; [unrolled: 1-line block ×3, first 2 shown]
	global_load_dwordx4 v[32:35], v[136:137], off
	v_fma_f64 v[54:55], v[156:157], v[64:65], v[134:135]
	v_fma_f64 v[134:135], v[48:49], v[64:65], v[36:37]
	;; [unrolled: 1-line block ×3, first 2 shown]
	v_cvt_f64_f32_e32 v[146:147], v72
	v_cvt_f64_f32_e32 v[72:73], v73
	v_fma_f64 v[23:24], v[158:159], v[64:65], v[23:24]
	v_fma_f64 v[58:59], v[50:51], v[64:65], v[58:59]
	v_cvt_f64_f32_e32 v[64:65], v69
	v_cvt_f64_f32_e32 v[68:69], v71
	v_fma_f64 v[70:71], -v[152:153], v[66:67], v[38:39]
	v_fma_f64 v[142:143], v[150:151], v[66:67], v[44:45]
	v_fma_f64 v[144:145], -v[156:157], v[66:67], v[46:47]
	s_clause 0x1
	global_load_dwordx4 v[36:39], v[132:133], off offset:64
	global_load_dwordx4 v[44:47], v[132:133], off offset:80
	v_fma_f64 v[54:55], v[154:155], v[66:67], v[54:55]
	v_fma_f64 v[134:135], v[158:159], v[66:67], v[134:135]
	v_fma_f64 v[56:57], -v[50:51], v[66:67], v[56:57]
	s_waitcnt vmcnt(19)
	v_cvt_f64_f32_e32 v[152:153], v80
	v_cvt_f64_f32_e32 v[80:81], v81
	;; [unrolled: 1-line block ×4, first 2 shown]
	s_waitcnt vmcnt(18)
	v_cvt_f64_f32_e32 v[156:157], v84
	v_cvt_f64_f32_e32 v[84:85], v85
	s_waitcnt vmcnt(17)
	v_cvt_f64_f32_e32 v[158:159], v90
	v_cvt_f64_f32_e32 v[90:91], v91
	v_fma_f64 v[23:24], -v[48:49], v[66:67], v[23:24]
	v_fma_f64 v[58:59], v[160:161], v[66:67], v[58:59]
	global_load_dwordx4 v[48:51], v[136:137], off offset:16
	v_fma_f64 v[66:67], v[162:163], v[76:77], v[70:71]
	v_fma_f64 v[70:71], v[52:53], v[76:77], v[142:143]
	;; [unrolled: 1-line block ×8, first 2 shown]
	global_load_dwordx4 v[56:59], v[132:133], off offset:112
	v_fma_f64 v[66:67], -v[52:53], v[78:79], v[66:67]
	v_fma_f64 v[70:71], v[162:163], v[78:79], v[70:71]
	v_fma_f64 v[142:143], -v[166:167], v[78:79], v[142:143]
	global_load_dwordx4 v[52:55], v[132:133], off offset:96
	v_fma_f64 v[144:145], v[164:165], v[78:79], v[144:145]
	v_fma_f64 v[134:135], v[168:169], v[78:79], v[134:135]
	v_fma_f64 v[150:151], -v[62:63], v[78:79], v[150:151]
	v_fma_f64 v[23:24], -v[60:61], v[78:79], v[23:24]
	v_fma_f64 v[76:77], v[170:171], v[78:79], v[76:77]
	global_load_dwordx4 v[60:63], v[136:137], off offset:32
	v_cvt_f64_f32_e32 v[78:79], v86
	v_cvt_f64_f32_e32 v[86:87], v87
	s_waitcnt vmcnt(20)
	v_fma_f64 v[66:67], v[138:139], v[92:93], v[66:67]
	v_fma_f64 v[70:71], v[64:65], v[92:93], v[70:71]
	;; [unrolled: 1-line block ×8, first 2 shown]
	v_cvt_f64_f32_e32 v[92:93], v88
	v_cvt_f64_f32_e32 v[88:89], v89
	v_fma_f64 v[160:161], -v[64:65], v[94:95], v[66:67]
	v_fma_f64 v[138:139], v[138:139], v[94:95], v[70:71]
	v_fma_f64 v[142:143], -v[68:69], v[94:95], v[142:143]
	s_clause 0x1
	global_load_dwordx4 v[64:67], v[132:133], off offset:1040
	global_load_dwordx4 v[68:71], v[132:133], off offset:1024
	v_fma_f64 v[140:141], v[140:141], v[94:95], v[144:145]
	v_fma_f64 v[134:135], v[146:147], v[94:95], v[134:135]
	v_fma_f64 v[150:151], -v[74:75], v[94:95], v[150:151]
	s_waitcnt vmcnt(20)
	v_cvt_f64_f32_e32 v[146:147], v102
	v_cvt_f64_f32_e32 v[144:145], v100
	;; [unrolled: 1-line block ×3, first 2 shown]
	v_fma_f64 v[23:24], -v[72:73], v[94:95], v[23:24]
	v_fma_f64 v[76:77], v[148:149], v[94:95], v[76:77]
	v_subrev_nc_u32_e32 v72, s2, v173
	v_cvt_f64_f32_e32 v[94:95], v103
	v_lshlrev_b32_e32 v102, 2, v72
	global_load_dwordx4 v[72:75], v[136:137], off offset:48
	v_fma_f64 v[136:137], v[152:153], v[96:97], v[160:161]
	v_fma_f64 v[138:139], v[80:81], v[96:97], v[138:139]
	;; [unrolled: 1-line block ×6, first 2 shown]
	v_ashrrev_i32_e32 v103, 31, v102
	s_waitcnt vmcnt(19)
	v_cvt_f64_f32_e32 v[150:151], v108
	v_cvt_f64_f32_e32 v[108:109], v109
	v_fma_f64 v[23:24], v[156:157], v[96:97], v[23:24]
	v_fma_f64 v[76:77], v[86:87], v[96:97], v[76:77]
	v_lshlrev_b64 v[96:97], 4, v[102:103]
	v_add_co_u32 v102, vcc_lo, s6, v96
	v_fma_f64 v[136:137], -v[80:81], v[98:99], v[136:137]
	v_fma_f64 v[138:139], v[152:153], v[98:99], v[138:139]
	v_fma_f64 v[142:143], -v[82:83], v[98:99], v[142:143]
	v_fma_f64 v[140:141], v[154:155], v[98:99], v[140:141]
	v_fma_f64 v[86:87], -v[86:87], v[98:99], v[148:149]
	v_add_co_ci_u32_e64 v103, null, s7, v97, vcc_lo
	v_cvt_f64_f32_e32 v[148:149], v106
	v_cvt_f64_f32_e32 v[106:107], v107
	;; [unrolled: 1-line block ×4, first 2 shown]
	s_waitcnt vmcnt(17)
	v_cvt_f64_f32_e32 v[154:155], v118
	v_fma_f64 v[23:24], -v[84:85], v[98:99], v[23:24]
	v_fma_f64 v[84:85], v[156:157], v[98:99], v[134:135]
	v_fma_f64 v[98:99], v[78:79], v[98:99], v[76:77]
	global_load_dwordx4 v[76:79], v[102:103], off
	global_load_dwordx4 v[80:83], v[132:133], off offset:1056
	v_cvt_f64_f32_e32 v[118:119], v119
	v_add_co_u32 v26, vcc_lo, v26, 32
	v_add_co_ci_u32_e64 v27, null, 0, v27, vcc_lo
	v_add_co_u32 v9, vcc_lo, 0x80, v9
	s_waitcnt vmcnt(16)
	v_fma_f64 v[96:97], v[92:93], v[128:129], v[136:137]
	v_fma_f64 v[134:135], v[88:89], v[128:129], v[138:139]
	;; [unrolled: 1-line block ×5, first 2 shown]
	v_add_co_ci_u32_e64 v10, null, 0, v10, vcc_lo
	v_cmp_ge_i64_e32 vcc_lo, v[26:27], v[28:29]
	v_fma_f64 v[23:24], v[144:145], v[128:129], v[23:24]
	v_fma_f64 v[140:141], v[100:101], v[128:129], v[84:85]
	;; [unrolled: 1-line block ×3, first 2 shown]
	global_load_dwordx4 v[84:87], v[132:133], off offset:1072
	v_cvt_f64_f32_e32 v[128:129], v104
	v_cvt_f64_f32_e32 v[104:105], v105
	s_or_b32 s8, vcc_lo, s8
	v_fma_f64 v[96:97], -v[88:89], v[130:131], v[96:97]
	v_fma_f64 v[134:135], v[92:93], v[130:131], v[134:135]
	v_fma_f64 v[136:137], -v[90:91], v[130:131], v[136:137]
	v_fma_f64 v[138:139], v[158:159], v[130:131], v[138:139]
	;; [unrolled: 2-line block ×4, first 2 shown]
	global_load_dwordx4 v[88:91], v[102:103], off offset:16
	global_load_dwordx4 v[92:95], v[132:133], off offset:1088
	v_cvt_f64_f32_e32 v[142:143], v112
	v_cvt_f64_f32_e32 v[112:113], v113
	;; [unrolled: 1-line block ×6, first 2 shown]
	s_waitcnt vmcnt(18)
	v_fma_f64 v[130:131], v[128:129], v[11:12], v[96:97]
	v_fma_f64 v[134:135], v[104:105], v[11:12], v[134:135]
	;; [unrolled: 1-line block ×8, first 2 shown]
	global_load_dwordx4 v[96:99], v[132:133], off offset:1104
	v_fma_f64 v[130:131], -v[104:105], v[13:14], v[130:131]
	v_fma_f64 v[128:129], v[128:129], v[13:14], v[134:135]
	v_fma_f64 v[134:135], -v[106:107], v[13:14], v[136:137]
	v_fma_f64 v[136:137], v[148:149], v[13:14], v[138:139]
	;; [unrolled: 2-line block ×4, first 2 shown]
	s_clause 0x1
	global_load_dwordx4 v[11:14], v[102:103], off offset:32
	global_load_dwordx4 v[100:103], v[102:103], off offset:48
	;; [unrolled: 1-line block ×3, first 2 shown]
	v_cvt_f64_f32_e32 v[150:151], v124
	v_cvt_f64_f32_e32 v[124:125], v125
	;; [unrolled: 1-line block ×4, first 2 shown]
	s_waitcnt vmcnt(21)
	v_fma_f64 v[130:131], v[142:143], v[40:41], v[130:131]
	v_fma_f64 v[128:129], v[112:113], v[40:41], v[128:129]
	;; [unrolled: 1-line block ×8, first 2 shown]
	global_load_dwordx4 v[108:111], v[132:133], off offset:1136
	v_cvt_f64_f32_e32 v[132:133], v120
	v_cvt_f64_f32_e32 v[120:121], v121
	;; [unrolled: 1-line block ×4, first 2 shown]
	v_fma_f64 v[112:113], -v[112:113], v[42:43], v[130:131]
	v_fma_f64 v[128:129], v[142:143], v[42:43], v[128:129]
	v_fma_f64 v[114:115], -v[114:115], v[42:43], v[134:135]
	v_fma_f64 v[130:131], v[144:145], v[42:43], v[136:137]
	;; [unrolled: 2-line block ×4, first 2 shown]
	s_waitcnt vmcnt(20)
	v_cvt_f64_f32_e32 v[134:135], v19
	v_cvt_f64_f32_e32 v[19:20], v20
	;; [unrolled: 1-line block ×4, first 2 shown]
	s_waitcnt vmcnt(19)
	v_fma_f64 v[42:43], v[132:133], v[32:33], v[112:113]
	v_fma_f64 v[112:113], v[120:121], v[32:33], v[128:129]
	;; [unrolled: 1-line block ×8, first 2 shown]
	v_cvt_f64_f32_e32 v[40:41], v15
	v_cvt_f64_f32_e32 v[15:16], v16
	;; [unrolled: 1-line block ×4, first 2 shown]
	v_fma_f64 v[42:43], -v[120:121], v[34:35], v[42:43]
	v_fma_f64 v[112:113], v[132:133], v[34:35], v[112:113]
	v_fma_f64 v[114:115], -v[122:123], v[34:35], v[114:115]
	v_fma_f64 v[120:121], v[138:139], v[34:35], v[128:129]
	;; [unrolled: 2-line block ×4, first 2 shown]
	s_waitcnt vmcnt(17)
	v_cvt_f64_f32_e32 v[122:123], v44
	v_cvt_f64_f32_e32 v[44:45], v45
	;; [unrolled: 1-line block ×4, first 2 shown]
	s_waitcnt vmcnt(16)
	v_fma_f64 v[34:35], v[40:41], v[48:49], v[42:43]
	v_fma_f64 v[42:43], v[15:16], v[48:49], v[112:113]
	;; [unrolled: 1-line block ×8, first 2 shown]
	v_cvt_f64_f32_e32 v[48:49], v36
	v_cvt_f64_f32_e32 v[36:37], v37
	;; [unrolled: 1-line block ×4, first 2 shown]
	v_fma_f64 v[15:16], -v[15:16], v[50:51], v[34:35]
	v_fma_f64 v[34:35], v[40:41], v[50:51], v[42:43]
	v_fma_f64 v[17:18], -v[17:18], v[50:51], v[112:113]
	v_fma_f64 v[40:41], v[130:131], v[50:51], v[114:115]
	;; [unrolled: 2-line block ×4, first 2 shown]
	s_waitcnt vmcnt(14)
	v_cvt_f64_f32_e32 v[42:43], v52
	v_cvt_f64_f32_e32 v[50:51], v53
	v_cvt_f64_f32_e32 v[52:53], v54
	v_cvt_f64_f32_e32 v[54:55], v55
	v_cvt_f64_f32_e32 v[112:113], v58
	v_cvt_f64_f32_e32 v[58:59], v59
	s_waitcnt vmcnt(13)
	v_fma_f64 v[15:16], v[48:49], v[60:61], v[15:16]
	v_fma_f64 v[34:35], v[36:37], v[60:61], v[34:35]
	;; [unrolled: 1-line block ×8, first 2 shown]
	v_cvt_f64_f32_e32 v[60:61], v56
	v_cvt_f64_f32_e32 v[56:57], v57
	v_fma_f64 v[15:16], -v[36:37], v[62:63], v[15:16]
	v_fma_f64 v[34:35], v[48:49], v[62:63], v[34:35]
	v_fma_f64 v[17:18], -v[38:39], v[62:63], v[17:18]
	v_fma_f64 v[36:37], v[120:121], v[62:63], v[40:41]
	;; [unrolled: 2-line block ×4, first 2 shown]
	s_waitcnt vmcnt(11)
	v_cvt_f64_f32_e32 v[38:39], v68
	v_cvt_f64_f32_e32 v[40:41], v69
	;; [unrolled: 1-line block ×8, first 2 shown]
	s_waitcnt vmcnt(10)
	v_fma_f64 v[15:16], v[42:43], v[72:73], v[15:16]
	v_fma_f64 v[34:35], v[50:51], v[72:73], v[34:35]
	;; [unrolled: 1-line block ×8, first 2 shown]
	v_fma_f64 v[15:16], -v[50:51], v[74:75], v[15:16]
	v_fma_f64 v[34:35], v[42:43], v[74:75], v[34:35]
	v_fma_f64 v[17:18], -v[54:55], v[74:75], v[17:18]
	v_fma_f64 v[36:37], v[52:53], v[74:75], v[36:37]
	;; [unrolled: 2-line block ×4, first 2 shown]
	s_waitcnt vmcnt(8)
	v_cvt_f64_f32_e32 v[42:43], v80
	v_cvt_f64_f32_e32 v[50:51], v81
	;; [unrolled: 1-line block ×4, first 2 shown]
	v_fma_f64 v[15:16], v[38:39], v[76:77], v[15:16]
	v_fma_f64 v[34:35], v[40:41], v[76:77], v[34:35]
	;; [unrolled: 1-line block ×8, first 2 shown]
	s_waitcnt vmcnt(7)
	v_cvt_f64_f32_e32 v[56:57], v84
	v_cvt_f64_f32_e32 v[58:59], v85
	;; [unrolled: 1-line block ×4, first 2 shown]
	v_fma_f64 v[15:16], -v[40:41], v[78:79], v[15:16]
	v_fma_f64 v[34:35], v[38:39], v[78:79], v[34:35]
	v_fma_f64 v[17:18], -v[46:47], v[78:79], v[17:18]
	v_fma_f64 v[36:37], v[44:45], v[78:79], v[36:37]
	;; [unrolled: 2-line block ×4, first 2 shown]
	s_waitcnt vmcnt(5)
	v_cvt_f64_f32_e32 v[38:39], v92
	v_cvt_f64_f32_e32 v[40:41], v93
	;; [unrolled: 1-line block ×4, first 2 shown]
	v_fma_f64 v[15:16], v[42:43], v[88:89], v[15:16]
	v_fma_f64 v[34:35], v[50:51], v[88:89], v[34:35]
	;; [unrolled: 1-line block ×8, first 2 shown]
	s_waitcnt vmcnt(4)
	v_cvt_f64_f32_e32 v[48:49], v96
	v_cvt_f64_f32_e32 v[62:63], v97
	v_cvt_f64_f32_e32 v[64:65], v98
	v_cvt_f64_f32_e32 v[66:67], v99
	v_fma_f64 v[15:16], -v[50:51], v[90:91], v[15:16]
	v_fma_f64 v[34:35], v[42:43], v[90:91], v[34:35]
	v_fma_f64 v[17:18], -v[54:55], v[90:91], v[17:18]
	v_fma_f64 v[36:37], v[52:53], v[90:91], v[36:37]
	;; [unrolled: 2-line block ×4, first 2 shown]
	s_waitcnt vmcnt(1)
	v_cvt_f64_f32_e32 v[42:43], v105
	v_cvt_f64_f32_e32 v[50:51], v106
	v_cvt_f64_f32_e32 v[52:53], v107
	v_fma_f64 v[15:16], v[38:39], v[11:12], v[15:16]
	v_fma_f64 v[34:35], v[40:41], v[11:12], v[34:35]
	;; [unrolled: 1-line block ×8, first 2 shown]
	v_cvt_f64_f32_e32 v[32:33], v104
	s_waitcnt vmcnt(0)
	v_cvt_f64_f32_e32 v[54:55], v108
	v_cvt_f64_f32_e32 v[56:57], v109
	;; [unrolled: 1-line block ×4, first 2 shown]
	v_fma_f64 v[15:16], -v[40:41], v[13:14], v[15:16]
	v_fma_f64 v[34:35], v[38:39], v[13:14], v[34:35]
	v_fma_f64 v[17:18], -v[46:47], v[13:14], v[17:18]
	v_fma_f64 v[36:37], v[44:45], v[13:14], v[36:37]
	;; [unrolled: 2-line block ×4, first 2 shown]
	v_fma_f64 v[13:14], v[32:33], v[100:101], v[15:16]
	v_fma_f64 v[15:16], v[42:43], v[100:101], v[34:35]
	;; [unrolled: 1-line block ×8, first 2 shown]
	v_fma_f64 v[44:45], -v[42:43], v[102:103], v[13:14]
	v_fma_f64 v[40:41], v[32:33], v[102:103], v[15:16]
	v_fma_f64 v[46:47], -v[52:53], v[102:103], v[17:18]
	v_fma_f64 v[42:43], v[50:51], v[102:103], v[34:35]
	;; [unrolled: 2-line block ×4, first 2 shown]
	s_andn2_b32 exec_lo, exec_lo, s8
	s_cbranch_execnz .LBB171_31
; %bb.32:
	s_or_b32 exec_lo, exec_lo, s8
.LBB171_33:
	s_or_b32 exec_lo, exec_lo, s3
.LBB171_34:
	s_or_b32 exec_lo, exec_lo, s1
.LBB171_35:
	v_mbcnt_lo_u32_b32 v48, -1, 0
	v_xor_b32_e32 v9, 4, v48
	v_xor_b32_e32 v26, 2, v48
	v_cmp_gt_i32_e32 vcc_lo, 32, v9
	v_cndmask_b32_e32 v9, v48, v9, vcc_lo
	v_cmp_gt_i32_e32 vcc_lo, 32, v26
	v_lshlrev_b32_e32 v24, 2, v9
	v_cndmask_b32_e32 v28, v48, v26, vcc_lo
	ds_bpermute_b32 v9, v24, v44
	ds_bpermute_b32 v10, v24, v45
	;; [unrolled: 1-line block ×16, first 2 shown]
	s_waitcnt lgkmcnt(14)
	v_add_f64 v[9:10], v[44:45], v[9:10]
	s_waitcnt lgkmcnt(12)
	v_add_f64 v[11:12], v[40:41], v[11:12]
	v_lshlrev_b32_e32 v41, 2, v28
	s_waitcnt lgkmcnt(10)
	v_add_f64 v[13:14], v[46:47], v[13:14]
	s_waitcnt lgkmcnt(8)
	v_add_f64 v[15:16], v[42:43], v[15:16]
	;; [unrolled: 2-line block ×6, first 2 shown]
	ds_bpermute_b32 v23, v41, v9
	ds_bpermute_b32 v24, v41, v10
	;; [unrolled: 1-line block ×16, first 2 shown]
	s_waitcnt lgkmcnt(14)
	v_add_f64 v[9:10], v[9:10], v[23:24]
	s_waitcnt lgkmcnt(12)
	v_add_f64 v[28:29], v[11:12], v[28:29]
	;; [unrolled: 2-line block ×3, first 2 shown]
	v_xor_b32_e32 v30, 1, v48
	s_waitcnt lgkmcnt(8)
	v_add_f64 v[23:24], v[15:16], v[32:33]
	s_waitcnt lgkmcnt(6)
	v_add_f64 v[13:14], v[17:18], v[34:35]
	;; [unrolled: 2-line block ×3, first 2 shown]
	v_cmp_gt_i32_e32 vcc_lo, 32, v30
	s_waitcnt lgkmcnt(2)
	v_add_f64 v[15:16], v[21:22], v[38:39]
	s_waitcnt lgkmcnt(0)
	v_add_f64 v[19:20], v[26:27], v[40:41]
	v_cndmask_b32_e32 v30, v48, v30, vcc_lo
	v_cmp_eq_u32_e32 vcc_lo, 7, v0
	v_lshlrev_b32_e32 v35, 2, v30
	ds_bpermute_b32 v21, v35, v9
	ds_bpermute_b32 v22, v35, v10
	;; [unrolled: 1-line block ×16, first 2 shown]
	s_and_b32 exec_lo, exec_lo, vcc_lo
	s_cbranch_execz .LBB171_8
; %bb.36:
	s_waitcnt lgkmcnt(12)
	v_add_f64 v[28:29], v[28:29], v[40:41]
	s_waitcnt lgkmcnt(8)
	v_add_f64 v[23:24], v[23:24], v[38:39]
	;; [unrolled: 2-line block ×4, first 2 shown]
	v_add_f64 v[9:10], v[9:10], v[21:22]
	v_add_f64 v[11:12], v[11:12], v[26:27]
	;; [unrolled: 1-line block ×4, first 2 shown]
	v_cmp_eq_f64_e32 vcc_lo, 0, v[1:2]
	v_cmp_eq_f64_e64 s0, 0, v[3:4]
	s_load_dwordx2 s[2:3], s[4:5], 0x60
	v_mul_f64 v[13:14], v[28:29], -v[7:8]
	v_mul_f64 v[15:16], v[5:6], v[28:29]
	v_mul_f64 v[28:29], v[23:24], -v[7:8]
	v_mul_f64 v[23:24], v[5:6], v[23:24]
	;; [unrolled: 2-line block ×4, first 2 shown]
	s_and_b32 s0, vcc_lo, s0
	v_fma_f64 v[17:18], v[5:6], v[9:10], v[13:14]
	v_fma_f64 v[19:20], v[7:8], v[9:10], v[15:16]
	;; [unrolled: 1-line block ×8, first 2 shown]
	v_lshlrev_b32_e32 v21, 2, v25
	s_and_saveexec_b32 s1, s0
	s_xor_b32 s0, exec_lo, s1
	s_cbranch_execz .LBB171_38
; %bb.37:
	v_ashrrev_i32_e32 v22, 31, v21
	v_lshlrev_b64 v[0:1], 4, v[21:22]
                                        ; implicit-def: $vgpr21
	s_waitcnt lgkmcnt(0)
	v_add_co_u32 v0, vcc_lo, s2, v0
	v_add_co_ci_u32_e64 v1, null, s3, v1, vcc_lo
	global_store_dwordx4 v[0:1], v[17:20], off
	global_store_dwordx4 v[0:1], v[13:16], off offset:16
	global_store_dwordx4 v[0:1], v[9:12], off offset:32
	;; [unrolled: 1-line block ×3, first 2 shown]
                                        ; implicit-def: $vgpr3_vgpr4
                                        ; implicit-def: $vgpr17_vgpr18
                                        ; implicit-def: $vgpr13_vgpr14
                                        ; implicit-def: $vgpr9_vgpr10
                                        ; implicit-def: $vgpr5_vgpr6
.LBB171_38:
	s_andn2_saveexec_b32 s0, s0
	s_cbranch_execz .LBB171_8
; %bb.39:
	v_ashrrev_i32_e32 v22, 31, v21
	v_lshlrev_b64 v[21:22], 4, v[21:22]
	s_waitcnt lgkmcnt(0)
	v_add_co_u32 v37, vcc_lo, s2, v21
	v_add_co_ci_u32_e64 v38, null, s3, v22, vcc_lo
	s_clause 0x3
	global_load_dwordx4 v[21:24], v[37:38], off
	global_load_dwordx4 v[25:28], v[37:38], off offset:16
	global_load_dwordx4 v[29:32], v[37:38], off offset:32
	;; [unrolled: 1-line block ×3, first 2 shown]
	s_waitcnt vmcnt(3)
	v_fma_f64 v[17:18], v[1:2], v[21:22], v[17:18]
	v_fma_f64 v[19:20], v[3:4], v[21:22], v[19:20]
	s_waitcnt vmcnt(2)
	v_fma_f64 v[13:14], v[1:2], v[25:26], v[13:14]
	v_fma_f64 v[15:16], v[3:4], v[25:26], v[15:16]
	;; [unrolled: 3-line block ×4, first 2 shown]
	v_fma_f64 v[5:6], -v[3:4], v[23:24], v[17:18]
	v_fma_f64 v[7:8], v[1:2], v[23:24], v[19:20]
	v_fma_f64 v[9:10], -v[3:4], v[27:28], v[13:14]
	v_fma_f64 v[11:12], v[1:2], v[27:28], v[15:16]
	;; [unrolled: 2-line block ×4, first 2 shown]
	global_store_dwordx4 v[37:38], v[5:8], off
	global_store_dwordx4 v[37:38], v[9:12], off offset:16
	global_store_dwordx4 v[37:38], v[13:16], off offset:32
	;; [unrolled: 1-line block ×3, first 2 shown]
	s_endpgm
	.section	.rodata,"a",@progbits
	.p2align	6, 0x0
	.amdhsa_kernel _ZN9rocsparseL18bsrxmvn_4x4_kernelILj128ELj8E21rocsparse_complex_numIdEliS1_IfES2_S2_EEvT3_20rocsparse_direction_NS_24const_host_device_scalarIT1_EES4_PKS4_PKT2_SD_SA_PKT4_PKT5_S8_PT6_21rocsparse_index_base_b
		.amdhsa_group_segment_fixed_size 0
		.amdhsa_private_segment_fixed_size 0
		.amdhsa_kernarg_size 112
		.amdhsa_user_sgpr_count 6
		.amdhsa_user_sgpr_private_segment_buffer 1
		.amdhsa_user_sgpr_dispatch_ptr 0
		.amdhsa_user_sgpr_queue_ptr 0
		.amdhsa_user_sgpr_kernarg_segment_ptr 1
		.amdhsa_user_sgpr_dispatch_id 0
		.amdhsa_user_sgpr_flat_scratch_init 0
		.amdhsa_user_sgpr_private_segment_size 0
		.amdhsa_wavefront_size32 1
		.amdhsa_uses_dynamic_stack 0
		.amdhsa_system_sgpr_private_segment_wavefront_offset 0
		.amdhsa_system_sgpr_workgroup_id_x 1
		.amdhsa_system_sgpr_workgroup_id_y 0
		.amdhsa_system_sgpr_workgroup_id_z 0
		.amdhsa_system_sgpr_workgroup_info 0
		.amdhsa_system_vgpr_workitem_id 0
		.amdhsa_next_free_vgpr 207
		.amdhsa_next_free_sgpr 16
		.amdhsa_reserve_vcc 1
		.amdhsa_reserve_flat_scratch 0
		.amdhsa_float_round_mode_32 0
		.amdhsa_float_round_mode_16_64 0
		.amdhsa_float_denorm_mode_32 3
		.amdhsa_float_denorm_mode_16_64 3
		.amdhsa_dx10_clamp 1
		.amdhsa_ieee_mode 1
		.amdhsa_fp16_overflow 0
		.amdhsa_workgroup_processor_mode 1
		.amdhsa_memory_ordered 1
		.amdhsa_forward_progress 1
		.amdhsa_shared_vgpr_count 0
		.amdhsa_exception_fp_ieee_invalid_op 0
		.amdhsa_exception_fp_denorm_src 0
		.amdhsa_exception_fp_ieee_div_zero 0
		.amdhsa_exception_fp_ieee_overflow 0
		.amdhsa_exception_fp_ieee_underflow 0
		.amdhsa_exception_fp_ieee_inexact 0
		.amdhsa_exception_int_div_zero 0
	.end_amdhsa_kernel
	.section	.text._ZN9rocsparseL18bsrxmvn_4x4_kernelILj128ELj8E21rocsparse_complex_numIdEliS1_IfES2_S2_EEvT3_20rocsparse_direction_NS_24const_host_device_scalarIT1_EES4_PKS4_PKT2_SD_SA_PKT4_PKT5_S8_PT6_21rocsparse_index_base_b,"axG",@progbits,_ZN9rocsparseL18bsrxmvn_4x4_kernelILj128ELj8E21rocsparse_complex_numIdEliS1_IfES2_S2_EEvT3_20rocsparse_direction_NS_24const_host_device_scalarIT1_EES4_PKS4_PKT2_SD_SA_PKT4_PKT5_S8_PT6_21rocsparse_index_base_b,comdat
.Lfunc_end171:
	.size	_ZN9rocsparseL18bsrxmvn_4x4_kernelILj128ELj8E21rocsparse_complex_numIdEliS1_IfES2_S2_EEvT3_20rocsparse_direction_NS_24const_host_device_scalarIT1_EES4_PKS4_PKT2_SD_SA_PKT4_PKT5_S8_PT6_21rocsparse_index_base_b, .Lfunc_end171-_ZN9rocsparseL18bsrxmvn_4x4_kernelILj128ELj8E21rocsparse_complex_numIdEliS1_IfES2_S2_EEvT3_20rocsparse_direction_NS_24const_host_device_scalarIT1_EES4_PKS4_PKT2_SD_SA_PKT4_PKT5_S8_PT6_21rocsparse_index_base_b
                                        ; -- End function
	.set _ZN9rocsparseL18bsrxmvn_4x4_kernelILj128ELj8E21rocsparse_complex_numIdEliS1_IfES2_S2_EEvT3_20rocsparse_direction_NS_24const_host_device_scalarIT1_EES4_PKS4_PKT2_SD_SA_PKT4_PKT5_S8_PT6_21rocsparse_index_base_b.num_vgpr, 207
	.set _ZN9rocsparseL18bsrxmvn_4x4_kernelILj128ELj8E21rocsparse_complex_numIdEliS1_IfES2_S2_EEvT3_20rocsparse_direction_NS_24const_host_device_scalarIT1_EES4_PKS4_PKT2_SD_SA_PKT4_PKT5_S8_PT6_21rocsparse_index_base_b.num_agpr, 0
	.set _ZN9rocsparseL18bsrxmvn_4x4_kernelILj128ELj8E21rocsparse_complex_numIdEliS1_IfES2_S2_EEvT3_20rocsparse_direction_NS_24const_host_device_scalarIT1_EES4_PKS4_PKT2_SD_SA_PKT4_PKT5_S8_PT6_21rocsparse_index_base_b.numbered_sgpr, 16
	.set _ZN9rocsparseL18bsrxmvn_4x4_kernelILj128ELj8E21rocsparse_complex_numIdEliS1_IfES2_S2_EEvT3_20rocsparse_direction_NS_24const_host_device_scalarIT1_EES4_PKS4_PKT2_SD_SA_PKT4_PKT5_S8_PT6_21rocsparse_index_base_b.num_named_barrier, 0
	.set _ZN9rocsparseL18bsrxmvn_4x4_kernelILj128ELj8E21rocsparse_complex_numIdEliS1_IfES2_S2_EEvT3_20rocsparse_direction_NS_24const_host_device_scalarIT1_EES4_PKS4_PKT2_SD_SA_PKT4_PKT5_S8_PT6_21rocsparse_index_base_b.private_seg_size, 0
	.set _ZN9rocsparseL18bsrxmvn_4x4_kernelILj128ELj8E21rocsparse_complex_numIdEliS1_IfES2_S2_EEvT3_20rocsparse_direction_NS_24const_host_device_scalarIT1_EES4_PKS4_PKT2_SD_SA_PKT4_PKT5_S8_PT6_21rocsparse_index_base_b.uses_vcc, 1
	.set _ZN9rocsparseL18bsrxmvn_4x4_kernelILj128ELj8E21rocsparse_complex_numIdEliS1_IfES2_S2_EEvT3_20rocsparse_direction_NS_24const_host_device_scalarIT1_EES4_PKS4_PKT2_SD_SA_PKT4_PKT5_S8_PT6_21rocsparse_index_base_b.uses_flat_scratch, 0
	.set _ZN9rocsparseL18bsrxmvn_4x4_kernelILj128ELj8E21rocsparse_complex_numIdEliS1_IfES2_S2_EEvT3_20rocsparse_direction_NS_24const_host_device_scalarIT1_EES4_PKS4_PKT2_SD_SA_PKT4_PKT5_S8_PT6_21rocsparse_index_base_b.has_dyn_sized_stack, 0
	.set _ZN9rocsparseL18bsrxmvn_4x4_kernelILj128ELj8E21rocsparse_complex_numIdEliS1_IfES2_S2_EEvT3_20rocsparse_direction_NS_24const_host_device_scalarIT1_EES4_PKS4_PKT2_SD_SA_PKT4_PKT5_S8_PT6_21rocsparse_index_base_b.has_recursion, 0
	.set _ZN9rocsparseL18bsrxmvn_4x4_kernelILj128ELj8E21rocsparse_complex_numIdEliS1_IfES2_S2_EEvT3_20rocsparse_direction_NS_24const_host_device_scalarIT1_EES4_PKS4_PKT2_SD_SA_PKT4_PKT5_S8_PT6_21rocsparse_index_base_b.has_indirect_call, 0
	.section	.AMDGPU.csdata,"",@progbits
; Kernel info:
; codeLenInByte = 11320
; TotalNumSgprs: 18
; NumVgprs: 207
; ScratchSize: 0
; MemoryBound: 0
; FloatMode: 240
; IeeeMode: 1
; LDSByteSize: 0 bytes/workgroup (compile time only)
; SGPRBlocks: 0
; VGPRBlocks: 25
; NumSGPRsForWavesPerEU: 18
; NumVGPRsForWavesPerEU: 207
; Occupancy: 4
; WaveLimiterHint : 1
; COMPUTE_PGM_RSRC2:SCRATCH_EN: 0
; COMPUTE_PGM_RSRC2:USER_SGPR: 6
; COMPUTE_PGM_RSRC2:TRAP_HANDLER: 0
; COMPUTE_PGM_RSRC2:TGID_X_EN: 1
; COMPUTE_PGM_RSRC2:TGID_Y_EN: 0
; COMPUTE_PGM_RSRC2:TGID_Z_EN: 0
; COMPUTE_PGM_RSRC2:TIDIG_COMP_CNT: 0
	.section	.text._ZN9rocsparseL18bsrxmvn_4x4_kernelILj128ELj16E21rocsparse_complex_numIdEliS1_IfES2_S2_EEvT3_20rocsparse_direction_NS_24const_host_device_scalarIT1_EES4_PKS4_PKT2_SD_SA_PKT4_PKT5_S8_PT6_21rocsparse_index_base_b,"axG",@progbits,_ZN9rocsparseL18bsrxmvn_4x4_kernelILj128ELj16E21rocsparse_complex_numIdEliS1_IfES2_S2_EEvT3_20rocsparse_direction_NS_24const_host_device_scalarIT1_EES4_PKS4_PKT2_SD_SA_PKT4_PKT5_S8_PT6_21rocsparse_index_base_b,comdat
	.globl	_ZN9rocsparseL18bsrxmvn_4x4_kernelILj128ELj16E21rocsparse_complex_numIdEliS1_IfES2_S2_EEvT3_20rocsparse_direction_NS_24const_host_device_scalarIT1_EES4_PKS4_PKT2_SD_SA_PKT4_PKT5_S8_PT6_21rocsparse_index_base_b ; -- Begin function _ZN9rocsparseL18bsrxmvn_4x4_kernelILj128ELj16E21rocsparse_complex_numIdEliS1_IfES2_S2_EEvT3_20rocsparse_direction_NS_24const_host_device_scalarIT1_EES4_PKS4_PKT2_SD_SA_PKT4_PKT5_S8_PT6_21rocsparse_index_base_b
	.p2align	8
	.type	_ZN9rocsparseL18bsrxmvn_4x4_kernelILj128ELj16E21rocsparse_complex_numIdEliS1_IfES2_S2_EEvT3_20rocsparse_direction_NS_24const_host_device_scalarIT1_EES4_PKS4_PKT2_SD_SA_PKT4_PKT5_S8_PT6_21rocsparse_index_base_b,@function
_ZN9rocsparseL18bsrxmvn_4x4_kernelILj128ELj16E21rocsparse_complex_numIdEliS1_IfES2_S2_EEvT3_20rocsparse_direction_NS_24const_host_device_scalarIT1_EES4_PKS4_PKT2_SD_SA_PKT4_PKT5_S8_PT6_21rocsparse_index_base_b: ; @_ZN9rocsparseL18bsrxmvn_4x4_kernelILj128ELj16E21rocsparse_complex_numIdEliS1_IfES2_S2_EEvT3_20rocsparse_direction_NS_24const_host_device_scalarIT1_EES4_PKS4_PKT2_SD_SA_PKT4_PKT5_S8_PT6_21rocsparse_index_base_b
; %bb.0:
	s_clause 0x1
	s_load_dwordx2 s[2:3], s[4:5], 0x68
	s_load_dwordx2 s[0:1], s[4:5], 0x8
	s_add_u32 s7, s4, 8
	s_addc_u32 s10, s5, 0
	s_add_u32 s11, s4, 0x50
	s_addc_u32 s12, s5, 0
	s_load_dwordx2 s[8:9], s[4:5], 0x50
	s_waitcnt lgkmcnt(0)
	s_bitcmp1_b32 s3, 0
	s_cselect_b32 s0, s7, s0
	s_cselect_b32 s1, s10, s1
	v_mov_b32_e32 v1, s0
	v_mov_b32_e32 v2, s1
	s_cselect_b32 s0, s11, s8
	s_cselect_b32 s1, s12, s9
	flat_load_dwordx4 v[5:8], v[1:2]
	v_mov_b32_e32 v1, s0
	v_mov_b32_e32 v2, s1
	flat_load_dwordx4 v[1:4], v[1:2]
	s_waitcnt vmcnt(1) lgkmcnt(1)
	v_cmp_eq_f64_e32 vcc_lo, 0, v[5:6]
	v_cmp_eq_f64_e64 s0, 0, v[7:8]
	s_and_b32 s3, vcc_lo, s0
	s_mov_b32 s0, -1
	s_and_saveexec_b32 s1, s3
	s_cbranch_execz .LBB172_2
; %bb.1:
	s_waitcnt vmcnt(0) lgkmcnt(0)
	v_cmp_neq_f64_e32 vcc_lo, 1.0, v[1:2]
	v_cmp_neq_f64_e64 s0, 0, v[3:4]
	s_or_b32 s0, vcc_lo, s0
	s_orn2_b32 s0, s0, exec_lo
.LBB172_2:
	s_or_b32 exec_lo, exec_lo, s1
	s_and_saveexec_b32 s1, s0
	s_cbranch_execz .LBB172_8
; %bb.3:
	s_clause 0x1
	s_load_dwordx2 s[8:9], s[4:5], 0x20
	s_load_dwordx2 s[0:1], s[4:5], 0x0
	v_lshrrev_b32_e32 v9, 4, v0
	v_lshl_or_b32 v29, s6, 3, v9
	s_waitcnt lgkmcnt(0)
	s_cmp_lg_u64 s[8:9], 0
	s_cbranch_scc0 .LBB172_9
; %bb.4:
	s_load_dword s3, s[4:5], 0x18
	s_mov_b32 s6, 0
                                        ; implicit-def: $vgpr9
	s_waitcnt lgkmcnt(0)
	v_cmp_gt_i32_e32 vcc_lo, s3, v29
	s_mov_b32 s3, 0
	s_and_saveexec_b32 s7, vcc_lo
	s_xor_b32 s7, exec_lo, s7
	s_cbranch_execz .LBB172_6
; %bb.5:
	v_ashrrev_i32_e32 v30, 31, v29
	s_mov_b32 s3, exec_lo
	v_lshlrev_b64 v[9:10], 2, v[29:30]
	v_add_co_u32 v9, vcc_lo, s8, v9
	v_add_co_ci_u32_e64 v10, null, s9, v10, vcc_lo
	global_load_dword v9, v[9:10], off
	s_waitcnt vmcnt(0)
	v_subrev_nc_u32_e32 v9, s2, v9
.LBB172_6:
	s_or_b32 exec_lo, exec_lo, s7
	s_and_b32 vcc_lo, exec_lo, s6
	s_cbranch_vccz .LBB172_10
.LBB172_7:
	v_cmp_gt_i32_e32 vcc_lo, s0, v29
	s_andn2_b32 s0, s3, exec_lo
	s_and_b32 s3, vcc_lo, exec_lo
	s_or_b32 s3, s0, s3
	s_and_b32 exec_lo, exec_lo, s3
	s_cbranch_execnz .LBB172_11
.LBB172_8:
	s_endpgm
.LBB172_9:
	s_mov_b32 s3, 0
                                        ; implicit-def: $vgpr9
	s_cbranch_execnz .LBB172_7
.LBB172_10:
	v_mov_b32_e32 v29, v9
	s_and_b32 exec_lo, exec_lo, s3
	s_cbranch_execz .LBB172_8
.LBB172_11:
	s_load_dwordx8 s[8:15], s[4:5], 0x28
	v_ashrrev_i32_e32 v30, 31, v29
	v_and_b32_e32 v0, 15, v0
	s_load_dwordx2 s[6:7], s[4:5], 0x48
	v_lshlrev_b64 v[9:10], 3, v[29:30]
	s_waitcnt lgkmcnt(0)
	v_add_co_u32 v11, vcc_lo, s8, v9
	v_add_co_ci_u32_e64 v12, null, s9, v10, vcc_lo
	v_add_co_u32 v9, vcc_lo, s10, v9
	v_add_co_ci_u32_e64 v10, null, s11, v10, vcc_lo
	;; [unrolled: 2-line block ×3, first 2 shown]
	global_load_dwordx2 v[52:53], v[11:12], off
	s_cmp_eq_u64 s[10:11], 0
	s_cselect_b32 vcc_lo, -1, 0
	s_cmp_eq_u32 s1, 1
	v_cndmask_b32_e32 v10, v10, v14, vcc_lo
	v_cndmask_b32_e32 v9, v9, v13, vcc_lo
	global_load_dwordx2 v[9:10], v[9:10], off
	s_waitcnt vmcnt(1)
	v_sub_co_u32 v11, vcc_lo, v52, s2
	v_subrev_co_ci_u32_e64 v12, null, 0, v53, vcc_lo
	v_add_co_u32 v30, vcc_lo, v11, v0
	v_add_co_ci_u32_e64 v31, null, 0, v12, vcc_lo
	s_waitcnt vmcnt(0)
	v_sub_co_u32 v32, vcc_lo, v9, s2
	v_subrev_co_ci_u32_e64 v33, null, 0, v10, vcc_lo
	v_lshlrev_b64 v[9:10], 7, v[30:31]
	v_cmp_lt_i64_e64 s0, v[30:31], v[32:33]
	v_add_co_u32 v34, vcc_lo, s14, v9
	v_add_co_ci_u32_e64 v35, null, s15, v10, vcc_lo
	s_cbranch_scc1 .LBB172_23
; %bb.12:
	v_mov_b32_e32 v36, 0
	v_mov_b32_e32 v42, 0
	;; [unrolled: 1-line block ×16, first 2 shown]
	s_and_saveexec_b32 s3, s0
	s_cbranch_execz .LBB172_22
; %bb.13:
	v_or_b32_e32 v9, 16, v0
	v_not_b32_e32 v13, v52
	v_not_b32_e32 v11, v53
	v_mov_b32_e32 v38, 0
	v_mov_b32_e32 v44, 0
	v_sub_co_u32 v9, s1, v9, s2
	v_sub_co_ci_u32_e64 v10, null, 0, 0, s1
	v_sub_co_u32 v14, s1, s2, v0
	v_add_co_u32 v9, vcc_lo, v9, v52
	v_add_co_ci_u32_e64 v10, null, v10, v53, vcc_lo
	v_sub_co_ci_u32_e64 v15, null, 0, 0, s1
	v_add_co_u32 v13, s1, v14, v13
	v_cmp_gt_i64_e32 vcc_lo, v[9:10], v[32:33]
	v_add_co_ci_u32_e64 v11, null, v15, v11, s1
	v_mov_b32_e32 v48, 0
	v_mov_b32_e32 v46, 0
	;; [unrolled: 1-line block ×3, first 2 shown]
	v_cndmask_b32_e32 v9, v32, v9, vcc_lo
	v_cndmask_b32_e32 v10, v33, v10, vcc_lo
	v_mov_b32_e32 v40, 0
	v_mov_b32_e32 v42, 0
	;; [unrolled: 1-line block ×3, first 2 shown]
	v_add_co_u32 v9, vcc_lo, v13, v9
	v_mov_b32_e32 v57, v35
	v_mov_b32_e32 v55, v31
	;; [unrolled: 1-line block ×7, first 2 shown]
	v_add_co_ci_u32_e64 v10, null, v11, v10, vcc_lo
	v_and_b32_e32 v11, 48, v9
	v_mov_b32_e32 v51, 0
	v_mov_b32_e32 v41, 0
	;; [unrolled: 1-line block ×6, first 2 shown]
	s_mov_b32 s8, exec_lo
	v_cmpx_ne_u64_e32 48, v[11:12]
	s_cbranch_execz .LBB172_17
; %bb.14:
	v_lshrrev_b32_e32 v13, 4, v9
	v_lshlrev_b64 v[11:12], 2, v[30:31]
	v_mov_b32_e32 v36, 0
	v_mov_b32_e32 v55, v31
	;; [unrolled: 1-line block ×3, first 2 shown]
	v_add_nc_u32_e32 v13, 1, v13
	v_mov_b32_e32 v40, 0
	v_add_co_u32 v11, vcc_lo, s12, v11
	v_mov_b32_e32 v50, 0
	v_and_b32_e32 v13, 3, v13
	v_mov_b32_e32 v46, 0
	v_mov_b32_e32 v48, 0
	;; [unrolled: 1-line block ×4, first 2 shown]
	v_sub_co_u32 v13, s1, 0, v13
	v_mov_b32_e32 v57, v35
	v_mov_b32_e32 v37, 0
	;; [unrolled: 1-line block ×5, first 2 shown]
	v_add_co_ci_u32_e64 v12, null, s13, v12, vcc_lo
	v_sub_co_ci_u32_e64 v14, null, 0, 0, s1
	v_mov_b32_e32 v51, 0
	v_mov_b32_e32 v47, 0
	;; [unrolled: 1-line block ×6, first 2 shown]
	s_mov_b32 s9, 0
.LBB172_15:                             ; =>This Inner Loop Header: Depth=1
	global_load_dword v27, v[11:12], off
	s_clause 0x3
	global_load_dwordx4 v[15:18], v[56:57], off
	global_load_dwordx4 v[19:22], v[56:57], off offset:32
	global_load_dwordx4 v[23:26], v[56:57], off offset:64
	;; [unrolled: 1-line block ×3, first 2 shown]
	v_add_co_u32 v11, s1, v11, 64
	v_add_co_ci_u32_e64 v12, null, 0, v12, s1
	s_waitcnt vmcnt(4)
	v_subrev_nc_u32_e32 v27, s2, v27
	s_waitcnt vmcnt(2)
	v_cvt_f64_f32_e32 v[94:95], v19
	v_cvt_f64_f32_e32 v[19:20], v20
	s_waitcnt vmcnt(1)
	v_cvt_f64_f32_e32 v[96:97], v23
	v_lshlrev_b32_e32 v27, 2, v27
	v_cvt_f64_f32_e32 v[23:24], v24
	s_waitcnt vmcnt(0)
	v_cvt_f64_f32_e32 v[98:99], v58
	v_cvt_f64_f32_e32 v[58:59], v59
	;; [unrolled: 1-line block ×3, first 2 shown]
	v_ashrrev_i32_e32 v28, 31, v27
	v_cvt_f64_f32_e32 v[21:22], v22
	v_cvt_f64_f32_e32 v[102:103], v25
	;; [unrolled: 1-line block ×4, first 2 shown]
	v_lshlrev_b64 v[27:28], 4, v[27:28]
	v_cvt_f64_f32_e32 v[60:61], v61
	v_add_co_u32 v27, vcc_lo, s6, v27
	v_add_co_ci_u32_e64 v28, null, s7, v28, vcc_lo
	s_clause 0x1
	global_load_dwordx4 v[62:65], v[27:28], off
	global_load_dwordx4 v[66:69], v[27:28], off offset:16
	s_clause 0x3
	global_load_dwordx4 v[70:73], v[56:57], off offset:16
	global_load_dwordx4 v[74:77], v[56:57], off offset:48
	;; [unrolled: 1-line block ×4, first 2 shown]
	s_clause 0x1
	global_load_dwordx4 v[86:89], v[27:28], off offset:32
	global_load_dwordx4 v[90:93], v[27:28], off offset:48
	v_cvt_f64_f32_e32 v[27:28], v15
	v_cvt_f64_f32_e32 v[15:16], v16
	v_add_co_u32 v56, vcc_lo, 0x800, v56
	v_add_co_ci_u32_e64 v57, null, 0, v57, vcc_lo
	v_add_co_u32 v13, vcc_lo, v13, 1
	v_add_co_ci_u32_e64 v14, null, 0, v14, vcc_lo
	v_add_co_u32 v54, vcc_lo, v54, 16
	v_add_co_ci_u32_e64 v55, null, 0, v55, vcc_lo
	v_cmp_eq_u64_e32 vcc_lo, 0, v[13:14]
	s_or_b32 s9, vcc_lo, s9
	s_waitcnt vmcnt(7)
	v_fma_f64 v[42:43], v[27:28], v[62:63], v[42:43]
	v_fma_f64 v[36:37], v[15:16], v[62:63], v[36:37]
	;; [unrolled: 1-line block ×8, first 2 shown]
	v_cvt_f64_f32_e32 v[62:63], v17
	v_cvt_f64_f32_e32 v[17:18], v18
	v_fma_f64 v[15:16], -v[15:16], v[64:65], v[42:43]
	v_fma_f64 v[27:28], v[27:28], v[64:65], v[36:37]
	v_fma_f64 v[19:20], -v[19:20], v[64:65], v[50:51]
	v_fma_f64 v[36:37], v[94:95], v[64:65], v[40:41]
	;; [unrolled: 2-line block ×4, first 2 shown]
	s_waitcnt vmcnt(5)
	v_cvt_f64_f32_e32 v[44:45], v70
	v_cvt_f64_f32_e32 v[46:47], v71
	s_waitcnt vmcnt(4)
	v_cvt_f64_f32_e32 v[48:49], v74
	v_cvt_f64_f32_e32 v[50:51], v75
	;; [unrolled: 3-line block ×4, first 2 shown]
	v_fma_f64 v[15:16], v[62:63], v[66:67], v[15:16]
	v_fma_f64 v[27:28], v[17:18], v[66:67], v[27:28]
	;; [unrolled: 1-line block ×8, first 2 shown]
	v_cvt_f64_f32_e32 v[66:67], v82
	v_fma_f64 v[15:16], -v[17:18], v[68:69], v[15:16]
	v_fma_f64 v[17:18], v[62:63], v[68:69], v[27:28]
	v_fma_f64 v[19:20], -v[21:22], v[68:69], v[19:20]
	v_fma_f64 v[21:22], v[100:101], v[68:69], v[36:37]
	;; [unrolled: 2-line block ×4, first 2 shown]
	v_cvt_f64_f32_e32 v[38:39], v72
	v_cvt_f64_f32_e32 v[40:41], v73
	;; [unrolled: 1-line block ×7, first 2 shown]
	s_waitcnt vmcnt(1)
	v_fma_f64 v[15:16], v[44:45], v[86:87], v[15:16]
	v_fma_f64 v[17:18], v[46:47], v[86:87], v[17:18]
	;; [unrolled: 1-line block ×8, first 2 shown]
	v_fma_f64 v[15:16], -v[46:47], v[88:89], v[15:16]
	v_fma_f64 v[17:18], v[44:45], v[88:89], v[17:18]
	v_fma_f64 v[19:20], -v[50:51], v[88:89], v[19:20]
	v_fma_f64 v[21:22], v[48:49], v[88:89], v[21:22]
	;; [unrolled: 2-line block ×4, first 2 shown]
	s_waitcnt vmcnt(0)
	v_fma_f64 v[15:16], v[38:39], v[90:91], v[15:16]
	v_fma_f64 v[17:18], v[40:41], v[90:91], v[17:18]
	;; [unrolled: 1-line block ×8, first 2 shown]
	v_fma_f64 v[42:43], -v[40:41], v[92:93], v[15:16]
	v_fma_f64 v[36:37], v[38:39], v[92:93], v[17:18]
	v_fma_f64 v[50:51], -v[62:63], v[92:93], v[19:20]
	v_fma_f64 v[40:41], v[60:61], v[92:93], v[21:22]
	;; [unrolled: 2-line block ×4, first 2 shown]
	s_andn2_b32 exec_lo, exec_lo, s9
	s_cbranch_execnz .LBB172_15
; %bb.16:
	s_or_b32 exec_lo, exec_lo, s9
.LBB172_17:
	s_or_b32 exec_lo, exec_lo, s8
	s_mov_b32 s8, exec_lo
	v_cmpx_lt_u64_e32 47, v[9:10]
	s_cbranch_execz .LBB172_21
; %bb.18:
	v_lshlrev_b64 v[9:10], 2, v[54:55]
	s_mov_b32 s9, 0
	v_add_co_u32 v9, vcc_lo, s12, v9
	v_add_co_ci_u32_e64 v10, null, s13, v10, vcc_lo
	v_add_co_u32 v58, vcc_lo, 0x80, v9
	v_add_co_ci_u32_e64 v59, null, 0, v10, vcc_lo
.LBB172_19:                             ; =>This Inner Loop Header: Depth=1
	s_clause 0x1
	global_load_dword v63, v[58:59], off offset:-128
	global_load_dword v60, v[58:59], off offset:-64
	s_clause 0x4
	global_load_dwordx4 v[25:28], v[56:57], off
	global_load_dwordx4 v[21:24], v[56:57], off offset:32
	global_load_dwordx4 v[17:20], v[56:57], off offset:64
	;; [unrolled: 1-line block ×4, first 2 shown]
	s_clause 0x1
	global_load_dword v61, v[58:59], off
	global_load_dword v62, v[58:59], off offset:64
	s_waitcnt vmcnt(8)
	v_subrev_nc_u32_e32 v63, s2, v63
	s_waitcnt vmcnt(7)
	v_subrev_nc_u32_e32 v60, s2, v60
	s_waitcnt vmcnt(6)
	v_cvt_f64_f32_e32 v[183:184], v25
	v_cvt_f64_f32_e32 v[185:186], v26
	;; [unrolled: 1-line block ×3, first 2 shown]
	v_lshlrev_b32_e32 v63, 2, v63
	v_lshlrev_b32_e32 v119, 2, v60
	v_cvt_f64_f32_e32 v[189:190], v28
	s_waitcnt vmcnt(4)
	v_cvt_f64_f32_e32 v[197:198], v19
	v_cvt_f64_f32_e32 v[199:200], v20
	v_ashrrev_i32_e32 v64, 31, v63
	v_ashrrev_i32_e32 v120, 31, v119
	s_waitcnt vmcnt(1)
	v_subrev_nc_u32_e32 v205, s2, v61
	v_cvt_f64_f32_e32 v[19:20], v13
	v_cvt_f64_f32_e32 v[60:61], v14
	v_lshlrev_b64 v[63:64], 4, v[63:64]
	v_lshlrev_b64 v[119:120], 4, v[119:120]
	v_cvt_f64_f32_e32 v[191:192], v21
	v_cvt_f64_f32_e32 v[21:22], v22
	;; [unrolled: 1-line block ×4, first 2 shown]
	v_add_co_u32 v99, vcc_lo, s6, v63
	v_add_co_ci_u32_e64 v100, null, s7, v64, vcc_lo
	v_add_co_u32 v131, vcc_lo, v56, 0x1000
	v_add_co_ci_u32_e64 v132, null, 0, v57, vcc_lo
	s_clause 0x1
	global_load_dwordx4 v[63:66], v[99:100], off
	global_load_dwordx4 v[67:70], v[99:100], off offset:16
	s_clause 0x2
	global_load_dwordx4 v[71:74], v[56:57], off offset:16
	global_load_dwordx4 v[75:78], v[56:57], off offset:48
	;; [unrolled: 1-line block ×4, first 2 shown]
	v_add_co_u32 v127, vcc_lo, 0x800, v56
	v_add_co_ci_u32_e64 v128, null, 0, v57, vcc_lo
	s_clause 0x2
	global_load_dwordx4 v[87:90], v[131:132], off offset:-2048
	global_load_dwordx4 v[91:94], v[127:128], off offset:32
	global_load_dwordx4 v[95:98], v[127:128], off offset:16
	;; [unrolled: 1-line block ×3, first 2 shown]
	s_clause 0x3
	global_load_dwordx4 v[103:106], v[127:128], off offset:48
	global_load_dwordx4 v[107:110], v[127:128], off offset:64
	;; [unrolled: 1-line block ×4, first 2 shown]
	v_add_co_u32 v179, vcc_lo, s6, v119
	v_add_co_ci_u32_e64 v180, null, s7, v120, vcc_lo
	s_clause 0x1
	global_load_dwordx4 v[119:122], v[179:180], off
	global_load_dwordx4 v[123:126], v[179:180], off offset:16
	v_add_co_u32 v159, vcc_lo, 0x1000, v56
	v_add_co_ci_u32_e64 v160, null, 0, v57, vcc_lo
	v_add_co_u32 v181, vcc_lo, 0x1800, v56
	v_add_co_ci_u32_e64 v182, null, 0, v57, vcc_lo
	s_clause 0xc
	global_load_dwordx4 v[127:130], v[127:128], off offset:112
	global_load_dwordx4 v[131:134], v[131:132], off
	global_load_dwordx4 v[135:138], v[159:160], off offset:32
	global_load_dwordx4 v[139:142], v[159:160], off offset:16
	global_load_dwordx4 v[143:146], v[159:160], off offset:112
	global_load_dwordx4 v[147:150], v[159:160], off offset:96
	global_load_dwordx4 v[151:154], v[159:160], off offset:80
	global_load_dwordx4 v[155:158], v[159:160], off offset:48
	global_load_dwordx4 v[159:162], v[159:160], off offset:64
	global_load_dwordx4 v[163:166], v[181:182], off
	global_load_dwordx4 v[167:170], v[181:182], off offset:48
	global_load_dwordx4 v[171:174], v[181:182], off offset:32
	;; [unrolled: 1-line block ×4, first 2 shown]
	v_cvt_f64_f32_e32 v[23:24], v17
	v_cvt_f64_f32_e32 v[17:18], v18
	;; [unrolled: 1-line block ×4, first 2 shown]
	v_lshlrev_b32_e32 v205, 2, v205
	s_waitcnt vmcnt(30)
	v_subrev_nc_u32_e32 v62, s2, v62
	v_add_co_u32 v56, s1, 0x2000, v56
	v_add_co_ci_u32_e64 v57, null, 0, v57, s1
	v_ashrrev_i32_e32 v206, 31, v205
	v_lshlrev_b32_e32 v62, 2, v62
	s_waitcnt vmcnt(29)
	v_fma_f64 v[13:14], v[183:184], v[63:64], v[42:43]
	v_fma_f64 v[36:37], v[185:186], v[63:64], v[36:37]
	;; [unrolled: 1-line block ×8, first 2 shown]
	v_lshlrev_b64 v[63:64], 4, v[205:206]
	v_add_co_u32 v63, vcc_lo, s6, v63
	v_add_co_ci_u32_e64 v64, null, s7, v64, vcc_lo
	v_fma_f64 v[42:43], -v[185:186], v[65:66], v[13:14]
	global_load_dwordx4 v[13:16], v[179:180], off offset:48
	v_fma_f64 v[36:37], v[183:184], v[65:66], v[36:37]
	v_fma_f64 v[21:22], -v[21:22], v[65:66], v[50:51]
	v_fma_f64 v[40:41], v[191:192], v[65:66], v[40:41]
	v_fma_f64 v[48:49], -v[17:18], v[65:66], v[48:49]
	;; [unrolled: 2-line block ×3, first 2 shown]
	v_fma_f64 v[44:45], v[19:20], v[65:66], v[44:45]
	global_load_dwordx4 v[17:20], v[63:64], off
	s_waitcnt vmcnt(28)
	v_cvt_f64_f32_e32 v[179:180], v75
	v_cvt_f64_f32_e32 v[75:76], v76
	s_waitcnt vmcnt(27)
	v_cvt_f64_f32_e32 v[185:186], v79
	v_cvt_f64_f32_e32 v[79:80], v80
	;; [unrolled: 1-line block ×4, first 2 shown]
	v_fma_f64 v[42:43], v[187:188], v[67:68], v[42:43]
	v_fma_f64 v[46:47], v[189:190], v[67:68], v[36:37]
	;; [unrolled: 1-line block ×8, first 2 shown]
	v_cvt_f64_f32_e32 v[67:68], v71
	v_cvt_f64_f32_e32 v[71:72], v72
	s_clause 0x1
	global_load_dwordx4 v[21:24], v[181:182], off offset:64
	global_load_dwordx4 v[36:39], v[181:182], off offset:96
	v_fma_f64 v[183:184], -v[189:190], v[69:70], v[42:43]
	v_cvt_f64_f32_e32 v[189:190], v9
	v_fma_f64 v[46:47], v[187:188], v[69:70], v[46:47]
	v_fma_f64 v[50:51], -v[195:196], v[69:70], v[50:51]
	v_fma_f64 v[187:188], v[193:194], v[69:70], v[40:41]
	v_fma_f64 v[48:49], -v[199:200], v[69:70], v[48:49]
	v_cvt_f64_f32_e32 v[9:10], v10
	v_fma_f64 v[60:61], v[197:198], v[69:70], v[60:61]
	v_fma_f64 v[65:66], -v[203:204], v[69:70], v[65:66]
	v_fma_f64 v[44:45], v[201:202], v[69:70], v[44:45]
	global_load_dwordx4 v[40:43], v[63:64], off offset:16
	v_cvt_f64_f32_e32 v[69:70], v73
	v_cvt_f64_f32_e32 v[73:74], v74
	;; [unrolled: 1-line block ×4, first 2 shown]
	s_waitcnt vmcnt(28)
	v_cvt_f64_f32_e32 v[197:198], v87
	v_cvt_f64_f32_e32 v[87:88], v88
	;; [unrolled: 1-line block ×3, first 2 shown]
	v_fma_f64 v[183:184], v[67:68], v[83:84], v[183:184]
	v_fma_f64 v[46:47], v[71:72], v[83:84], v[46:47]
	;; [unrolled: 1-line block ×8, first 2 shown]
	v_cvt_f64_f32_e32 v[83:84], v77
	v_cvt_f64_f32_e32 v[77:78], v78
	v_fma_f64 v[71:72], -v[71:72], v[85:86], v[183:184]
	v_fma_f64 v[46:47], v[67:68], v[85:86], v[46:47]
	v_fma_f64 v[50:51], -v[75:76], v[85:86], v[50:51]
	v_fma_f64 v[67:68], v[179:180], v[85:86], v[187:188]
	v_fma_f64 v[48:49], -v[79:80], v[85:86], v[48:49]
	v_cvt_f64_f32_e32 v[75:76], v90
	v_fma_f64 v[60:61], v[185:186], v[85:86], v[60:61]
	v_fma_f64 v[65:66], -v[9:10], v[85:86], v[65:66]
	v_fma_f64 v[44:45], v[189:190], v[85:86], v[44:45]
	global_load_dwordx4 v[9:12], v[63:64], off offset:32
	s_waitcnt vmcnt(28)
	v_cvt_f64_f32_e32 v[79:80], v91
	v_cvt_f64_f32_e32 v[85:86], v92
	;; [unrolled: 1-line block ×4, first 2 shown]
	s_waitcnt vmcnt(24)
	v_cvt_f64_f32_e32 v[93:94], v107
	s_waitcnt vmcnt(22)
	v_cvt_f64_f32_e32 v[179:180], v115
	v_cvt_f64_f32_e32 v[115:116], v116
	v_fma_f64 v[71:72], v[69:70], v[99:100], v[71:72]
	v_fma_f64 v[46:47], v[73:74], v[99:100], v[46:47]
	;; [unrolled: 1-line block ×8, first 2 shown]
	v_cvt_f64_f32_e32 v[99:100], v108
	v_cvt_f64_f32_e32 v[107:108], v109
	;; [unrolled: 1-line block ×3, first 2 shown]
	v_fma_f64 v[71:72], -v[73:74], v[101:102], v[71:72]
	v_fma_f64 v[69:70], v[69:70], v[101:102], v[46:47]
	v_fma_f64 v[50:51], -v[77:78], v[101:102], v[50:51]
	v_fma_f64 v[67:68], v[83:84], v[101:102], v[67:68]
	v_fma_f64 v[48:49], -v[81:82], v[101:102], v[48:49]
	v_cvt_f64_f32_e32 v[77:78], v117
	v_fma_f64 v[60:61], v[191:192], v[101:102], v[60:61]
	v_fma_f64 v[65:66], -v[195:196], v[101:102], v[65:66]
	v_fma_f64 v[73:74], v[193:194], v[101:102], v[44:45]
	global_load_dwordx4 v[44:47], v[63:64], off offset:48
	v_ashrrev_i32_e32 v63, 31, v62
	v_cvt_f64_f32_e32 v[81:82], v118
	v_cvt_f64_f32_e32 v[101:102], v112
	s_waitcnt vmcnt(20)
	v_cvt_f64_f32_e32 v[117:118], v129
	v_lshlrev_b64 v[62:63], 4, v[62:63]
	v_add_co_u32 v83, vcc_lo, s6, v62
	v_fma_f64 v[71:72], v[197:198], v[119:120], v[71:72]
	v_fma_f64 v[69:70], v[87:88], v[119:120], v[69:70]
	;; [unrolled: 1-line block ×8, first 2 shown]
	v_add_co_ci_u32_e64 v84, null, s7, v63, vcc_lo
	v_cvt_f64_f32_e32 v[119:120], v130
	v_add_co_u32 v54, vcc_lo, v54, 64
	v_add_co_ci_u32_e64 v55, null, 0, v55, vcc_lo
	v_add_co_u32 v58, vcc_lo, 0x100, v58
	v_add_co_ci_u32_e64 v59, null, 0, v59, vcc_lo
	v_cmp_ge_i64_e32 vcc_lo, v[54:55], v[32:33]
	v_fma_f64 v[71:72], -v[87:88], v[121:122], v[71:72]
	v_fma_f64 v[69:70], v[197:198], v[121:122], v[69:70]
	v_fma_f64 v[85:86], -v[85:86], v[121:122], v[50:51]
	v_fma_f64 v[66:67], v[79:80], v[121:122], v[67:68]
	;; [unrolled: 2-line block ×4, first 2 shown]
	global_load_dwordx4 v[48:51], v[83:84], off
	v_cvt_f64_f32_e32 v[87:88], v96
	v_cvt_f64_f32_e32 v[93:94], v103
	v_cvt_f64_f32_e32 v[99:100], v111
	v_cvt_f64_f32_e32 v[111:112], v128
	v_cvt_f64_f32_e32 v[115:116], v113
	v_cvt_f64_f32_e32 v[113:114], v114
	s_or_b32 s9, vcc_lo, s9
	v_fma_f64 v[62:63], v[199:200], v[123:124], v[71:72]
	v_fma_f64 v[68:69], v[75:76], v[123:124], v[69:70]
	;; [unrolled: 1-line block ×8, first 2 shown]
	v_cvt_f64_f32_e32 v[85:86], v95
	v_cvt_f64_f32_e32 v[95:96], v104
	;; [unrolled: 1-line block ×3, first 2 shown]
	v_fma_f64 v[74:75], -v[75:76], v[125:126], v[62:63]
	v_fma_f64 v[68:69], v[199:200], v[125:126], v[68:69]
	v_fma_f64 v[70:71], -v[91:92], v[125:126], v[70:71]
	v_fma_f64 v[89:90], v[89:90], v[125:126], v[66:67]
	;; [unrolled: 2-line block ×4, first 2 shown]
	global_load_dwordx4 v[60:63], v[83:84], off offset:16
	global_load_dwordx4 v[64:67], v[181:182], off offset:16
	v_cvt_f64_f32_e32 v[109:110], v105
	v_cvt_f64_f32_e32 v[105:106], v106
	s_waitcnt vmcnt(10)
	v_fma_f64 v[74:75], v[85:86], v[25:26], v[74:75]
	v_fma_f64 v[76:77], v[87:88], v[25:26], v[68:69]
	;; [unrolled: 1-line block ×8, first 2 shown]
	global_load_dwordx4 v[68:71], v[181:182], off offset:112
	v_cvt_f64_f32_e32 v[72:73], v97
	v_cvt_f64_f32_e32 v[97:98], v98
	v_fma_f64 v[74:75], -v[87:88], v[27:28], v[74:75]
	v_fma_f64 v[76:77], v[85:86], v[27:28], v[76:77]
	v_fma_f64 v[85:86], -v[95:96], v[27:28], v[107:108]
	v_fma_f64 v[87:88], v[93:94], v[27:28], v[89:90]
	;; [unrolled: 2-line block ×4, first 2 shown]
	global_load_dwordx4 v[25:28], v[83:84], off offset:32
	v_cvt_f64_f32_e32 v[93:94], v132
	v_cvt_f64_f32_e32 v[95:96], v135
	;; [unrolled: 1-line block ×7, first 2 shown]
	s_waitcnt vmcnt(11)
	v_fma_f64 v[74:75], v[72:73], v[13:14], v[74:75]
	v_fma_f64 v[76:77], v[97:98], v[13:14], v[76:77]
	;; [unrolled: 1-line block ×8, first 2 shown]
	v_cvt_f64_f32_e32 v[91:92], v131
	v_fma_f64 v[74:75], -v[97:98], v[15:16], v[74:75]
	v_fma_f64 v[72:73], v[72:73], v[15:16], v[76:77]
	v_fma_f64 v[76:77], -v[105:106], v[15:16], v[85:86]
	v_fma_f64 v[85:86], v[109:110], v[15:16], v[87:88]
	;; [unrolled: 2-line block ×4, first 2 shown]
	global_load_dwordx4 v[13:16], v[83:84], off offset:48
	v_cvt_f64_f32_e32 v[97:98], v137
	v_cvt_f64_f32_e32 v[105:106], v138
	;; [unrolled: 1-line block ×6, first 2 shown]
	s_waitcnt vmcnt(11)
	v_fma_f64 v[74:75], v[91:92], v[17:18], v[74:75]
	v_fma_f64 v[72:73], v[93:94], v[17:18], v[72:73]
	;; [unrolled: 1-line block ×8, first 2 shown]
	v_cvt_f64_f32_e32 v[86:87], v133
	v_cvt_f64_f32_e32 v[88:89], v134
	v_fma_f64 v[74:75], -v[93:94], v[19:20], v[74:75]
	v_fma_f64 v[72:73], v[91:92], v[19:20], v[72:73]
	v_fma_f64 v[76:77], -v[99:100], v[19:20], v[76:77]
	v_fma_f64 v[82:83], v[95:96], v[19:20], v[82:83]
	;; [unrolled: 2-line block ×4, first 2 shown]
	v_cvt_f64_f32_e32 v[90:91], v155
	v_cvt_f64_f32_e32 v[92:93], v156
	;; [unrolled: 1-line block ×7, first 2 shown]
	s_waitcnt vmcnt(8)
	v_fma_f64 v[19:20], v[86:87], v[40:41], v[74:75]
	v_fma_f64 v[72:73], v[88:89], v[40:41], v[72:73]
	;; [unrolled: 1-line block ×8, first 2 shown]
	v_cvt_f64_f32_e32 v[40:41], v139
	v_cvt_f64_f32_e32 v[84:85], v140
	v_fma_f64 v[19:20], -v[88:89], v[42:43], v[19:20]
	v_fma_f64 v[72:73], v[86:87], v[42:43], v[72:73]
	v_fma_f64 v[74:75], -v[105:106], v[42:43], v[74:75]
	v_fma_f64 v[76:77], v[97:98], v[42:43], v[76:77]
	;; [unrolled: 2-line block ×4, first 2 shown]
	v_cvt_f64_f32_e32 v[86:87], v157
	v_cvt_f64_f32_e32 v[88:89], v158
	;; [unrolled: 1-line block ×5, first 2 shown]
	s_waitcnt vmcnt(7)
	v_fma_f64 v[19:20], v[40:41], v[9:10], v[19:20]
	v_fma_f64 v[42:43], v[84:85], v[9:10], v[72:73]
	;; [unrolled: 1-line block ×8, first 2 shown]
	v_cvt_f64_f32_e32 v[17:18], v141
	v_cvt_f64_f32_e32 v[82:83], v142
	v_fma_f64 v[19:20], -v[84:85], v[11:12], v[19:20]
	v_fma_f64 v[40:41], v[40:41], v[11:12], v[42:43]
	v_fma_f64 v[42:43], -v[92:93], v[11:12], v[72:73]
	v_fma_f64 v[72:73], v[90:91], v[11:12], v[74:75]
	v_fma_f64 v[74:75], -v[99:100], v[11:12], v[76:77]
	v_fma_f64 v[76:77], v[94:95], v[11:12], v[78:79]
	v_fma_f64 v[78:79], -v[103:104], v[11:12], v[80:81]
	v_fma_f64 v[9:10], v[101:102], v[11:12], v[9:10]
	v_cvt_f64_f32_e32 v[80:81], v171
	v_cvt_f64_f32_e32 v[84:85], v172
	;; [unrolled: 1-line block ×6, first 2 shown]
	s_waitcnt vmcnt(6)
	v_fma_f64 v[11:12], v[17:18], v[44:45], v[19:20]
	v_fma_f64 v[19:20], v[82:83], v[44:45], v[40:41]
	;; [unrolled: 1-line block ×8, first 2 shown]
	v_cvt_f64_f32_e32 v[44:45], v163
	v_cvt_f64_f32_e32 v[78:79], v164
	v_fma_f64 v[11:12], -v[82:83], v[46:47], v[11:12]
	v_fma_f64 v[17:18], v[17:18], v[46:47], v[19:20]
	v_fma_f64 v[19:20], -v[88:89], v[46:47], v[40:41]
	v_fma_f64 v[40:41], v[86:87], v[46:47], v[42:43]
	;; [unrolled: 2-line block ×4, first 2 shown]
	v_cvt_f64_f32_e32 v[76:77], v173
	v_cvt_f64_f32_e32 v[82:83], v174
	;; [unrolled: 1-line block ×6, first 2 shown]
	s_waitcnt vmcnt(5)
	v_fma_f64 v[11:12], v[44:45], v[48:49], v[11:12]
	v_fma_f64 v[17:18], v[78:79], v[48:49], v[17:18]
	;; [unrolled: 1-line block ×8, first 2 shown]
	v_cvt_f64_f32_e32 v[48:49], v165
	v_cvt_f64_f32_e32 v[74:75], v166
	v_fma_f64 v[11:12], -v[78:79], v[50:51], v[11:12]
	v_fma_f64 v[17:18], v[44:45], v[50:51], v[17:18]
	v_fma_f64 v[19:20], -v[84:85], v[50:51], v[19:20]
	v_fma_f64 v[40:41], v[80:81], v[50:51], v[40:41]
	;; [unrolled: 2-line block ×4, first 2 shown]
	s_waitcnt vmcnt(3)
	v_cvt_f64_f32_e32 v[44:45], v64
	v_cvt_f64_f32_e32 v[46:47], v65
	;; [unrolled: 1-line block ×5, first 2 shown]
	s_waitcnt vmcnt(2)
	v_cvt_f64_f32_e32 v[78:79], v68
	v_cvt_f64_f32_e32 v[68:69], v69
	v_fma_f64 v[11:12], v[48:49], v[60:61], v[11:12]
	v_fma_f64 v[17:18], v[74:75], v[60:61], v[17:18]
	;; [unrolled: 1-line block ×8, first 2 shown]
	v_cvt_f64_f32_e32 v[60:61], v168
	v_fma_f64 v[11:12], -v[74:75], v[62:63], v[11:12]
	v_fma_f64 v[17:18], v[48:49], v[62:63], v[17:18]
	v_fma_f64 v[19:20], -v[82:83], v[62:63], v[19:20]
	v_fma_f64 v[40:41], v[76:77], v[62:63], v[40:41]
	;; [unrolled: 2-line block ×4, first 2 shown]
	v_cvt_f64_f32_e32 v[48:49], v169
	v_cvt_f64_f32_e32 v[62:63], v170
	;; [unrolled: 1-line block ×5, first 2 shown]
	s_waitcnt vmcnt(1)
	v_fma_f64 v[11:12], v[44:45], v[25:26], v[11:12]
	v_fma_f64 v[17:18], v[46:47], v[25:26], v[17:18]
	;; [unrolled: 1-line block ×8, first 2 shown]
	v_cvt_f64_f32_e32 v[25:26], v66
	v_cvt_f64_f32_e32 v[40:41], v67
	v_cvt_f64_f32_e32 v[66:67], v177
	v_fma_f64 v[11:12], -v[46:47], v[27:28], v[11:12]
	v_fma_f64 v[17:18], v[44:45], v[27:28], v[17:18]
	v_fma_f64 v[19:20], -v[60:61], v[27:28], v[19:20]
	v_fma_f64 v[38:39], v[50:51], v[27:28], v[38:39]
	;; [unrolled: 2-line block ×4, first 2 shown]
	s_waitcnt vmcnt(0)
	v_fma_f64 v[11:12], v[25:26], v[13:14], v[11:12]
	v_fma_f64 v[17:18], v[40:41], v[13:14], v[17:18]
	v_fma_f64 v[19:20], v[48:49], v[13:14], v[19:20]
	v_fma_f64 v[27:28], v[62:63], v[13:14], v[38:39]
	v_fma_f64 v[21:22], v[66:67], v[13:14], v[21:22]
	v_fma_f64 v[23:24], v[74:75], v[13:14], v[23:24]
	v_fma_f64 v[38:39], v[76:77], v[13:14], v[36:37]
	v_fma_f64 v[9:10], v[70:71], v[13:14], v[9:10]
	v_fma_f64 v[42:43], -v[40:41], v[15:16], v[11:12]
	v_fma_f64 v[36:37], v[25:26], v[15:16], v[17:18]
	v_fma_f64 v[50:51], -v[62:63], v[15:16], v[19:20]
	v_fma_f64 v[40:41], v[48:49], v[15:16], v[27:28]
	;; [unrolled: 2-line block ×4, first 2 shown]
	s_andn2_b32 exec_lo, exec_lo, s9
	s_cbranch_execnz .LBB172_19
; %bb.20:
	s_or_b32 exec_lo, exec_lo, s9
.LBB172_21:
	s_or_b32 exec_lo, exec_lo, s8
.LBB172_22:
	s_or_b32 exec_lo, exec_lo, s3
	s_cbranch_execz .LBB172_24
	s_branch .LBB172_35
.LBB172_23:
                                        ; implicit-def: $vgpr36_vgpr37
                                        ; implicit-def: $vgpr42_vgpr43
                                        ; implicit-def: $vgpr40_vgpr41
                                        ; implicit-def: $vgpr50_vgpr51
                                        ; implicit-def: $vgpr46_vgpr47
                                        ; implicit-def: $vgpr48_vgpr49
                                        ; implicit-def: $vgpr44_vgpr45
                                        ; implicit-def: $vgpr38_vgpr39
.LBB172_24:
	v_mov_b32_e32 v36, 0
	v_mov_b32_e32 v42, 0
	;; [unrolled: 1-line block ×16, first 2 shown]
	s_and_saveexec_b32 s1, s0
	s_cbranch_execz .LBB172_34
; %bb.25:
	v_or_b32_e32 v9, 16, v0
	v_not_b32_e32 v13, v52
	v_not_b32_e32 v11, v53
	v_mov_b32_e32 v38, 0
	v_mov_b32_e32 v44, 0
	v_sub_co_u32 v9, s0, v9, s2
	v_sub_co_ci_u32_e64 v10, null, 0, 0, s0
	v_sub_co_u32 v14, s0, s2, v0
	v_add_co_u32 v9, vcc_lo, v9, v52
	v_add_co_ci_u32_e64 v10, null, v10, v53, vcc_lo
	v_sub_co_ci_u32_e64 v15, null, 0, 0, s0
	v_add_co_u32 v13, s0, v14, v13
	v_cmp_gt_i64_e32 vcc_lo, v[9:10], v[32:33]
	v_add_co_ci_u32_e64 v11, null, v15, v11, s0
	v_mov_b32_e32 v48, 0
	v_mov_b32_e32 v46, 0
	;; [unrolled: 1-line block ×3, first 2 shown]
	v_cndmask_b32_e32 v9, v32, v9, vcc_lo
	v_cndmask_b32_e32 v10, v33, v10, vcc_lo
	v_mov_b32_e32 v40, 0
	v_mov_b32_e32 v42, 0
	;; [unrolled: 1-line block ×3, first 2 shown]
	v_add_co_u32 v9, vcc_lo, v13, v9
	v_mov_b32_e32 v12, 0
	v_mov_b32_e32 v39, 0
	v_mov_b32_e32 v45, 0
	v_mov_b32_e32 v49, 0
	v_add_co_ci_u32_e64 v10, null, v11, v10, vcc_lo
	v_and_b32_e32 v11, 48, v9
	v_mov_b32_e32 v47, 0
	v_mov_b32_e32 v51, 0
	;; [unrolled: 1-line block ×5, first 2 shown]
	s_mov_b32 s3, exec_lo
	v_cmpx_ne_u64_e32 48, v[11:12]
	s_cbranch_execz .LBB172_29
; %bb.26:
	v_lshrrev_b32_e32 v13, 4, v9
	v_lshlrev_b64 v[11:12], 2, v[30:31]
	v_mov_b32_e32 v36, 0
	v_mov_b32_e32 v42, 0
	;; [unrolled: 1-line block ×3, first 2 shown]
	v_add_nc_u32_e32 v13, 1, v13
	v_mov_b32_e32 v50, 0
	v_add_co_u32 v11, vcc_lo, s12, v11
	v_mov_b32_e32 v46, 0
	v_and_b32_e32 v13, 3, v13
	v_mov_b32_e32 v48, 0
	v_mov_b32_e32 v44, 0
	;; [unrolled: 1-line block ×4, first 2 shown]
	v_sub_co_u32 v13, s0, 0, v13
	v_mov_b32_e32 v43, 0
	v_mov_b32_e32 v41, 0
	v_add_co_ci_u32_e64 v12, null, s13, v12, vcc_lo
	v_mov_b32_e32 v51, 0
	v_mov_b32_e32 v47, 0
	v_mov_b32_e32 v49, 0
	v_mov_b32_e32 v45, 0
	v_mov_b32_e32 v39, 0
	v_sub_co_ci_u32_e64 v14, null, 0, 0, s0
	s_mov_b32 s8, 0
.LBB172_27:                             ; =>This Inner Loop Header: Depth=1
	global_load_dword v23, v[11:12], off
	s_clause 0x1
	global_load_dwordx4 v[15:18], v[34:35], off offset:16
	global_load_dwordx4 v[19:22], v[34:35], off
	v_add_co_u32 v11, s0, v11, 64
	v_add_co_ci_u32_e64 v12, null, 0, v12, s0
	s_waitcnt vmcnt(2)
	v_subrev_nc_u32_e32 v23, s2, v23
	s_waitcnt vmcnt(1)
	v_cvt_f64_f32_e32 v[90:91], v15
	s_waitcnt vmcnt(0)
	v_cvt_f64_f32_e32 v[88:89], v21
	v_cvt_f64_f32_e32 v[21:22], v22
	;; [unrolled: 1-line block ×3, first 2 shown]
	v_lshlrev_b32_e32 v23, 2, v23
	v_cvt_f64_f32_e32 v[92:93], v17
	v_cvt_f64_f32_e32 v[17:18], v18
	v_ashrrev_i32_e32 v24, 31, v23
	v_lshlrev_b64 v[23:24], 4, v[23:24]
	v_add_co_u32 v27, vcc_lo, s6, v23
	v_add_co_ci_u32_e64 v28, null, s7, v24, vcc_lo
	s_clause 0x1
	global_load_dwordx4 v[23:26], v[27:28], off
	global_load_dwordx4 v[52:55], v[27:28], off offset:16
	s_clause 0x3
	global_load_dwordx4 v[56:59], v[34:35], off offset:32
	global_load_dwordx4 v[60:63], v[34:35], off offset:48
	;; [unrolled: 1-line block ×4, first 2 shown]
	s_clause 0x1
	global_load_dwordx4 v[72:75], v[27:28], off offset:32
	global_load_dwordx4 v[76:79], v[27:28], off offset:48
	s_clause 0x1
	global_load_dwordx4 v[80:83], v[34:35], off offset:96
	global_load_dwordx4 v[84:87], v[34:35], off offset:112
	v_cvt_f64_f32_e32 v[27:28], v19
	v_cvt_f64_f32_e32 v[19:20], v20
	v_add_co_u32 v34, vcc_lo, 0x800, v34
	v_add_co_ci_u32_e64 v35, null, 0, v35, vcc_lo
	v_add_co_u32 v13, vcc_lo, v13, 1
	v_add_co_ci_u32_e64 v14, null, 0, v14, vcc_lo
	;; [unrolled: 2-line block ×3, first 2 shown]
	v_cmp_eq_u64_e32 vcc_lo, 0, v[13:14]
	s_or_b32 s8, vcc_lo, s8
	s_waitcnt vmcnt(9)
	v_fma_f64 v[42:43], v[27:28], v[23:24], v[42:43]
	v_fma_f64 v[36:37], v[19:20], v[23:24], v[36:37]
	;; [unrolled: 1-line block ×8, first 2 shown]
	s_waitcnt vmcnt(7)
	v_cvt_f64_f32_e32 v[44:45], v56
	v_cvt_f64_f32_e32 v[56:57], v57
	;; [unrolled: 1-line block ×4, first 2 shown]
	s_waitcnt vmcnt(6)
	v_cvt_f64_f32_e32 v[96:97], v60
	v_cvt_f64_f32_e32 v[60:61], v61
	;; [unrolled: 1-line block ×4, first 2 shown]
	v_fma_f64 v[19:20], -v[19:20], v[25:26], v[42:43]
	v_fma_f64 v[27:28], v[27:28], v[25:26], v[36:37]
	v_fma_f64 v[21:22], -v[21:22], v[25:26], v[50:51]
	v_fma_f64 v[36:37], v[88:89], v[25:26], v[40:41]
	v_fma_f64 v[15:16], -v[15:16], v[25:26], v[48:49]
	v_fma_f64 v[40:41], v[90:91], v[25:26], v[46:47]
	v_fma_f64 v[17:18], -v[17:18], v[25:26], v[38:39]
	v_fma_f64 v[23:24], v[92:93], v[25:26], v[23:24]
	s_waitcnt vmcnt(5)
	v_cvt_f64_f32_e32 v[38:39], v64
	v_cvt_f64_f32_e32 v[42:43], v66
	v_cvt_f64_f32_e32 v[46:47], v67
	s_waitcnt vmcnt(4)
	v_cvt_f64_f32_e32 v[48:49], v68
	v_cvt_f64_f32_e32 v[50:51], v69
	s_waitcnt vmcnt(0)
	v_cvt_f64_f32_e32 v[66:67], v86
	v_cvt_f64_f32_e32 v[68:69], v87
	v_fma_f64 v[19:20], v[44:45], v[52:53], v[19:20]
	v_fma_f64 v[25:26], v[56:57], v[52:53], v[27:28]
	;; [unrolled: 1-line block ×8, first 2 shown]
	v_cvt_f64_f32_e32 v[40:41], v65
	v_cvt_f64_f32_e32 v[52:53], v70
	;; [unrolled: 1-line block ×3, first 2 shown]
	v_fma_f64 v[19:20], -v[56:57], v[54:55], v[19:20]
	v_fma_f64 v[25:26], v[44:45], v[54:55], v[25:26]
	v_fma_f64 v[21:22], -v[58:59], v[54:55], v[21:22]
	v_fma_f64 v[27:28], v[94:95], v[54:55], v[27:28]
	;; [unrolled: 2-line block ×4, first 2 shown]
	v_cvt_f64_f32_e32 v[44:45], v80
	v_cvt_f64_f32_e32 v[54:55], v81
	;; [unrolled: 1-line block ×6, first 2 shown]
	v_fma_f64 v[19:20], v[38:39], v[72:73], v[19:20]
	v_fma_f64 v[25:26], v[40:41], v[72:73], v[25:26]
	;; [unrolled: 1-line block ×8, first 2 shown]
	v_fma_f64 v[19:20], -v[40:41], v[74:75], v[19:20]
	v_fma_f64 v[25:26], v[38:39], v[74:75], v[25:26]
	v_fma_f64 v[21:22], -v[46:47], v[74:75], v[21:22]
	v_fma_f64 v[27:28], v[42:43], v[74:75], v[27:28]
	;; [unrolled: 2-line block ×4, first 2 shown]
	v_fma_f64 v[19:20], v[44:45], v[76:77], v[19:20]
	v_fma_f64 v[25:26], v[54:55], v[76:77], v[25:26]
	;; [unrolled: 1-line block ×8, first 2 shown]
	v_fma_f64 v[42:43], -v[54:55], v[78:79], v[19:20]
	v_fma_f64 v[36:37], v[44:45], v[78:79], v[25:26]
	v_fma_f64 v[50:51], -v[58:59], v[78:79], v[21:22]
	v_fma_f64 v[40:41], v[56:57], v[78:79], v[27:28]
	;; [unrolled: 2-line block ×4, first 2 shown]
	s_andn2_b32 exec_lo, exec_lo, s8
	s_cbranch_execnz .LBB172_27
; %bb.28:
	s_or_b32 exec_lo, exec_lo, s8
.LBB172_29:
	s_or_b32 exec_lo, exec_lo, s3
	s_mov_b32 s3, exec_lo
	v_cmpx_lt_u64_e32 47, v[9:10]
	s_cbranch_execz .LBB172_33
; %bb.30:
	v_lshlrev_b64 v[9:10], 2, v[30:31]
	s_mov_b32 s8, 0
	v_add_co_u32 v9, vcc_lo, s12, v9
	v_add_co_ci_u32_e64 v10, null, s13, v10, vcc_lo
	v_add_co_u32 v21, vcc_lo, 0x80, v9
	v_add_co_ci_u32_e64 v22, null, 0, v10, vcc_lo
.LBB172_31:                             ; =>This Inner Loop Header: Depth=1
	s_clause 0x1
	global_load_dword v23, v[21:22], off offset:-128
	global_load_dword v92, v[21:22], off offset:-64
	s_clause 0x2
	global_load_dwordx4 v[17:20], v[34:35], off
	global_load_dwordx4 v[13:16], v[34:35], off offset:16
	global_load_dwordx4 v[9:12], v[34:35], off offset:32
	s_clause 0x1
	global_load_dword v178, v[21:22], off
	global_load_dword v184, v[21:22], off offset:64
	s_waitcnt vmcnt(6)
	v_subrev_nc_u32_e32 v23, s2, v23
	s_waitcnt vmcnt(5)
	v_subrev_nc_u32_e32 v92, s2, v92
	s_waitcnt vmcnt(4)
	v_cvt_f64_f32_e32 v[164:165], v19
	v_cvt_f64_f32_e32 v[19:20], v20
	s_waitcnt vmcnt(3)
	v_cvt_f64_f32_e32 v[166:167], v13
	v_lshlrev_b32_e32 v23, 2, v23
	v_lshlrev_b32_e32 v92, 2, v92
	v_cvt_f64_f32_e32 v[13:14], v14
	v_cvt_f64_f32_e32 v[168:169], v15
	;; [unrolled: 1-line block ×3, first 2 shown]
	v_ashrrev_i32_e32 v24, 31, v23
	v_ashrrev_i32_e32 v93, 31, v92
	s_waitcnt vmcnt(2)
	v_cvt_f64_f32_e32 v[170:171], v9
	s_waitcnt vmcnt(1)
	v_subrev_nc_u32_e32 v9, s2, v178
	v_cvt_f64_f32_e32 v[172:173], v10
	v_lshlrev_b64 v[23:24], 4, v[23:24]
	v_lshlrev_b64 v[95:96], 4, v[92:93]
	v_cvt_f64_f32_e32 v[174:175], v11
	v_cvt_f64_f32_e32 v[176:177], v12
	v_lshlrev_b32_e32 v182, 2, v9
	v_add_co_u32 v27, vcc_lo, s6, v23
	v_add_co_ci_u32_e64 v28, null, s7, v24, vcc_lo
	v_add_co_u32 v124, vcc_lo, v34, 0x1000
	v_add_co_ci_u32_e64 v125, null, 0, v35, vcc_lo
	global_load_dwordx4 v[23:26], v[27:28], off
	global_load_dwordx4 v[52:55], v[34:35], off offset:48
	global_load_dwordx4 v[56:59], v[27:28], off offset:16
	s_clause 0x3
	global_load_dwordx4 v[60:63], v[34:35], off offset:64
	global_load_dwordx4 v[64:67], v[34:35], off offset:80
	;; [unrolled: 1-line block ×5, first 2 shown]
	v_add_co_u32 v128, vcc_lo, 0x800, v34
	v_add_co_ci_u32_e64 v129, null, 0, v35, vcc_lo
	s_clause 0x2
	global_load_dwordx4 v[80:83], v[124:125], off offset:-2048
	global_load_dwordx4 v[84:87], v[128:129], off offset:16
	global_load_dwordx4 v[88:91], v[128:129], off offset:32
	v_add_co_u32 v160, vcc_lo, s6, v95
	global_load_dwordx4 v[92:95], v[27:28], off offset:48
	v_add_co_ci_u32_e64 v161, null, s7, v96, vcc_lo
	global_load_dwordx4 v[96:99], v[160:161], off
	global_load_dwordx4 v[100:103], v[128:129], off offset:48
	global_load_dwordx4 v[104:107], v[160:161], off offset:16
	s_clause 0x1
	global_load_dwordx4 v[108:111], v[128:129], off offset:64
	global_load_dwordx4 v[112:115], v[128:129], off offset:80
	;; [unrolled: 1-line block ×3, first 2 shown]
	v_add_co_u32 v27, vcc_lo, 0x1000, v34
	v_add_co_ci_u32_e64 v28, null, 0, v35, vcc_lo
	s_clause 0x9
	global_load_dwordx4 v[120:123], v[128:129], off offset:96
	global_load_dwordx4 v[124:127], v[124:125], off
	global_load_dwordx4 v[128:131], v[128:129], off offset:112
	global_load_dwordx4 v[132:135], v[27:28], off offset:16
	;; [unrolled: 1-line block ×8, first 2 shown]
	v_cvt_f64_f32_e32 v[27:28], v17
	v_cvt_f64_f32_e32 v[17:18], v18
	global_load_dwordx4 v[9:12], v[160:161], off offset:48
	v_ashrrev_i32_e32 v183, 31, v182
	v_add_co_u32 v162, vcc_lo, 0x1800, v34
	v_add_co_ci_u32_e64 v163, null, 0, v35, vcc_lo
	v_add_co_u32 v34, s0, 0x2000, v34
	v_add_co_ci_u32_e64 v35, null, 0, v35, s0
	s_waitcnt vmcnt(28)
	v_fma_f64 v[42:43], v[27:28], v[23:24], v[42:43]
	v_fma_f64 v[36:37], v[17:18], v[23:24], v[36:37]
	;; [unrolled: 1-line block ×8, first 2 shown]
	v_lshlrev_b64 v[44:45], 4, v[182:183]
	s_waitcnt vmcnt(27)
	v_cvt_f64_f32_e32 v[178:179], v52
	v_cvt_f64_f32_e32 v[52:53], v53
	;; [unrolled: 1-line block ×4, first 2 shown]
	v_add_co_u32 v44, vcc_lo, s6, v44
	v_add_co_ci_u32_e64 v45, null, s7, v45, vcc_lo
	v_fma_f64 v[17:18], -v[17:18], v[25:26], v[42:43]
	v_fma_f64 v[27:28], v[27:28], v[25:26], v[36:37]
	v_fma_f64 v[19:20], -v[19:20], v[25:26], v[50:51]
	v_fma_f64 v[36:37], v[164:165], v[25:26], v[40:41]
	;; [unrolled: 2-line block ×4, first 2 shown]
	global_load_dwordx4 v[13:16], v[44:45], off
	s_waitcnt vmcnt(26)
	v_cvt_f64_f32_e32 v[160:161], v62
	v_cvt_f64_f32_e32 v[62:63], v63
	s_waitcnt vmcnt(25)
	v_cvt_f64_f32_e32 v[164:165], v64
	v_cvt_f64_f32_e32 v[64:65], v65
	;; [unrolled: 1-line block ×4, first 2 shown]
	v_fma_f64 v[46:47], v[170:171], v[56:57], v[17:18]
	v_fma_f64 v[27:28], v[172:173], v[56:57], v[27:28]
	;; [unrolled: 1-line block ×8, first 2 shown]
	v_cvt_f64_f32_e32 v[56:57], v60
	v_cvt_f64_f32_e32 v[60:61], v61
	s_clause 0x1
	global_load_dwordx4 v[17:20], v[162:163], off
	global_load_dwordx4 v[23:26], v[162:163], off offset:16
	v_fma_f64 v[46:47], -v[172:173], v[58:59], v[46:47]
	v_fma_f64 v[27:28], v[170:171], v[58:59], v[27:28]
	v_fma_f64 v[48:49], -v[176:177], v[58:59], v[48:49]
	v_fma_f64 v[168:169], v[174:175], v[58:59], v[36:37]
	;; [unrolled: 2-line block ×4, first 2 shown]
	global_load_dwordx4 v[36:39], v[44:45], off offset:16
	s_waitcnt vmcnt(27)
	v_cvt_f64_f32_e32 v[54:55], v68
	v_cvt_f64_f32_e32 v[58:59], v69
	s_waitcnt vmcnt(26)
	v_cvt_f64_f32_e32 v[170:171], v74
	v_cvt_f64_f32_e32 v[74:75], v75
	;; [unrolled: 3-line block ×3, first 2 shown]
	v_cvt_f64_f32_e32 v[174:175], v82
	v_subrev_nc_u32_e32 v176, s2, v184
	v_fma_f64 v[46:47], v[56:57], v[76:77], v[46:47]
	v_fma_f64 v[27:28], v[60:61], v[76:77], v[27:28]
	;; [unrolled: 1-line block ×8, first 2 shown]
	v_cvt_f64_f32_e32 v[76:77], v70
	v_cvt_f64_f32_e32 v[70:71], v71
	;; [unrolled: 1-line block ×4, first 2 shown]
	v_fma_f64 v[46:47], -v[60:61], v[78:79], v[46:47]
	v_fma_f64 v[27:28], v[56:57], v[78:79], v[27:28]
	v_fma_f64 v[48:49], -v[62:63], v[78:79], v[48:49]
	v_fma_f64 v[56:57], v[160:161], v[78:79], v[68:69]
	;; [unrolled: 2-line block ×4, first 2 shown]
	global_load_dwordx4 v[40:43], v[44:45], off offset:32
	v_cvt_f64_f32_e32 v[64:65], v83
	s_waitcnt vmcnt(24)
	v_cvt_f64_f32_e32 v[66:67], v84
	v_cvt_f64_f32_e32 v[68:69], v85
	;; [unrolled: 1-line block ×4, first 2 shown]
	s_waitcnt vmcnt(23)
	v_cvt_f64_f32_e32 v[84:85], v88
	v_cvt_f64_f32_e32 v[86:87], v89
	;; [unrolled: 1-line block ×4, first 2 shown]
	s_waitcnt vmcnt(20)
	v_cvt_f64_f32_e32 v[160:161], v102
	v_fma_f64 v[46:47], v[54:55], v[92:93], v[46:47]
	v_fma_f64 v[27:28], v[58:59], v[92:93], v[27:28]
	;; [unrolled: 1-line block ×8, first 2 shown]
	v_cvt_f64_f32_e32 v[92:93], v100
	v_cvt_f64_f32_e32 v[100:101], v101
	v_fma_f64 v[58:59], -v[58:59], v[94:95], v[46:47]
	v_fma_f64 v[27:28], v[54:55], v[94:95], v[27:28]
	v_fma_f64 v[48:49], -v[70:71], v[94:95], v[48:49]
	v_fma_f64 v[54:55], v[76:77], v[94:95], v[56:57]
	v_fma_f64 v[56:57], -v[72:73], v[94:95], v[60:61]
	v_fma_f64 v[60:61], v[168:169], v[94:95], v[62:63]
	v_fma_f64 v[52:53], -v[74:75], v[94:95], v[52:53]
	v_fma_f64 v[50:51], v[170:171], v[94:95], v[50:51]
	global_load_dwordx4 v[44:47], v[44:45], off offset:48
	v_lshlrev_b32_e32 v70, 2, v176
	v_cvt_f64_f32_e32 v[62:63], v103
	s_waitcnt vmcnt(19)
	v_cvt_f64_f32_e32 v[94:95], v111
	s_waitcnt vmcnt(18)
	v_cvt_f64_f32_e32 v[102:103], v114
	v_ashrrev_i32_e32 v71, 31, v70
	v_lshlrev_b64 v[70:71], 4, v[70:71]
	v_fma_f64 v[58:59], v[172:173], v[96:97], v[58:59]
	v_fma_f64 v[27:28], v[80:81], v[96:97], v[27:28]
	;; [unrolled: 1-line block ×8, first 2 shown]
	v_add_co_u32 v76, vcc_lo, s6, v70
	v_add_co_ci_u32_e64 v77, null, s7, v71, vcc_lo
	v_cvt_f64_f32_e32 v[96:97], v112
	v_add_co_u32 v30, vcc_lo, v30, 64
	v_add_co_ci_u32_e64 v31, null, 0, v31, vcc_lo
	v_add_co_u32 v21, vcc_lo, 0x100, v21
	v_add_co_ci_u32_e64 v22, null, 0, v22, vcc_lo
	v_cmp_ge_i64_e32 vcc_lo, v[30:31], v[32:33]
	v_fma_f64 v[58:59], -v[80:81], v[98:99], v[58:59]
	v_fma_f64 v[27:28], v[172:173], v[98:99], v[27:28]
	v_fma_f64 v[64:65], -v[64:65], v[98:99], v[48:49]
	v_fma_f64 v[72:73], v[174:175], v[98:99], v[54:55]
	;; [unrolled: 2-line block ×4, first 2 shown]
	global_load_dwordx4 v[48:51], v[76:77], off
	global_load_dwordx4 v[52:55], v[162:163], off offset:32
	v_cvt_f64_f32_e32 v[78:79], v108
	v_cvt_f64_f32_e32 v[80:81], v109
	;; [unrolled: 1-line block ×4, first 2 shown]
	s_waitcnt vmcnt(18)
	v_cvt_f64_f32_e32 v[108:109], v122
	v_cvt_f64_f32_e32 v[110:111], v123
	s_waitcnt vmcnt(16)
	v_cvt_f64_f32_e32 v[112:113], v128
	v_cvt_f64_f32_e32 v[122:123], v127
	s_or_b32 s8, vcc_lo, s8
	v_fma_f64 v[70:71], v[84:85], v[104:105], v[58:59]
	v_fma_f64 v[27:28], v[86:87], v[104:105], v[27:28]
	;; [unrolled: 1-line block ×8, first 2 shown]
	global_load_dwordx4 v[56:59], v[162:163], off offset:48
	v_cvt_f64_f32_e32 v[104:105], v115
	v_cvt_f64_f32_e32 v[114:115], v129
	s_waitcnt vmcnt(16)
	v_cvt_f64_f32_e32 v[128:129], v134
	v_fma_f64 v[70:71], -v[86:87], v[106:107], v[70:71]
	v_fma_f64 v[27:28], v[84:85], v[106:107], v[27:28]
	v_fma_f64 v[84:85], -v[90:91], v[106:107], v[64:65]
	v_fma_f64 v[72:73], v[88:89], v[106:107], v[72:73]
	;; [unrolled: 2-line block ×4, first 2 shown]
	global_load_dwordx4 v[60:63], v[76:77], off offset:16
	global_load_dwordx4 v[64:67], v[162:163], off offset:64
	v_cvt_f64_f32_e32 v[100:101], v120
	v_cvt_f64_f32_e32 v[106:107], v121
	;; [unrolled: 1-line block ×3, first 2 shown]
	v_fma_f64 v[90:91], v[78:79], v[116:117], v[70:71]
	v_fma_f64 v[27:28], v[80:81], v[116:117], v[27:28]
	;; [unrolled: 1-line block ×8, first 2 shown]
	global_load_dwordx4 v[68:71], v[162:163], off offset:80
	v_cvt_f64_f32_e32 v[116:117], v130
	v_cvt_f64_f32_e32 v[130:131], v135
	v_fma_f64 v[90:91], -v[80:81], v[118:119], v[90:91]
	v_fma_f64 v[27:28], v[78:79], v[118:119], v[27:28]
	v_fma_f64 v[84:85], -v[94:95], v[118:119], v[84:85]
	v_fma_f64 v[94:95], v[82:83], v[118:119], v[72:73]
	v_fma_f64 v[98:99], -v[98:99], v[118:119], v[74:75]
	v_fma_f64 v[86:87], v[96:97], v[118:119], v[86:87]
	v_fma_f64 v[88:89], -v[104:105], v[118:119], v[88:89]
	v_fma_f64 v[92:93], v[102:103], v[118:119], v[92:93]
	s_clause 0x1
	global_load_dwordx4 v[72:75], v[76:77], off offset:32
	global_load_dwordx4 v[76:79], v[76:77], off offset:48
	;; [unrolled: 1-line block ×3, first 2 shown]
	v_cvt_f64_f32_e32 v[104:105], v125
	v_cvt_f64_f32_e32 v[118:119], v126
	;; [unrolled: 1-line block ×3, first 2 shown]
	s_waitcnt vmcnt(15)
	v_fma_f64 v[90:91], v[100:101], v[9:10], v[90:91]
	v_fma_f64 v[27:28], v[106:107], v[9:10], v[27:28]
	;; [unrolled: 1-line block ×8, first 2 shown]
	global_load_dwordx4 v[84:87], v[162:163], off offset:112
	v_cvt_f64_f32_e32 v[92:93], v124
	v_cvt_f64_f32_e32 v[124:125], v132
	v_fma_f64 v[90:91], -v[106:107], v[11:12], v[90:91]
	v_fma_f64 v[27:28], v[100:101], v[11:12], v[27:28]
	v_fma_f64 v[96:97], -v[110:111], v[11:12], v[96:97]
	v_fma_f64 v[94:95], v[108:109], v[11:12], v[94:95]
	;; [unrolled: 2-line block ×4, first 2 shown]
	v_cvt_f64_f32_e32 v[102:103], v138
	v_cvt_f64_f32_e32 v[106:107], v139
	;; [unrolled: 1-line block ×8, first 2 shown]
	s_waitcnt vmcnt(15)
	v_fma_f64 v[11:12], v[92:93], v[13:14], v[90:91]
	v_fma_f64 v[27:28], v[104:105], v[13:14], v[27:28]
	;; [unrolled: 1-line block ×8, first 2 shown]
	v_cvt_f64_f32_e32 v[13:14], v136
	v_cvt_f64_f32_e32 v[100:101], v137
	v_fma_f64 v[11:12], -v[104:105], v[15:16], v[11:12]
	v_fma_f64 v[27:28], v[92:93], v[15:16], v[27:28]
	v_fma_f64 v[90:91], -v[122:123], v[15:16], v[90:91]
	v_fma_f64 v[92:93], v[118:119], v[15:16], v[94:95]
	;; [unrolled: 2-line block ×4, first 2 shown]
	v_cvt_f64_f32_e32 v[98:99], v146
	v_cvt_f64_f32_e32 v[104:105], v147
	;; [unrolled: 1-line block ×4, first 2 shown]
	s_waitcnt vmcnt(12)
	v_fma_f64 v[11:12], v[13:14], v[36:37], v[11:12]
	v_fma_f64 v[15:16], v[100:101], v[36:37], v[27:28]
	;; [unrolled: 1-line block ×8, first 2 shown]
	v_cvt_f64_f32_e32 v[36:37], v144
	v_cvt_f64_f32_e32 v[96:97], v145
	v_fma_f64 v[11:12], -v[100:101], v[38:39], v[11:12]
	v_fma_f64 v[13:14], v[13:14], v[38:39], v[15:16]
	v_fma_f64 v[15:16], -v[106:107], v[38:39], v[27:28]
	v_fma_f64 v[27:28], v[102:103], v[38:39], v[90:91]
	;; [unrolled: 2-line block ×4, first 2 shown]
	v_cvt_f64_f32_e32 v[94:95], v154
	v_cvt_f64_f32_e32 v[100:101], v155
	;; [unrolled: 1-line block ×6, first 2 shown]
	s_waitcnt vmcnt(11)
	v_fma_f64 v[11:12], v[36:37], v[40:41], v[11:12]
	v_fma_f64 v[13:14], v[96:97], v[40:41], v[13:14]
	;; [unrolled: 1-line block ×8, first 2 shown]
	v_cvt_f64_f32_e32 v[40:41], v152
	v_cvt_f64_f32_e32 v[92:93], v153
	v_fma_f64 v[11:12], -v[96:97], v[42:43], v[11:12]
	v_fma_f64 v[13:14], v[36:37], v[42:43], v[13:14]
	v_fma_f64 v[15:16], -v[104:105], v[42:43], v[15:16]
	v_fma_f64 v[27:28], v[98:99], v[42:43], v[27:28]
	;; [unrolled: 2-line block ×4, first 2 shown]
	v_cvt_f64_f32_e32 v[90:91], v23
	v_cvt_f64_f32_e32 v[23:24], v24
	;; [unrolled: 1-line block ×4, first 2 shown]
	s_waitcnt vmcnt(10)
	v_fma_f64 v[11:12], v[40:41], v[44:45], v[11:12]
	v_fma_f64 v[13:14], v[92:93], v[44:45], v[13:14]
	;; [unrolled: 1-line block ×8, first 2 shown]
	v_cvt_f64_f32_e32 v[44:45], v17
	v_cvt_f64_f32_e32 v[17:18], v18
	;; [unrolled: 1-line block ×4, first 2 shown]
	v_fma_f64 v[11:12], -v[92:93], v[46:47], v[11:12]
	v_fma_f64 v[13:14], v[40:41], v[46:47], v[13:14]
	v_fma_f64 v[15:16], -v[100:101], v[46:47], v[15:16]
	v_fma_f64 v[27:28], v[94:95], v[46:47], v[27:28]
	v_fma_f64 v[36:37], -v[106:107], v[46:47], v[36:37]
	v_fma_f64 v[38:39], v[102:103], v[46:47], v[38:39]
	v_fma_f64 v[40:41], -v[110:111], v[46:47], v[42:43]
	v_fma_f64 v[9:10], v[108:109], v[46:47], v[9:10]
	s_waitcnt vmcnt(8)
	v_cvt_f64_f32_e32 v[42:43], v52
	v_cvt_f64_f32_e32 v[46:47], v53
	v_fma_f64 v[11:12], v[44:45], v[48:49], v[11:12]
	v_fma_f64 v[13:14], v[17:18], v[48:49], v[13:14]
	;; [unrolled: 1-line block ×8, first 2 shown]
	v_cvt_f64_f32_e32 v[48:49], v54
	v_cvt_f64_f32_e32 v[52:53], v55
	s_waitcnt vmcnt(7)
	v_cvt_f64_f32_e32 v[54:55], v56
	v_cvt_f64_f32_e32 v[56:57], v57
	;; [unrolled: 1-line block ×4, first 2 shown]
	v_fma_f64 v[11:12], -v[17:18], v[50:51], v[11:12]
	v_fma_f64 v[13:14], v[44:45], v[50:51], v[13:14]
	v_fma_f64 v[15:16], -v[19:20], v[50:51], v[15:16]
	v_fma_f64 v[17:18], v[88:89], v[50:51], v[27:28]
	;; [unrolled: 2-line block ×4, first 2 shown]
	s_waitcnt vmcnt(5)
	v_cvt_f64_f32_e32 v[27:28], v64
	v_cvt_f64_f32_e32 v[36:37], v65
	;; [unrolled: 1-line block ×4, first 2 shown]
	v_fma_f64 v[11:12], v[42:43], v[60:61], v[11:12]
	v_fma_f64 v[13:14], v[46:47], v[60:61], v[13:14]
	v_fma_f64 v[15:16], v[48:49], v[60:61], v[15:16]
	v_fma_f64 v[17:18], v[52:53], v[60:61], v[17:18]
	v_fma_f64 v[19:20], v[54:55], v[60:61], v[19:20]
	v_fma_f64 v[23:24], v[56:57], v[60:61], v[23:24]
	v_fma_f64 v[25:26], v[92:93], v[60:61], v[25:26]
	v_fma_f64 v[9:10], v[58:59], v[60:61], v[9:10]
	s_waitcnt vmcnt(4)
	v_cvt_f64_f32_e32 v[44:45], v68
	v_cvt_f64_f32_e32 v[50:51], v69
	;; [unrolled: 1-line block ×4, first 2 shown]
	v_fma_f64 v[11:12], -v[46:47], v[62:63], v[11:12]
	v_fma_f64 v[13:14], v[42:43], v[62:63], v[13:14]
	v_fma_f64 v[15:16], -v[52:53], v[62:63], v[15:16]
	v_fma_f64 v[17:18], v[48:49], v[62:63], v[17:18]
	;; [unrolled: 2-line block ×4, first 2 shown]
	s_waitcnt vmcnt(1)
	v_cvt_f64_f32_e32 v[46:47], v80
	v_cvt_f64_f32_e32 v[42:43], v81
	;; [unrolled: 1-line block ×4, first 2 shown]
	v_fma_f64 v[11:12], v[27:28], v[72:73], v[11:12]
	v_fma_f64 v[13:14], v[36:37], v[72:73], v[13:14]
	v_fma_f64 v[15:16], v[38:39], v[72:73], v[15:16]
	v_fma_f64 v[17:18], v[40:41], v[72:73], v[17:18]
	v_fma_f64 v[19:20], v[44:45], v[72:73], v[19:20]
	v_fma_f64 v[23:24], v[50:51], v[72:73], v[23:24]
	v_fma_f64 v[25:26], v[60:61], v[72:73], v[25:26]
	v_fma_f64 v[9:10], v[64:65], v[72:73], v[9:10]
	s_waitcnt vmcnt(0)
	v_cvt_f64_f32_e32 v[54:55], v84
	v_cvt_f64_f32_e32 v[56:57], v85
	;; [unrolled: 1-line block ×4, first 2 shown]
	v_fma_f64 v[11:12], -v[36:37], v[74:75], v[11:12]
	v_fma_f64 v[13:14], v[27:28], v[74:75], v[13:14]
	v_fma_f64 v[15:16], -v[40:41], v[74:75], v[15:16]
	v_fma_f64 v[17:18], v[38:39], v[74:75], v[17:18]
	v_fma_f64 v[19:20], -v[50:51], v[74:75], v[19:20]
	v_fma_f64 v[23:24], v[44:45], v[74:75], v[23:24]
	v_fma_f64 v[25:26], -v[64:65], v[74:75], v[25:26]
	v_fma_f64 v[9:10], v[60:61], v[74:75], v[9:10]
	v_fma_f64 v[11:12], v[46:47], v[76:77], v[11:12]
	v_fma_f64 v[13:14], v[42:43], v[76:77], v[13:14]
	;; [unrolled: 1-line block ×8, first 2 shown]
	v_fma_f64 v[42:43], -v[42:43], v[78:79], v[11:12]
	v_fma_f64 v[36:37], v[46:47], v[78:79], v[13:14]
	v_fma_f64 v[50:51], -v[52:53], v[78:79], v[15:16]
	v_fma_f64 v[40:41], v[48:49], v[78:79], v[17:18]
	v_fma_f64 v[48:49], -v[56:57], v[78:79], v[19:20]
	v_fma_f64 v[46:47], v[54:55], v[78:79], v[23:24]
	v_fma_f64 v[38:39], -v[62:63], v[78:79], v[25:26]
	v_fma_f64 v[44:45], v[58:59], v[78:79], v[9:10]
	s_andn2_b32 exec_lo, exec_lo, s8
	s_cbranch_execnz .LBB172_31
; %bb.32:
	s_or_b32 exec_lo, exec_lo, s8
.LBB172_33:
	s_or_b32 exec_lo, exec_lo, s3
.LBB172_34:
	s_or_b32 exec_lo, exec_lo, s1
.LBB172_35:
	v_mbcnt_lo_u32_b32 v52, -1, 0
	v_xor_b32_e32 v9, 8, v52
	v_xor_b32_e32 v25, 4, v52
	v_cmp_gt_i32_e32 vcc_lo, 32, v9
	v_cndmask_b32_e32 v9, v52, v9, vcc_lo
	v_cmp_gt_i32_e32 vcc_lo, 32, v25
	v_lshlrev_b32_e32 v24, 2, v9
	v_cndmask_b32_e32 v25, v52, v25, vcc_lo
	ds_bpermute_b32 v9, v24, v42
	ds_bpermute_b32 v10, v24, v43
	;; [unrolled: 1-line block ×16, first 2 shown]
	s_waitcnt lgkmcnt(14)
	v_add_f64 v[9:10], v[42:43], v[9:10]
	s_waitcnt lgkmcnt(12)
	v_add_f64 v[11:12], v[36:37], v[11:12]
	;; [unrolled: 2-line block ×4, first 2 shown]
	v_lshlrev_b32_e32 v41, 2, v25
	s_waitcnt lgkmcnt(6)
	v_add_f64 v[17:18], v[48:49], v[17:18]
	s_waitcnt lgkmcnt(4)
	v_add_f64 v[19:20], v[46:47], v[19:20]
	;; [unrolled: 2-line block ×4, first 2 shown]
	ds_bpermute_b32 v25, v41, v9
	ds_bpermute_b32 v26, v41, v10
	ds_bpermute_b32 v27, v41, v11
	ds_bpermute_b32 v28, v41, v12
	ds_bpermute_b32 v30, v41, v13
	ds_bpermute_b32 v31, v41, v14
	ds_bpermute_b32 v32, v41, v15
	ds_bpermute_b32 v33, v41, v16
	ds_bpermute_b32 v34, v41, v17
	ds_bpermute_b32 v35, v41, v18
	ds_bpermute_b32 v36, v41, v19
	ds_bpermute_b32 v37, v41, v20
	ds_bpermute_b32 v38, v41, v21
	ds_bpermute_b32 v39, v41, v22
	ds_bpermute_b32 v40, v41, v23
	ds_bpermute_b32 v41, v41, v24
	s_waitcnt lgkmcnt(14)
	v_add_f64 v[9:10], v[9:10], v[25:26]
	v_xor_b32_e32 v25, 2, v52
	s_waitcnt lgkmcnt(12)
	v_add_f64 v[11:12], v[11:12], v[27:28]
	s_waitcnt lgkmcnt(10)
	v_add_f64 v[13:14], v[13:14], v[30:31]
	v_cmp_gt_i32_e32 vcc_lo, 32, v25
	s_waitcnt lgkmcnt(8)
	v_add_f64 v[15:16], v[15:16], v[32:33]
	s_waitcnt lgkmcnt(6)
	v_add_f64 v[17:18], v[17:18], v[34:35]
	;; [unrolled: 2-line block ×3, first 2 shown]
	v_cndmask_b32_e32 v27, v52, v25, vcc_lo
	s_waitcnt lgkmcnt(2)
	v_add_f64 v[21:22], v[21:22], v[38:39]
	s_waitcnt lgkmcnt(0)
	v_add_f64 v[25:26], v[23:24], v[40:41]
	v_lshlrev_b32_e32 v41, 2, v27
	ds_bpermute_b32 v23, v41, v9
	ds_bpermute_b32 v24, v41, v10
	;; [unrolled: 1-line block ×16, first 2 shown]
	s_waitcnt lgkmcnt(14)
	v_add_f64 v[9:10], v[9:10], v[23:24]
	s_waitcnt lgkmcnt(12)
	v_add_f64 v[27:28], v[11:12], v[27:28]
	;; [unrolled: 2-line block ×3, first 2 shown]
	v_xor_b32_e32 v30, 1, v52
	s_waitcnt lgkmcnt(8)
	v_add_f64 v[23:24], v[15:16], v[32:33]
	s_waitcnt lgkmcnt(6)
	v_add_f64 v[13:14], v[17:18], v[34:35]
	v_cmp_gt_i32_e32 vcc_lo, 32, v30
	s_waitcnt lgkmcnt(4)
	v_add_f64 v[17:18], v[19:20], v[36:37]
	s_waitcnt lgkmcnt(2)
	v_add_f64 v[15:16], v[21:22], v[38:39]
	;; [unrolled: 2-line block ×3, first 2 shown]
	v_cndmask_b32_e32 v30, v52, v30, vcc_lo
	v_cmp_eq_u32_e32 vcc_lo, 15, v0
	v_lshlrev_b32_e32 v35, 2, v30
	ds_bpermute_b32 v21, v35, v9
	ds_bpermute_b32 v22, v35, v10
	;; [unrolled: 1-line block ×16, first 2 shown]
	s_and_b32 exec_lo, exec_lo, vcc_lo
	s_cbranch_execz .LBB172_8
; %bb.36:
	s_waitcnt lgkmcnt(12)
	v_add_f64 v[27:28], v[27:28], v[40:41]
	s_waitcnt lgkmcnt(8)
	v_add_f64 v[23:24], v[23:24], v[38:39]
	;; [unrolled: 2-line block ×4, first 2 shown]
	v_add_f64 v[9:10], v[9:10], v[21:22]
	v_add_f64 v[11:12], v[11:12], v[25:26]
	;; [unrolled: 1-line block ×4, first 2 shown]
	v_cmp_eq_f64_e32 vcc_lo, 0, v[1:2]
	v_cmp_eq_f64_e64 s0, 0, v[3:4]
	s_load_dwordx2 s[2:3], s[4:5], 0x60
	v_mul_f64 v[13:14], v[27:28], -v[7:8]
	v_mul_f64 v[15:16], v[5:6], v[27:28]
	v_mul_f64 v[27:28], v[23:24], -v[7:8]
	v_mul_f64 v[23:24], v[5:6], v[23:24]
	;; [unrolled: 2-line block ×4, first 2 shown]
	s_and_b32 s0, vcc_lo, s0
	v_fma_f64 v[17:18], v[5:6], v[9:10], v[13:14]
	v_fma_f64 v[19:20], v[7:8], v[9:10], v[15:16]
	v_fma_f64 v[13:14], v[5:6], v[11:12], v[27:28]
	v_fma_f64 v[15:16], v[7:8], v[11:12], v[23:24]
	v_fma_f64 v[9:10], v[5:6], v[21:22], v[30:31]
	v_fma_f64 v[11:12], v[7:8], v[21:22], v[32:33]
	v_fma_f64 v[5:6], v[5:6], v[25:26], v[34:35]
	v_fma_f64 v[7:8], v[7:8], v[25:26], v[36:37]
	v_lshlrev_b32_e32 v21, 2, v29
	s_and_saveexec_b32 s1, s0
	s_xor_b32 s0, exec_lo, s1
	s_cbranch_execz .LBB172_38
; %bb.37:
	v_ashrrev_i32_e32 v22, 31, v21
	v_lshlrev_b64 v[0:1], 4, v[21:22]
                                        ; implicit-def: $vgpr21
	s_waitcnt lgkmcnt(0)
	v_add_co_u32 v0, vcc_lo, s2, v0
	v_add_co_ci_u32_e64 v1, null, s3, v1, vcc_lo
	global_store_dwordx4 v[0:1], v[17:20], off
	global_store_dwordx4 v[0:1], v[13:16], off offset:16
	global_store_dwordx4 v[0:1], v[9:12], off offset:32
	;; [unrolled: 1-line block ×3, first 2 shown]
                                        ; implicit-def: $vgpr3_vgpr4
                                        ; implicit-def: $vgpr17_vgpr18
                                        ; implicit-def: $vgpr13_vgpr14
                                        ; implicit-def: $vgpr9_vgpr10
                                        ; implicit-def: $vgpr5_vgpr6
.LBB172_38:
	s_andn2_saveexec_b32 s0, s0
	s_cbranch_execz .LBB172_8
; %bb.39:
	v_ashrrev_i32_e32 v22, 31, v21
	v_lshlrev_b64 v[21:22], 4, v[21:22]
	s_waitcnt lgkmcnt(0)
	v_add_co_u32 v37, vcc_lo, s2, v21
	v_add_co_ci_u32_e64 v38, null, s3, v22, vcc_lo
	s_clause 0x3
	global_load_dwordx4 v[21:24], v[37:38], off
	global_load_dwordx4 v[25:28], v[37:38], off offset:16
	global_load_dwordx4 v[29:32], v[37:38], off offset:32
	;; [unrolled: 1-line block ×3, first 2 shown]
	s_waitcnt vmcnt(3)
	v_fma_f64 v[17:18], v[1:2], v[21:22], v[17:18]
	v_fma_f64 v[19:20], v[3:4], v[21:22], v[19:20]
	s_waitcnt vmcnt(2)
	v_fma_f64 v[13:14], v[1:2], v[25:26], v[13:14]
	v_fma_f64 v[15:16], v[3:4], v[25:26], v[15:16]
	;; [unrolled: 3-line block ×4, first 2 shown]
	v_fma_f64 v[5:6], -v[3:4], v[23:24], v[17:18]
	v_fma_f64 v[7:8], v[1:2], v[23:24], v[19:20]
	v_fma_f64 v[9:10], -v[3:4], v[27:28], v[13:14]
	v_fma_f64 v[11:12], v[1:2], v[27:28], v[15:16]
	v_fma_f64 v[13:14], -v[3:4], v[31:32], v[21:22]
	v_fma_f64 v[15:16], v[1:2], v[31:32], v[25:26]
	v_fma_f64 v[17:18], -v[3:4], v[35:36], v[29:30]
	v_fma_f64 v[19:20], v[1:2], v[35:36], v[33:34]
	global_store_dwordx4 v[37:38], v[5:8], off
	global_store_dwordx4 v[37:38], v[9:12], off offset:16
	global_store_dwordx4 v[37:38], v[13:16], off offset:32
	;; [unrolled: 1-line block ×3, first 2 shown]
	s_endpgm
	.section	.rodata,"a",@progbits
	.p2align	6, 0x0
	.amdhsa_kernel _ZN9rocsparseL18bsrxmvn_4x4_kernelILj128ELj16E21rocsparse_complex_numIdEliS1_IfES2_S2_EEvT3_20rocsparse_direction_NS_24const_host_device_scalarIT1_EES4_PKS4_PKT2_SD_SA_PKT4_PKT5_S8_PT6_21rocsparse_index_base_b
		.amdhsa_group_segment_fixed_size 0
		.amdhsa_private_segment_fixed_size 0
		.amdhsa_kernarg_size 112
		.amdhsa_user_sgpr_count 6
		.amdhsa_user_sgpr_private_segment_buffer 1
		.amdhsa_user_sgpr_dispatch_ptr 0
		.amdhsa_user_sgpr_queue_ptr 0
		.amdhsa_user_sgpr_kernarg_segment_ptr 1
		.amdhsa_user_sgpr_dispatch_id 0
		.amdhsa_user_sgpr_flat_scratch_init 0
		.amdhsa_user_sgpr_private_segment_size 0
		.amdhsa_wavefront_size32 1
		.amdhsa_uses_dynamic_stack 0
		.amdhsa_system_sgpr_private_segment_wavefront_offset 0
		.amdhsa_system_sgpr_workgroup_id_x 1
		.amdhsa_system_sgpr_workgroup_id_y 0
		.amdhsa_system_sgpr_workgroup_id_z 0
		.amdhsa_system_sgpr_workgroup_info 0
		.amdhsa_system_vgpr_workitem_id 0
		.amdhsa_next_free_vgpr 207
		.amdhsa_next_free_sgpr 16
		.amdhsa_reserve_vcc 1
		.amdhsa_reserve_flat_scratch 0
		.amdhsa_float_round_mode_32 0
		.amdhsa_float_round_mode_16_64 0
		.amdhsa_float_denorm_mode_32 3
		.amdhsa_float_denorm_mode_16_64 3
		.amdhsa_dx10_clamp 1
		.amdhsa_ieee_mode 1
		.amdhsa_fp16_overflow 0
		.amdhsa_workgroup_processor_mode 1
		.amdhsa_memory_ordered 1
		.amdhsa_forward_progress 1
		.amdhsa_shared_vgpr_count 0
		.amdhsa_exception_fp_ieee_invalid_op 0
		.amdhsa_exception_fp_denorm_src 0
		.amdhsa_exception_fp_ieee_div_zero 0
		.amdhsa_exception_fp_ieee_overflow 0
		.amdhsa_exception_fp_ieee_underflow 0
		.amdhsa_exception_fp_ieee_inexact 0
		.amdhsa_exception_int_div_zero 0
	.end_amdhsa_kernel
	.section	.text._ZN9rocsparseL18bsrxmvn_4x4_kernelILj128ELj16E21rocsparse_complex_numIdEliS1_IfES2_S2_EEvT3_20rocsparse_direction_NS_24const_host_device_scalarIT1_EES4_PKS4_PKT2_SD_SA_PKT4_PKT5_S8_PT6_21rocsparse_index_base_b,"axG",@progbits,_ZN9rocsparseL18bsrxmvn_4x4_kernelILj128ELj16E21rocsparse_complex_numIdEliS1_IfES2_S2_EEvT3_20rocsparse_direction_NS_24const_host_device_scalarIT1_EES4_PKS4_PKT2_SD_SA_PKT4_PKT5_S8_PT6_21rocsparse_index_base_b,comdat
.Lfunc_end172:
	.size	_ZN9rocsparseL18bsrxmvn_4x4_kernelILj128ELj16E21rocsparse_complex_numIdEliS1_IfES2_S2_EEvT3_20rocsparse_direction_NS_24const_host_device_scalarIT1_EES4_PKS4_PKT2_SD_SA_PKT4_PKT5_S8_PT6_21rocsparse_index_base_b, .Lfunc_end172-_ZN9rocsparseL18bsrxmvn_4x4_kernelILj128ELj16E21rocsparse_complex_numIdEliS1_IfES2_S2_EEvT3_20rocsparse_direction_NS_24const_host_device_scalarIT1_EES4_PKS4_PKT2_SD_SA_PKT4_PKT5_S8_PT6_21rocsparse_index_base_b
                                        ; -- End function
	.set _ZN9rocsparseL18bsrxmvn_4x4_kernelILj128ELj16E21rocsparse_complex_numIdEliS1_IfES2_S2_EEvT3_20rocsparse_direction_NS_24const_host_device_scalarIT1_EES4_PKS4_PKT2_SD_SA_PKT4_PKT5_S8_PT6_21rocsparse_index_base_b.num_vgpr, 207
	.set _ZN9rocsparseL18bsrxmvn_4x4_kernelILj128ELj16E21rocsparse_complex_numIdEliS1_IfES2_S2_EEvT3_20rocsparse_direction_NS_24const_host_device_scalarIT1_EES4_PKS4_PKT2_SD_SA_PKT4_PKT5_S8_PT6_21rocsparse_index_base_b.num_agpr, 0
	.set _ZN9rocsparseL18bsrxmvn_4x4_kernelILj128ELj16E21rocsparse_complex_numIdEliS1_IfES2_S2_EEvT3_20rocsparse_direction_NS_24const_host_device_scalarIT1_EES4_PKS4_PKT2_SD_SA_PKT4_PKT5_S8_PT6_21rocsparse_index_base_b.numbered_sgpr, 16
	.set _ZN9rocsparseL18bsrxmvn_4x4_kernelILj128ELj16E21rocsparse_complex_numIdEliS1_IfES2_S2_EEvT3_20rocsparse_direction_NS_24const_host_device_scalarIT1_EES4_PKS4_PKT2_SD_SA_PKT4_PKT5_S8_PT6_21rocsparse_index_base_b.num_named_barrier, 0
	.set _ZN9rocsparseL18bsrxmvn_4x4_kernelILj128ELj16E21rocsparse_complex_numIdEliS1_IfES2_S2_EEvT3_20rocsparse_direction_NS_24const_host_device_scalarIT1_EES4_PKS4_PKT2_SD_SA_PKT4_PKT5_S8_PT6_21rocsparse_index_base_b.private_seg_size, 0
	.set _ZN9rocsparseL18bsrxmvn_4x4_kernelILj128ELj16E21rocsparse_complex_numIdEliS1_IfES2_S2_EEvT3_20rocsparse_direction_NS_24const_host_device_scalarIT1_EES4_PKS4_PKT2_SD_SA_PKT4_PKT5_S8_PT6_21rocsparse_index_base_b.uses_vcc, 1
	.set _ZN9rocsparseL18bsrxmvn_4x4_kernelILj128ELj16E21rocsparse_complex_numIdEliS1_IfES2_S2_EEvT3_20rocsparse_direction_NS_24const_host_device_scalarIT1_EES4_PKS4_PKT2_SD_SA_PKT4_PKT5_S8_PT6_21rocsparse_index_base_b.uses_flat_scratch, 0
	.set _ZN9rocsparseL18bsrxmvn_4x4_kernelILj128ELj16E21rocsparse_complex_numIdEliS1_IfES2_S2_EEvT3_20rocsparse_direction_NS_24const_host_device_scalarIT1_EES4_PKS4_PKT2_SD_SA_PKT4_PKT5_S8_PT6_21rocsparse_index_base_b.has_dyn_sized_stack, 0
	.set _ZN9rocsparseL18bsrxmvn_4x4_kernelILj128ELj16E21rocsparse_complex_numIdEliS1_IfES2_S2_EEvT3_20rocsparse_direction_NS_24const_host_device_scalarIT1_EES4_PKS4_PKT2_SD_SA_PKT4_PKT5_S8_PT6_21rocsparse_index_base_b.has_recursion, 0
	.set _ZN9rocsparseL18bsrxmvn_4x4_kernelILj128ELj16E21rocsparse_complex_numIdEliS1_IfES2_S2_EEvT3_20rocsparse_direction_NS_24const_host_device_scalarIT1_EES4_PKS4_PKT2_SD_SA_PKT4_PKT5_S8_PT6_21rocsparse_index_base_b.has_indirect_call, 0
	.section	.AMDGPU.csdata,"",@progbits
; Kernel info:
; codeLenInByte = 11676
; TotalNumSgprs: 18
; NumVgprs: 207
; ScratchSize: 0
; MemoryBound: 0
; FloatMode: 240
; IeeeMode: 1
; LDSByteSize: 0 bytes/workgroup (compile time only)
; SGPRBlocks: 0
; VGPRBlocks: 25
; NumSGPRsForWavesPerEU: 18
; NumVGPRsForWavesPerEU: 207
; Occupancy: 4
; WaveLimiterHint : 1
; COMPUTE_PGM_RSRC2:SCRATCH_EN: 0
; COMPUTE_PGM_RSRC2:USER_SGPR: 6
; COMPUTE_PGM_RSRC2:TRAP_HANDLER: 0
; COMPUTE_PGM_RSRC2:TGID_X_EN: 1
; COMPUTE_PGM_RSRC2:TGID_Y_EN: 0
; COMPUTE_PGM_RSRC2:TGID_Z_EN: 0
; COMPUTE_PGM_RSRC2:TIDIG_COMP_CNT: 0
	.section	.text._ZN9rocsparseL18bsrxmvn_4x4_kernelILj128ELj32E21rocsparse_complex_numIdEliS1_IfES2_S2_EEvT3_20rocsparse_direction_NS_24const_host_device_scalarIT1_EES4_PKS4_PKT2_SD_SA_PKT4_PKT5_S8_PT6_21rocsparse_index_base_b,"axG",@progbits,_ZN9rocsparseL18bsrxmvn_4x4_kernelILj128ELj32E21rocsparse_complex_numIdEliS1_IfES2_S2_EEvT3_20rocsparse_direction_NS_24const_host_device_scalarIT1_EES4_PKS4_PKT2_SD_SA_PKT4_PKT5_S8_PT6_21rocsparse_index_base_b,comdat
	.globl	_ZN9rocsparseL18bsrxmvn_4x4_kernelILj128ELj32E21rocsparse_complex_numIdEliS1_IfES2_S2_EEvT3_20rocsparse_direction_NS_24const_host_device_scalarIT1_EES4_PKS4_PKT2_SD_SA_PKT4_PKT5_S8_PT6_21rocsparse_index_base_b ; -- Begin function _ZN9rocsparseL18bsrxmvn_4x4_kernelILj128ELj32E21rocsparse_complex_numIdEliS1_IfES2_S2_EEvT3_20rocsparse_direction_NS_24const_host_device_scalarIT1_EES4_PKS4_PKT2_SD_SA_PKT4_PKT5_S8_PT6_21rocsparse_index_base_b
	.p2align	8
	.type	_ZN9rocsparseL18bsrxmvn_4x4_kernelILj128ELj32E21rocsparse_complex_numIdEliS1_IfES2_S2_EEvT3_20rocsparse_direction_NS_24const_host_device_scalarIT1_EES4_PKS4_PKT2_SD_SA_PKT4_PKT5_S8_PT6_21rocsparse_index_base_b,@function
_ZN9rocsparseL18bsrxmvn_4x4_kernelILj128ELj32E21rocsparse_complex_numIdEliS1_IfES2_S2_EEvT3_20rocsparse_direction_NS_24const_host_device_scalarIT1_EES4_PKS4_PKT2_SD_SA_PKT4_PKT5_S8_PT6_21rocsparse_index_base_b: ; @_ZN9rocsparseL18bsrxmvn_4x4_kernelILj128ELj32E21rocsparse_complex_numIdEliS1_IfES2_S2_EEvT3_20rocsparse_direction_NS_24const_host_device_scalarIT1_EES4_PKS4_PKT2_SD_SA_PKT4_PKT5_S8_PT6_21rocsparse_index_base_b
; %bb.0:
	s_clause 0x1
	s_load_dwordx2 s[2:3], s[4:5], 0x68
	s_load_dwordx2 s[0:1], s[4:5], 0x8
	s_add_u32 s7, s4, 8
	s_addc_u32 s10, s5, 0
	s_add_u32 s11, s4, 0x50
	s_addc_u32 s12, s5, 0
	s_load_dwordx2 s[8:9], s[4:5], 0x50
	s_waitcnt lgkmcnt(0)
	s_bitcmp1_b32 s3, 0
	s_cselect_b32 s0, s7, s0
	s_cselect_b32 s1, s10, s1
	v_mov_b32_e32 v1, s0
	v_mov_b32_e32 v2, s1
	s_cselect_b32 s0, s11, s8
	s_cselect_b32 s1, s12, s9
	flat_load_dwordx4 v[5:8], v[1:2]
	v_mov_b32_e32 v1, s0
	v_mov_b32_e32 v2, s1
	flat_load_dwordx4 v[1:4], v[1:2]
	s_waitcnt vmcnt(1) lgkmcnt(1)
	v_cmp_eq_f64_e32 vcc_lo, 0, v[5:6]
	v_cmp_eq_f64_e64 s0, 0, v[7:8]
	s_and_b32 s3, vcc_lo, s0
	s_mov_b32 s0, -1
	s_and_saveexec_b32 s1, s3
	s_cbranch_execz .LBB173_2
; %bb.1:
	s_waitcnt vmcnt(0) lgkmcnt(0)
	v_cmp_neq_f64_e32 vcc_lo, 1.0, v[1:2]
	v_cmp_neq_f64_e64 s0, 0, v[3:4]
	s_or_b32 s0, vcc_lo, s0
	s_orn2_b32 s0, s0, exec_lo
.LBB173_2:
	s_or_b32 exec_lo, exec_lo, s1
	s_and_saveexec_b32 s1, s0
	s_cbranch_execz .LBB173_8
; %bb.3:
	s_clause 0x1
	s_load_dwordx2 s[8:9], s[4:5], 0x20
	s_load_dwordx2 s[0:1], s[4:5], 0x0
	v_lshrrev_b32_e32 v9, 5, v0
	v_lshl_or_b32 v41, s6, 2, v9
	s_waitcnt lgkmcnt(0)
	s_cmp_lg_u64 s[8:9], 0
	s_cbranch_scc0 .LBB173_9
; %bb.4:
	s_load_dword s3, s[4:5], 0x18
	s_mov_b32 s6, 0
                                        ; implicit-def: $vgpr9
	s_waitcnt lgkmcnt(0)
	v_cmp_gt_i32_e32 vcc_lo, s3, v41
	s_mov_b32 s3, 0
	s_and_saveexec_b32 s7, vcc_lo
	s_xor_b32 s7, exec_lo, s7
	s_cbranch_execz .LBB173_6
; %bb.5:
	v_ashrrev_i32_e32 v42, 31, v41
	s_mov_b32 s3, exec_lo
	v_lshlrev_b64 v[9:10], 2, v[41:42]
	v_add_co_u32 v9, vcc_lo, s8, v9
	v_add_co_ci_u32_e64 v10, null, s9, v10, vcc_lo
	global_load_dword v9, v[9:10], off
	s_waitcnt vmcnt(0)
	v_subrev_nc_u32_e32 v9, s2, v9
.LBB173_6:
	s_or_b32 exec_lo, exec_lo, s7
	s_and_b32 vcc_lo, exec_lo, s6
	s_cbranch_vccz .LBB173_10
.LBB173_7:
	v_cmp_gt_i32_e32 vcc_lo, s0, v41
	s_andn2_b32 s0, s3, exec_lo
	s_and_b32 s3, vcc_lo, exec_lo
	s_or_b32 s3, s0, s3
	s_and_b32 exec_lo, exec_lo, s3
	s_cbranch_execnz .LBB173_11
.LBB173_8:
	s_endpgm
.LBB173_9:
	s_mov_b32 s3, 0
                                        ; implicit-def: $vgpr9
	s_cbranch_execnz .LBB173_7
.LBB173_10:
	v_mov_b32_e32 v41, v9
	s_and_b32 exec_lo, exec_lo, s3
	s_cbranch_execz .LBB173_8
.LBB173_11:
	s_load_dwordx8 s[8:15], s[4:5], 0x28
	v_ashrrev_i32_e32 v42, 31, v41
	v_and_b32_e32 v0, 31, v0
	s_load_dwordx2 s[6:7], s[4:5], 0x48
	v_lshlrev_b64 v[9:10], 3, v[41:42]
	s_waitcnt lgkmcnt(0)
	v_add_co_u32 v11, vcc_lo, s8, v9
	v_add_co_ci_u32_e64 v12, null, s9, v10, vcc_lo
	v_add_co_u32 v9, vcc_lo, s10, v9
	v_add_co_ci_u32_e64 v10, null, s11, v10, vcc_lo
	;; [unrolled: 2-line block ×3, first 2 shown]
	global_load_dwordx2 v[64:65], v[11:12], off
	s_cmp_eq_u64 s[10:11], 0
	s_cselect_b32 vcc_lo, -1, 0
	s_cmp_eq_u32 s1, 1
	v_cndmask_b32_e32 v10, v10, v14, vcc_lo
	v_cndmask_b32_e32 v9, v9, v13, vcc_lo
	global_load_dwordx2 v[9:10], v[9:10], off
	s_waitcnt vmcnt(1)
	v_sub_co_u32 v11, vcc_lo, v64, s2
	v_subrev_co_ci_u32_e64 v12, null, 0, v65, vcc_lo
	v_add_co_u32 v42, vcc_lo, v11, v0
	v_add_co_ci_u32_e64 v43, null, 0, v12, vcc_lo
	s_waitcnt vmcnt(0)
	v_sub_co_u32 v44, vcc_lo, v9, s2
	v_subrev_co_ci_u32_e64 v45, null, 0, v10, vcc_lo
	v_lshlrev_b64 v[9:10], 7, v[42:43]
	v_cmp_lt_i64_e64 s0, v[42:43], v[44:45]
	v_add_co_u32 v46, vcc_lo, s14, v9
	v_add_co_ci_u32_e64 v47, null, s15, v10, vcc_lo
	s_cbranch_scc1 .LBB173_23
; %bb.12:
	v_mov_b32_e32 v52, 0
	v_mov_b32_e32 v58, 0
	;; [unrolled: 1-line block ×16, first 2 shown]
	s_and_saveexec_b32 s3, s0
	s_cbranch_execz .LBB173_22
; %bb.13:
	v_or_b32_e32 v9, 32, v0
	v_not_b32_e32 v13, v64
	v_not_b32_e32 v11, v65
	v_mov_b32_e32 v48, 0
	v_mov_b32_e32 v50, 0
	v_sub_co_u32 v9, s1, v9, s2
	v_sub_co_ci_u32_e64 v10, null, 0, 0, s1
	v_sub_co_u32 v14, s1, s2, v0
	v_add_co_u32 v9, vcc_lo, v9, v64
	v_add_co_ci_u32_e64 v10, null, v10, v65, vcc_lo
	v_sub_co_ci_u32_e64 v15, null, 0, 0, s1
	v_add_co_u32 v13, s1, v14, v13
	v_cmp_gt_i64_e32 vcc_lo, v[9:10], v[44:45]
	v_add_co_ci_u32_e64 v11, null, v15, v11, s1
	v_mov_b32_e32 v60, 0
	v_mov_b32_e32 v56, 0
	;; [unrolled: 1-line block ×3, first 2 shown]
	v_cndmask_b32_e32 v9, v44, v9, vcc_lo
	v_cndmask_b32_e32 v10, v45, v10, vcc_lo
	v_mov_b32_e32 v54, 0
	v_mov_b32_e32 v58, 0
	;; [unrolled: 1-line block ×3, first 2 shown]
	v_add_co_u32 v9, vcc_lo, v13, v9
	v_mov_b32_e32 v69, v47
	v_mov_b32_e32 v67, v43
	;; [unrolled: 1-line block ×7, first 2 shown]
	v_add_co_ci_u32_e64 v10, null, v11, v10, vcc_lo
	v_and_b32_e32 v11, 0x60, v9
	v_mov_b32_e32 v63, 0
	v_mov_b32_e32 v55, 0
	;; [unrolled: 1-line block ×6, first 2 shown]
	s_mov_b32 s8, exec_lo
	v_cmpx_ne_u64_e32 0x60, v[11:12]
	s_cbranch_execz .LBB173_17
; %bb.14:
	v_lshrrev_b32_e32 v13, 5, v9
	v_lshlrev_b64 v[11:12], 2, v[42:43]
	v_mov_b32_e32 v52, 0
	v_mov_b32_e32 v67, v43
	;; [unrolled: 1-line block ×3, first 2 shown]
	v_add_nc_u32_e32 v13, 1, v13
	v_mov_b32_e32 v54, 0
	v_add_co_u32 v11, vcc_lo, s12, v11
	v_mov_b32_e32 v62, 0
	v_and_b32_e32 v13, 3, v13
	v_mov_b32_e32 v56, 0
	v_mov_b32_e32 v60, 0
	;; [unrolled: 1-line block ×4, first 2 shown]
	v_sub_co_u32 v13, s1, 0, v13
	v_mov_b32_e32 v69, v47
	v_mov_b32_e32 v53, 0
	v_mov_b32_e32 v66, v42
	v_mov_b32_e32 v59, 0
	v_mov_b32_e32 v55, 0
	v_add_co_ci_u32_e64 v12, null, s13, v12, vcc_lo
	v_sub_co_ci_u32_e64 v14, null, 0, 0, s1
	v_mov_b32_e32 v63, 0
	v_mov_b32_e32 v57, 0
	;; [unrolled: 1-line block ×6, first 2 shown]
	s_mov_b32 s9, 0
.LBB173_15:                             ; =>This Inner Loop Header: Depth=1
	global_load_dword v31, v[11:12], off
	s_clause 0x3
	global_load_dwordx4 v[15:18], v[68:69], off
	global_load_dwordx4 v[19:22], v[68:69], off offset:32
	global_load_dwordx4 v[23:26], v[68:69], off offset:64
	;; [unrolled: 1-line block ×3, first 2 shown]
	v_add_co_u32 v11, s1, 0x80, v11
	v_add_co_ci_u32_e64 v12, null, 0, v12, s1
	s_waitcnt vmcnt(4)
	v_subrev_nc_u32_e32 v31, s2, v31
	s_waitcnt vmcnt(2)
	v_cvt_f64_f32_e32 v[94:95], v19
	v_cvt_f64_f32_e32 v[19:20], v20
	s_waitcnt vmcnt(1)
	v_cvt_f64_f32_e32 v[96:97], v23
	v_lshlrev_b32_e32 v31, 2, v31
	v_cvt_f64_f32_e32 v[23:24], v24
	s_waitcnt vmcnt(0)
	v_cvt_f64_f32_e32 v[98:99], v27
	v_cvt_f64_f32_e32 v[27:28], v28
	;; [unrolled: 1-line block ×3, first 2 shown]
	v_ashrrev_i32_e32 v32, 31, v31
	v_cvt_f64_f32_e32 v[21:22], v22
	v_cvt_f64_f32_e32 v[102:103], v25
	;; [unrolled: 1-line block ×4, first 2 shown]
	v_lshlrev_b64 v[31:32], 4, v[31:32]
	v_cvt_f64_f32_e32 v[29:30], v30
	v_add_co_u32 v39, vcc_lo, s6, v31
	v_add_co_ci_u32_e64 v40, null, s7, v32, vcc_lo
	s_clause 0x1
	global_load_dwordx4 v[31:34], v[39:40], off
	global_load_dwordx4 v[35:38], v[39:40], off offset:16
	s_clause 0x3
	global_load_dwordx4 v[70:73], v[68:69], off offset:16
	global_load_dwordx4 v[74:77], v[68:69], off offset:48
	;; [unrolled: 1-line block ×4, first 2 shown]
	s_clause 0x1
	global_load_dwordx4 v[86:89], v[39:40], off offset:32
	global_load_dwordx4 v[90:93], v[39:40], off offset:48
	v_cvt_f64_f32_e32 v[39:40], v15
	v_cvt_f64_f32_e32 v[15:16], v16
	v_add_co_u32 v68, vcc_lo, 0x1000, v68
	v_add_co_ci_u32_e64 v69, null, 0, v69, vcc_lo
	v_add_co_u32 v13, vcc_lo, v13, 1
	v_add_co_ci_u32_e64 v14, null, 0, v14, vcc_lo
	;; [unrolled: 2-line block ×3, first 2 shown]
	v_cmp_eq_u64_e32 vcc_lo, 0, v[13:14]
	s_or_b32 s9, vcc_lo, s9
	s_waitcnt vmcnt(7)
	v_fma_f64 v[58:59], v[39:40], v[31:32], v[58:59]
	v_fma_f64 v[52:53], v[15:16], v[31:32], v[52:53]
	;; [unrolled: 1-line block ×8, first 2 shown]
	v_cvt_f64_f32_e32 v[50:51], v17
	v_cvt_f64_f32_e32 v[17:18], v18
	v_fma_f64 v[15:16], -v[15:16], v[33:34], v[58:59]
	v_fma_f64 v[39:40], v[39:40], v[33:34], v[52:53]
	v_fma_f64 v[19:20], -v[19:20], v[33:34], v[62:63]
	v_fma_f64 v[52:53], v[94:95], v[33:34], v[54:55]
	;; [unrolled: 2-line block ×4, first 2 shown]
	s_waitcnt vmcnt(4)
	v_cvt_f64_f32_e32 v[56:57], v75
	s_waitcnt vmcnt(3)
	v_cvt_f64_f32_e32 v[58:59], v78
	v_cvt_f64_f32_e32 v[60:61], v79
	s_waitcnt vmcnt(2)
	v_cvt_f64_f32_e32 v[62:63], v82
	v_fma_f64 v[15:16], v[50:51], v[35:36], v[15:16]
	v_fma_f64 v[33:34], v[17:18], v[35:36], v[39:40]
	;; [unrolled: 1-line block ×8, first 2 shown]
	v_cvt_f64_f32_e32 v[35:36], v70
	v_cvt_f64_f32_e32 v[52:53], v71
	;; [unrolled: 1-line block ×5, first 2 shown]
	v_fma_f64 v[15:16], -v[17:18], v[37:38], v[15:16]
	v_fma_f64 v[17:18], v[50:51], v[37:38], v[33:34]
	v_fma_f64 v[19:20], -v[21:22], v[37:38], v[19:20]
	v_fma_f64 v[21:22], v[100:101], v[37:38], v[39:40]
	;; [unrolled: 2-line block ×4, first 2 shown]
	v_cvt_f64_f32_e32 v[31:32], v72
	v_cvt_f64_f32_e32 v[33:34], v73
	;; [unrolled: 1-line block ×7, first 2 shown]
	s_waitcnt vmcnt(1)
	v_fma_f64 v[15:16], v[35:36], v[86:87], v[15:16]
	v_fma_f64 v[17:18], v[52:53], v[86:87], v[17:18]
	;; [unrolled: 1-line block ×8, first 2 shown]
	v_fma_f64 v[15:16], -v[52:53], v[88:89], v[15:16]
	v_fma_f64 v[17:18], v[35:36], v[88:89], v[17:18]
	v_fma_f64 v[19:20], -v[56:57], v[88:89], v[19:20]
	v_fma_f64 v[21:22], v[54:55], v[88:89], v[21:22]
	;; [unrolled: 2-line block ×4, first 2 shown]
	s_waitcnt vmcnt(0)
	v_fma_f64 v[15:16], v[31:32], v[90:91], v[15:16]
	v_fma_f64 v[17:18], v[33:34], v[90:91], v[17:18]
	;; [unrolled: 1-line block ×8, first 2 shown]
	v_fma_f64 v[58:59], -v[33:34], v[92:93], v[15:16]
	v_fma_f64 v[52:53], v[31:32], v[92:93], v[17:18]
	v_fma_f64 v[62:63], -v[39:40], v[92:93], v[19:20]
	v_fma_f64 v[54:55], v[37:38], v[92:93], v[21:22]
	;; [unrolled: 2-line block ×4, first 2 shown]
	s_andn2_b32 exec_lo, exec_lo, s9
	s_cbranch_execnz .LBB173_15
; %bb.16:
	s_or_b32 exec_lo, exec_lo, s9
.LBB173_17:
	s_or_b32 exec_lo, exec_lo, s8
	s_mov_b32 s8, exec_lo
	v_cmpx_lt_u64_e32 0x5f, v[9:10]
	s_cbranch_execz .LBB173_21
; %bb.18:
	v_lshlrev_b64 v[9:10], 2, v[66:67]
	s_mov_b32 s9, 0
	v_add_co_u32 v9, vcc_lo, s12, v9
	v_add_co_ci_u32_e64 v10, null, s13, v10, vcc_lo
	v_add_co_u32 v70, vcc_lo, 0x100, v9
	v_add_co_ci_u32_e64 v71, null, 0, v10, vcc_lo
.LBB173_19:                             ; =>This Inner Loop Header: Depth=1
	s_clause 0x1
	global_load_dword v9, v[70:71], off offset:-256
	global_load_dword v13, v[70:71], off offset:-128
	s_clause 0x3
	global_load_dwordx4 v[72:75], v[68:69], off
	global_load_dwordx4 v[76:79], v[68:69], off offset:32
	global_load_dwordx4 v[80:83], v[68:69], off offset:64
	;; [unrolled: 1-line block ×3, first 2 shown]
	s_clause 0x1
	global_load_dword v200, v[70:71], off
	global_load_dword v206, v[70:71], off offset:128
	s_waitcnt vmcnt(7)
	v_subrev_nc_u32_e32 v9, s2, v9
	s_waitcnt vmcnt(5)
	v_cvt_f64_f32_e32 v[180:181], v72
	v_cvt_f64_f32_e32 v[182:183], v73
	v_cvt_f64_f32_e32 v[184:185], v74
	v_lshlrev_b32_e32 v9, 2, v9
	v_cvt_f64_f32_e32 v[186:187], v75
	s_waitcnt vmcnt(4)
	v_cvt_f64_f32_e32 v[188:189], v76
	v_cvt_f64_f32_e32 v[190:191], v77
	s_waitcnt vmcnt(3)
	v_cvt_f64_f32_e32 v[196:197], v80
	v_ashrrev_i32_e32 v10, 31, v9
	v_cvt_f64_f32_e32 v[80:81], v81
	s_waitcnt vmcnt(1)
	v_subrev_nc_u32_e32 v76, s2, v200
	v_cvt_f64_f32_e32 v[200:201], v84
	v_cvt_f64_f32_e32 v[84:85], v85
	v_lshlrev_b64 v[9:10], 4, v[9:10]
	v_cvt_f64_f32_e32 v[192:193], v78
	v_cvt_f64_f32_e32 v[194:195], v79
	v_lshlrev_b32_e32 v204, 2, v76
	v_cvt_f64_f32_e32 v[198:199], v82
	v_cvt_f64_f32_e32 v[82:83], v83
	v_add_co_u32 v9, vcc_lo, s6, v9
	v_add_co_ci_u32_e64 v10, null, s7, v10, vcc_lo
	v_add_co_u32 v11, vcc_lo, 0x1000, v68
	v_add_co_ci_u32_e64 v12, null, 0, v69, vcc_lo
	s_clause 0x1
	global_load_dwordx4 v[88:91], v[9:10], off
	global_load_dwordx4 v[92:95], v[9:10], off offset:16
	s_clause 0x3
	global_load_dwordx4 v[96:99], v[68:69], off offset:16
	global_load_dwordx4 v[100:103], v[68:69], off offset:48
	;; [unrolled: 1-line block ×5, first 2 shown]
	global_load_dwordx4 v[116:119], v[11:12], off
	global_load_dwordx4 v[120:123], v[9:10], off offset:48
	s_clause 0x2
	global_load_dwordx4 v[124:127], v[11:12], off offset:32
	global_load_dwordx4 v[128:131], v[11:12], off offset:64
	;; [unrolled: 1-line block ×3, first 2 shown]
	v_subrev_nc_u32_e32 v9, s2, v13
	v_ashrrev_i32_e32 v205, 31, v204
	v_cvt_f64_f32_e32 v[202:203], v86
	v_cvt_f64_f32_e32 v[86:87], v87
	v_lshlrev_b32_e32 v9, 2, v9
	v_ashrrev_i32_e32 v10, 31, v9
	v_lshlrev_b64 v[9:10], 4, v[9:10]
	v_add_co_u32 v176, vcc_lo, s6, v9
	v_add_co_ci_u32_e64 v177, null, s7, v10, vcc_lo
	v_add_co_u32 v9, vcc_lo, 0x2000, v68
	v_add_co_ci_u32_e64 v10, null, 0, v69, vcc_lo
	s_clause 0x1
	global_load_dwordx4 v[136:139], v[176:177], off
	global_load_dwordx4 v[140:143], v[176:177], off offset:16
	v_add_co_u32 v178, vcc_lo, 0x3000, v68
	v_add_co_ci_u32_e64 v179, null, 0, v69, vcc_lo
	s_clause 0xf
	global_load_dwordx4 v[144:147], v[11:12], off offset:16
	global_load_dwordx4 v[148:151], v[11:12], off offset:48
	;; [unrolled: 1-line block ×6, first 2 shown]
	global_load_dwordx4 v[164:167], v[9:10], off
	global_load_dwordx4 v[37:40], v[9:10], off offset:16
	global_load_dwordx4 v[29:32], v[9:10], off offset:112
	;; [unrolled: 1-line block ×5, first 2 shown]
	global_load_dwordx4 v[13:16], v[178:179], off
	global_load_dwordx4 v[9:12], v[178:179], off offset:48
	global_load_dwordx4 v[17:20], v[178:179], off offset:32
	;; [unrolled: 1-line block ×3, first 2 shown]
	s_clause 0x1
	global_load_dwordx4 v[72:75], v[176:177], off offset:32
	global_load_dwordx4 v[76:79], v[176:177], off offset:48
	v_add_co_u32 v68, s1, 0x4000, v68
	v_add_co_ci_u32_e64 v69, null, 0, v69, s1
	s_waitcnt vmcnt(31)
	v_fma_f64 v[58:59], v[180:181], v[88:89], v[58:59]
	v_fma_f64 v[52:53], v[182:183], v[88:89], v[52:53]
	;; [unrolled: 1-line block ×8, first 2 shown]
	v_lshlrev_b64 v[88:89], 4, v[204:205]
	v_add_co_u32 v88, vcc_lo, s6, v88
	v_add_co_ci_u32_e64 v89, null, s7, v89, vcc_lo
	v_fma_f64 v[58:59], -v[182:183], v[90:91], v[58:59]
	v_fma_f64 v[52:53], v[180:181], v[90:91], v[52:53]
	v_fma_f64 v[62:63], -v[190:191], v[90:91], v[62:63]
	v_fma_f64 v[54:55], v[188:189], v[90:91], v[54:55]
	;; [unrolled: 2-line block ×4, first 2 shown]
	global_load_dwordx4 v[48:51], v[88:89], off
	s_waitcnt vmcnt(29)
	v_cvt_f64_f32_e32 v[188:189], v100
	v_cvt_f64_f32_e32 v[100:101], v101
	s_waitcnt vmcnt(27)
	v_cvt_f64_f32_e32 v[190:191], v108
	v_cvt_f64_f32_e32 v[108:109], v109
	s_waitcnt vmcnt(25)
	v_cvt_f64_f32_e32 v[196:197], v118
	v_fma_f64 v[90:91], v[184:185], v[92:93], v[58:59]
	v_fma_f64 v[176:177], v[186:187], v[92:93], v[52:53]
	;; [unrolled: 1-line block ×8, first 2 shown]
	v_cvt_f64_f32_e32 v[92:93], v96
	v_cvt_f64_f32_e32 v[96:97], v97
	s_clause 0x1
	global_load_dwordx4 v[52:55], v[178:179], off offset:96
	global_load_dwordx4 v[56:59], v[178:179], off offset:64
	v_fma_f64 v[90:91], -v[186:187], v[94:95], v[90:91]
	v_fma_f64 v[176:177], v[184:185], v[94:95], v[176:177]
	v_cvt_f64_f32_e32 v[184:185], v104
	v_fma_f64 v[186:187], -v[194:195], v[94:95], v[62:63]
	v_cvt_f64_f32_e32 v[104:105], v105
	v_fma_f64 v[180:181], v[192:193], v[94:95], v[180:181]
	v_fma_f64 v[82:83], -v[82:83], v[94:95], v[60:61]
	v_fma_f64 v[182:183], v[198:199], v[94:95], v[182:183]
	v_fma_f64 v[80:81], -v[86:87], v[94:95], v[80:81]
	v_fma_f64 v[84:85], v[202:203], v[94:95], v[84:85]
	global_load_dwordx4 v[60:63], v[88:89], off offset:16
	v_cvt_f64_f32_e32 v[86:87], v98
	v_cvt_f64_f32_e32 v[94:95], v99
	;; [unrolled: 1-line block ×6, first 2 shown]
	v_subrev_nc_u32_e32 v198, s2, v206
	v_fma_f64 v[90:91], v[92:93], v[112:113], v[90:91]
	v_fma_f64 v[98:99], v[96:97], v[112:113], v[176:177]
	;; [unrolled: 1-line block ×3, first 2 shown]
	v_cvt_f64_f32_e32 v[186:187], v106
	v_fma_f64 v[180:181], v[100:101], v[112:113], v[180:181]
	v_fma_f64 v[82:83], v[184:185], v[112:113], v[82:83]
	;; [unrolled: 1-line block ×5, first 2 shown]
	v_cvt_f64_f32_e32 v[112:113], v102
	v_cvt_f64_f32_e32 v[102:103], v103
	;; [unrolled: 1-line block ×3, first 2 shown]
	v_fma_f64 v[90:91], -v[96:97], v[114:115], v[90:91]
	v_fma_f64 v[92:93], v[92:93], v[114:115], v[98:99]
	v_fma_f64 v[96:97], -v[100:101], v[114:115], v[176:177]
	s_waitcnt vmcnt(25)
	v_cvt_f64_f32_e32 v[176:177], v128
	v_fma_f64 v[98:99], v[188:189], v[114:115], v[180:181]
	v_fma_f64 v[100:101], -v[104:105], v[114:115], v[82:83]
	v_fma_f64 v[104:105], v[184:185], v[114:115], v[182:183]
	v_fma_f64 v[108:109], -v[108:109], v[114:115], v[80:81]
	v_fma_f64 v[84:85], v[190:191], v[114:115], v[84:85]
	global_load_dwordx4 v[80:83], v[88:89], off offset:32
	v_cvt_f64_f32_e32 v[114:115], v119
	v_cvt_f64_f32_e32 v[118:119], v124
	;; [unrolled: 1-line block ×3, first 2 shown]
	s_waitcnt vmcnt(25)
	v_cvt_f64_f32_e32 v[182:183], v132
	v_cvt_f64_f32_e32 v[132:133], v133
	;; [unrolled: 1-line block ×5, first 2 shown]
	v_fma_f64 v[90:91], v[86:87], v[120:121], v[90:91]
	v_fma_f64 v[92:93], v[94:95], v[120:121], v[92:93]
	;; [unrolled: 1-line block ×8, first 2 shown]
	v_cvt_f64_f32_e32 v[120:121], v125
	v_cvt_f64_f32_e32 v[124:125], v126
	v_cvt_f64_f32_e32 v[126:127], v127
	v_fma_f64 v[90:91], -v[94:95], v[122:123], v[90:91]
	v_fma_f64 v[92:93], v[86:87], v[122:123], v[92:93]
	v_fma_f64 v[94:95], -v[102:103], v[122:123], v[96:97]
	v_fma_f64 v[96:97], v[112:113], v[122:123], v[98:99]
	;; [unrolled: 2-line block ×4, first 2 shown]
	global_load_dwordx4 v[84:87], v[88:89], off offset:48
	v_lshlrev_b32_e32 v108, 2, v198
	v_cvt_f64_f32_e32 v[106:107], v135
	s_waitcnt vmcnt(23)
	v_cvt_f64_f32_e32 v[112:113], v144
	s_waitcnt vmcnt(21)
	;; [unrolled: 2-line block ×3, first 2 shown]
	v_cvt_f64_f32_e32 v[134:135], v157
	v_ashrrev_i32_e32 v109, 31, v108
	v_fma_f64 v[88:89], v[194:195], v[136:137], v[90:91]
	v_fma_f64 v[90:91], v[116:117], v[136:137], v[92:93]
	;; [unrolled: 1-line block ×8, first 2 shown]
	v_lshlrev_b64 v[104:105], 4, v[108:109]
	v_cvt_f64_f32_e32 v[136:137], v146
	v_add_co_u32 v104, vcc_lo, s6, v104
	v_add_co_ci_u32_e64 v105, null, s7, v105, vcc_lo
	v_add_co_u32 v66, vcc_lo, 0x80, v66
	v_fma_f64 v[108:109], -v[116:117], v[138:139], v[88:89]
	v_fma_f64 v[110:111], v[194:195], v[138:139], v[90:91]
	global_load_dwordx4 v[88:91], v[104:105], off
	v_fma_f64 v[92:93], -v[120:121], v[138:139], v[92:93]
	v_cvt_f64_f32_e32 v[116:117], v145
	v_fma_f64 v[94:95], v[118:119], v[138:139], v[94:95]
	v_fma_f64 v[96:97], -v[128:129], v[138:139], v[96:97]
	v_fma_f64 v[98:99], v[176:177], v[138:139], v[98:99]
	v_fma_f64 v[100:101], -v[132:133], v[138:139], v[100:101]
	v_fma_f64 v[102:103], v[182:183], v[138:139], v[102:103]
	v_cvt_f64_f32_e32 v[118:119], v148
	v_cvt_f64_f32_e32 v[120:121], v149
	v_cvt_f64_f32_e32 v[128:129], v153
	v_cvt_f64_f32_e32 v[132:133], v156
	v_cvt_f64_f32_e32 v[138:139], v147
	v_cvt_f64_f32_e32 v[144:145], v154
	v_cvt_f64_f32_e32 v[146:147], v155
	v_cvt_f64_f32_e32 v[148:149], v158
	v_add_co_ci_u32_e64 v67, null, 0, v67, vcc_lo
	v_add_co_u32 v70, vcc_lo, 0x200, v70
	v_fma_f64 v[108:109], v[196:197], v[140:141], v[108:109]
	v_fma_f64 v[110:111], v[114:115], v[140:141], v[110:111]
	v_add_co_ci_u32_e64 v71, null, 0, v71, vcc_lo
	v_fma_f64 v[92:93], v[124:125], v[140:141], v[92:93]
	v_fma_f64 v[94:95], v[126:127], v[140:141], v[94:95]
	;; [unrolled: 1-line block ×6, first 2 shown]
	v_cvt_f64_f32_e32 v[140:141], v150
	v_cmp_ge_i64_e32 vcc_lo, v[66:67], v[44:45]
	s_or_b32 s9, vcc_lo, s9
	v_fma_f64 v[108:109], -v[114:115], v[142:143], v[108:109]
	v_fma_f64 v[110:111], v[196:197], v[142:143], v[110:111]
	v_fma_f64 v[114:115], -v[126:127], v[142:143], v[92:93]
	v_fma_f64 v[124:125], v[124:125], v[142:143], v[94:95]
	;; [unrolled: 2-line block ×4, first 2 shown]
	global_load_dwordx4 v[92:95], v[104:105], off offset:16
	global_load_dwordx4 v[96:99], v[178:179], off offset:16
	v_cvt_f64_f32_e32 v[142:143], v151
	v_cvt_f64_f32_e32 v[150:151], v159
	s_waitcnt vmcnt(10)
	v_fma_f64 v[106:107], v[112:113], v[72:73], v[108:109]
	v_fma_f64 v[108:109], v[116:117], v[72:73], v[110:111]
	v_fma_f64 v[110:111], v[118:119], v[72:73], v[114:115]
	v_fma_f64 v[114:115], v[120:121], v[72:73], v[124:125]
	v_fma_f64 v[124:125], v[122:123], v[72:73], v[126:127]
	v_fma_f64 v[126:127], v[128:129], v[72:73], v[130:131]
	v_fma_f64 v[130:131], v[132:133], v[72:73], v[100:101]
	v_fma_f64 v[72:73], v[134:135], v[72:73], v[102:103]
	global_load_dwordx4 v[100:103], v[178:179], off offset:80
	v_fma_f64 v[106:107], -v[116:117], v[74:75], v[106:107]
	v_fma_f64 v[108:109], v[112:113], v[74:75], v[108:109]
	v_fma_f64 v[110:111], -v[120:121], v[74:75], v[110:111]
	v_fma_f64 v[112:113], v[118:119], v[74:75], v[114:115]
	v_fma_f64 v[114:115], -v[128:129], v[74:75], v[124:125]
	v_fma_f64 v[116:117], v[122:123], v[74:75], v[126:127]
	v_fma_f64 v[118:119], -v[134:135], v[74:75], v[130:131]
	v_fma_f64 v[120:121], v[132:133], v[74:75], v[72:73]
	global_load_dwordx4 v[72:75], v[104:105], off offset:32
	v_cvt_f64_f32_e32 v[122:123], v165
	v_cvt_f64_f32_e32 v[124:125], v160
	;; [unrolled: 1-line block ×7, first 2 shown]
	s_waitcnt vmcnt(11)
	v_fma_f64 v[106:107], v[136:137], v[76:77], v[106:107]
	v_fma_f64 v[108:109], v[138:139], v[76:77], v[108:109]
	;; [unrolled: 1-line block ×8, first 2 shown]
	v_cvt_f64_f32_e32 v[120:121], v164
	v_fma_f64 v[106:107], -v[138:139], v[78:79], v[106:107]
	v_fma_f64 v[108:109], v[136:137], v[78:79], v[108:109]
	v_cvt_f64_f32_e32 v[138:139], v162
	v_fma_f64 v[110:111], -v[142:143], v[78:79], v[110:111]
	v_fma_f64 v[112:113], v[140:141], v[78:79], v[112:113]
	v_fma_f64 v[114:115], -v[146:147], v[78:79], v[114:115]
	v_fma_f64 v[116:117], v[144:145], v[78:79], v[116:117]
	;; [unrolled: 2-line block ×3, first 2 shown]
	global_load_dwordx4 v[76:79], v[104:105], off offset:48
	v_cvt_f64_f32_e32 v[140:141], v163
	v_cvt_f64_f32_e32 v[142:143], v174
	;; [unrolled: 1-line block ×5, first 2 shown]
	s_waitcnt vmcnt(11)
	v_fma_f64 v[104:105], v[120:121], v[48:49], v[106:107]
	v_fma_f64 v[106:107], v[122:123], v[48:49], v[108:109]
	v_fma_f64 v[108:109], v[124:125], v[48:49], v[110:111]
	v_fma_f64 v[110:111], v[126:127], v[48:49], v[112:113]
	v_fma_f64 v[112:113], v[128:129], v[48:49], v[114:115]
	v_fma_f64 v[114:115], v[130:131], v[48:49], v[116:117]
	v_fma_f64 v[116:117], v[132:133], v[48:49], v[118:119]
	v_fma_f64 v[48:49], v[134:135], v[48:49], v[136:137]
	v_cvt_f64_f32_e32 v[118:119], v166
	v_cvt_f64_f32_e32 v[136:137], v167
	v_fma_f64 v[104:105], -v[122:123], v[50:51], v[104:105]
	v_fma_f64 v[106:107], v[120:121], v[50:51], v[106:107]
	v_cvt_f64_f32_e32 v[120:121], v33
	v_cvt_f64_f32_e32 v[33:34], v34
	v_fma_f64 v[108:109], -v[126:127], v[50:51], v[108:109]
	v_fma_f64 v[110:111], v[124:125], v[50:51], v[110:111]
	v_fma_f64 v[112:113], -v[130:131], v[50:51], v[112:113]
	v_fma_f64 v[114:115], v[128:129], v[50:51], v[114:115]
	;; [unrolled: 2-line block ×3, first 2 shown]
	v_cvt_f64_f32_e32 v[122:123], v29
	v_cvt_f64_f32_e32 v[29:30], v30
	;; [unrolled: 1-line block ×4, first 2 shown]
	s_waitcnt vmcnt(8)
	v_fma_f64 v[50:51], v[118:119], v[60:61], v[104:105]
	v_fma_f64 v[104:105], v[136:137], v[60:61], v[106:107]
	;; [unrolled: 1-line block ×8, first 2 shown]
	v_cvt_f64_f32_e32 v[60:61], v37
	v_cvt_f64_f32_e32 v[37:38], v38
	;; [unrolled: 1-line block ×4, first 2 shown]
	v_fma_f64 v[50:51], -v[136:137], v[62:63], v[50:51]
	v_fma_f64 v[104:105], v[118:119], v[62:63], v[104:105]
	v_cvt_f64_f32_e32 v[118:119], v35
	v_cvt_f64_f32_e32 v[35:36], v36
	v_fma_f64 v[106:107], -v[140:141], v[62:63], v[106:107]
	v_fma_f64 v[108:109], v[138:139], v[62:63], v[108:109]
	v_fma_f64 v[110:111], -v[144:145], v[62:63], v[110:111]
	v_fma_f64 v[112:113], v[142:143], v[62:63], v[112:113]
	;; [unrolled: 2-line block ×3, first 2 shown]
	s_waitcnt vmcnt(7)
	v_fma_f64 v[50:51], v[60:61], v[80:81], v[50:51]
	v_fma_f64 v[62:63], v[37:38], v[80:81], v[104:105]
	;; [unrolled: 1-line block ×8, first 2 shown]
	v_cvt_f64_f32_e32 v[80:81], v39
	v_cvt_f64_f32_e32 v[39:40], v40
	;; [unrolled: 1-line block ×4, first 2 shown]
	v_fma_f64 v[37:38], -v[37:38], v[82:83], v[50:51]
	v_fma_f64 v[50:51], v[60:61], v[82:83], v[62:63]
	v_fma_f64 v[25:26], -v[25:26], v[82:83], v[104:105]
	v_fma_f64 v[60:61], v[116:117], v[82:83], v[106:107]
	;; [unrolled: 2-line block ×4, first 2 shown]
	v_cvt_f64_f32_e32 v[82:83], v13
	v_cvt_f64_f32_e32 v[13:14], v14
	;; [unrolled: 1-line block ×6, first 2 shown]
	s_waitcnt vmcnt(6)
	v_fma_f64 v[37:38], v[80:81], v[84:85], v[37:38]
	v_fma_f64 v[50:51], v[39:40], v[84:85], v[50:51]
	;; [unrolled: 1-line block ×8, first 2 shown]
	v_cvt_f64_f32_e32 v[84:85], v17
	v_cvt_f64_f32_e32 v[17:18], v18
	v_fma_f64 v[37:38], -v[39:40], v[86:87], v[37:38]
	v_fma_f64 v[39:40], v[80:81], v[86:87], v[50:51]
	v_cvt_f64_f32_e32 v[50:51], v19
	v_cvt_f64_f32_e32 v[19:20], v20
	v_fma_f64 v[25:26], -v[27:28], v[86:87], v[25:26]
	v_fma_f64 v[27:28], v[114:115], v[86:87], v[60:61]
	v_fma_f64 v[33:34], -v[35:36], v[86:87], v[33:34]
	v_fma_f64 v[35:36], v[118:119], v[86:87], v[62:63]
	;; [unrolled: 2-line block ×3, first 2 shown]
	v_cvt_f64_f32_e32 v[48:49], v15
	v_cvt_f64_f32_e32 v[15:16], v16
	;; [unrolled: 1-line block ×6, first 2 shown]
	s_waitcnt vmcnt(5)
	v_fma_f64 v[37:38], v[82:83], v[88:89], v[37:38]
	v_fma_f64 v[39:40], v[13:14], v[88:89], v[39:40]
	;; [unrolled: 1-line block ×8, first 2 shown]
	v_fma_f64 v[13:14], -v[13:14], v[90:91], v[37:38]
	v_fma_f64 v[37:38], v[82:83], v[90:91], v[39:40]
	v_cvt_f64_f32_e32 v[82:83], v21
	v_cvt_f64_f32_e32 v[21:22], v22
	v_fma_f64 v[17:18], -v[17:18], v[90:91], v[25:26]
	v_fma_f64 v[25:26], v[84:85], v[90:91], v[27:28]
	v_fma_f64 v[27:28], -v[56:57], v[90:91], v[33:34]
	v_fma_f64 v[33:34], v[104:105], v[90:91], v[35:36]
	v_fma_f64 v[29:30], -v[52:53], v[90:91], v[29:30]
	v_fma_f64 v[31:32], v[106:107], v[90:91], v[31:32]
	v_cvt_f64_f32_e32 v[52:53], v9
	v_cvt_f64_f32_e32 v[9:10], v10
	s_waitcnt vmcnt(3)
	v_cvt_f64_f32_e32 v[39:40], v97
	v_fma_f64 v[13:14], v[48:49], v[92:93], v[13:14]
	v_fma_f64 v[35:36], v[15:16], v[92:93], v[37:38]
	v_cvt_f64_f32_e32 v[37:38], v96
	v_fma_f64 v[17:18], v[50:51], v[92:93], v[17:18]
	v_fma_f64 v[25:26], v[19:20], v[92:93], v[25:26]
	;; [unrolled: 1-line block ×6, first 2 shown]
	s_waitcnt vmcnt(2)
	v_cvt_f64_f32_e32 v[56:57], v100
	v_cvt_f64_f32_e32 v[80:81], v101
	v_fma_f64 v[13:14], -v[15:16], v[94:95], v[13:14]
	v_fma_f64 v[15:16], v[48:49], v[94:95], v[35:36]
	v_fma_f64 v[17:18], -v[19:20], v[94:95], v[17:18]
	v_fma_f64 v[19:20], v[50:51], v[94:95], v[25:26]
	;; [unrolled: 2-line block ×4, first 2 shown]
	v_cvt_f64_f32_e32 v[33:34], v98
	v_cvt_f64_f32_e32 v[35:36], v99
	;; [unrolled: 1-line block ×6, first 2 shown]
	s_waitcnt vmcnt(1)
	v_fma_f64 v[13:14], v[37:38], v[72:73], v[13:14]
	v_fma_f64 v[15:16], v[39:40], v[72:73], v[15:16]
	;; [unrolled: 1-line block ×8, first 2 shown]
	v_cvt_f64_f32_e32 v[72:73], v23
	v_cvt_f64_f32_e32 v[23:24], v24
	v_fma_f64 v[13:14], -v[39:40], v[74:75], v[13:14]
	v_fma_f64 v[15:16], v[37:38], v[74:75], v[15:16]
	v_fma_f64 v[9:10], -v[9:10], v[74:75], v[17:18]
	v_fma_f64 v[17:18], v[52:53], v[74:75], v[19:20]
	;; [unrolled: 2-line block ×4, first 2 shown]
	s_waitcnt vmcnt(0)
	v_fma_f64 v[13:14], v[33:34], v[76:77], v[13:14]
	v_fma_f64 v[15:16], v[35:36], v[76:77], v[15:16]
	;; [unrolled: 1-line block ×8, first 2 shown]
	v_fma_f64 v[58:59], -v[35:36], v[78:79], v[13:14]
	v_fma_f64 v[52:53], v[33:34], v[78:79], v[15:16]
	v_fma_f64 v[62:63], -v[11:12], v[78:79], v[9:10]
	v_fma_f64 v[54:55], v[48:49], v[78:79], v[17:18]
	;; [unrolled: 2-line block ×4, first 2 shown]
	s_andn2_b32 exec_lo, exec_lo, s9
	s_cbranch_execnz .LBB173_19
; %bb.20:
	s_or_b32 exec_lo, exec_lo, s9
.LBB173_21:
	s_or_b32 exec_lo, exec_lo, s8
.LBB173_22:
	s_or_b32 exec_lo, exec_lo, s3
	s_cbranch_execz .LBB173_24
	s_branch .LBB173_35
.LBB173_23:
                                        ; implicit-def: $vgpr52_vgpr53
                                        ; implicit-def: $vgpr58_vgpr59
                                        ; implicit-def: $vgpr54_vgpr55
                                        ; implicit-def: $vgpr62_vgpr63
                                        ; implicit-def: $vgpr56_vgpr57
                                        ; implicit-def: $vgpr60_vgpr61
                                        ; implicit-def: $vgpr50_vgpr51
                                        ; implicit-def: $vgpr48_vgpr49
.LBB173_24:
	v_mov_b32_e32 v52, 0
	v_mov_b32_e32 v58, 0
	;; [unrolled: 1-line block ×16, first 2 shown]
	s_and_saveexec_b32 s1, s0
	s_cbranch_execz .LBB173_34
; %bb.25:
	v_or_b32_e32 v9, 32, v0
	v_not_b32_e32 v13, v64
	v_not_b32_e32 v11, v65
	v_mov_b32_e32 v48, 0
	v_mov_b32_e32 v50, 0
	v_sub_co_u32 v9, s0, v9, s2
	v_sub_co_ci_u32_e64 v10, null, 0, 0, s0
	v_sub_co_u32 v14, s0, s2, v0
	v_add_co_u32 v9, vcc_lo, v9, v64
	v_add_co_ci_u32_e64 v10, null, v10, v65, vcc_lo
	v_sub_co_ci_u32_e64 v15, null, 0, 0, s0
	v_add_co_u32 v13, s0, v14, v13
	v_cmp_gt_i64_e32 vcc_lo, v[9:10], v[44:45]
	v_add_co_ci_u32_e64 v11, null, v15, v11, s0
	v_mov_b32_e32 v60, 0
	v_mov_b32_e32 v56, 0
	v_mov_b32_e32 v62, 0
	v_cndmask_b32_e32 v9, v44, v9, vcc_lo
	v_cndmask_b32_e32 v10, v45, v10, vcc_lo
	v_mov_b32_e32 v54, 0
	v_mov_b32_e32 v58, 0
	;; [unrolled: 1-line block ×3, first 2 shown]
	v_add_co_u32 v9, vcc_lo, v13, v9
	v_mov_b32_e32 v12, 0
	v_mov_b32_e32 v49, 0
	v_mov_b32_e32 v51, 0
	v_mov_b32_e32 v61, 0
	v_add_co_ci_u32_e64 v10, null, v11, v10, vcc_lo
	v_and_b32_e32 v11, 0x60, v9
	v_mov_b32_e32 v57, 0
	v_mov_b32_e32 v63, 0
	;; [unrolled: 1-line block ×5, first 2 shown]
	s_mov_b32 s3, exec_lo
	v_cmpx_ne_u64_e32 0x60, v[11:12]
	s_cbranch_execz .LBB173_29
; %bb.26:
	v_lshrrev_b32_e32 v13, 5, v9
	v_lshlrev_b64 v[11:12], 2, v[42:43]
	v_mov_b32_e32 v52, 0
	v_mov_b32_e32 v58, 0
	v_mov_b32_e32 v54, 0
	v_add_nc_u32_e32 v13, 1, v13
	v_mov_b32_e32 v62, 0
	v_add_co_u32 v11, vcc_lo, s12, v11
	v_mov_b32_e32 v56, 0
	v_and_b32_e32 v13, 3, v13
	v_mov_b32_e32 v60, 0
	v_mov_b32_e32 v50, 0
	v_mov_b32_e32 v48, 0
	v_mov_b32_e32 v53, 0
	v_sub_co_u32 v13, s0, 0, v13
	v_mov_b32_e32 v59, 0
	v_mov_b32_e32 v55, 0
	v_add_co_ci_u32_e64 v12, null, s13, v12, vcc_lo
	v_mov_b32_e32 v63, 0
	v_mov_b32_e32 v57, 0
	;; [unrolled: 1-line block ×5, first 2 shown]
	v_sub_co_ci_u32_e64 v14, null, 0, 0, s0
	s_mov_b32 s8, 0
.LBB173_27:                             ; =>This Inner Loop Header: Depth=1
	global_load_dword v23, v[11:12], off
	s_clause 0x1
	global_load_dwordx4 v[15:18], v[46:47], off offset:16
	global_load_dwordx4 v[19:22], v[46:47], off
	v_add_co_u32 v11, s0, 0x80, v11
	v_add_co_ci_u32_e64 v12, null, 0, v12, s0
	s_waitcnt vmcnt(2)
	v_subrev_nc_u32_e32 v23, s2, v23
	s_waitcnt vmcnt(1)
	v_cvt_f64_f32_e32 v[90:91], v15
	s_waitcnt vmcnt(0)
	v_cvt_f64_f32_e32 v[88:89], v21
	v_cvt_f64_f32_e32 v[21:22], v22
	;; [unrolled: 1-line block ×3, first 2 shown]
	v_lshlrev_b32_e32 v23, 2, v23
	v_cvt_f64_f32_e32 v[92:93], v17
	v_cvt_f64_f32_e32 v[17:18], v18
	v_ashrrev_i32_e32 v24, 31, v23
	v_lshlrev_b64 v[23:24], 4, v[23:24]
	v_add_co_u32 v39, vcc_lo, s6, v23
	v_add_co_ci_u32_e64 v40, null, s7, v24, vcc_lo
	s_clause 0x1
	global_load_dwordx4 v[23:26], v[39:40], off
	global_load_dwordx4 v[27:30], v[39:40], off offset:16
	s_clause 0x3
	global_load_dwordx4 v[31:34], v[46:47], off offset:32
	global_load_dwordx4 v[35:38], v[46:47], off offset:48
	;; [unrolled: 1-line block ×4, first 2 shown]
	s_clause 0x1
	global_load_dwordx4 v[72:75], v[39:40], off offset:32
	global_load_dwordx4 v[76:79], v[39:40], off offset:48
	s_clause 0x1
	global_load_dwordx4 v[80:83], v[46:47], off offset:96
	global_load_dwordx4 v[84:87], v[46:47], off offset:112
	v_cvt_f64_f32_e32 v[39:40], v19
	v_cvt_f64_f32_e32 v[19:20], v20
	v_add_co_u32 v46, vcc_lo, 0x1000, v46
	v_add_co_ci_u32_e64 v47, null, 0, v47, vcc_lo
	v_add_co_u32 v13, vcc_lo, v13, 1
	v_add_co_ci_u32_e64 v14, null, 0, v14, vcc_lo
	;; [unrolled: 2-line block ×3, first 2 shown]
	v_cmp_eq_u64_e32 vcc_lo, 0, v[13:14]
	s_or_b32 s8, vcc_lo, s8
	s_waitcnt vmcnt(9)
	v_fma_f64 v[58:59], v[39:40], v[23:24], v[58:59]
	v_fma_f64 v[52:53], v[19:20], v[23:24], v[52:53]
	;; [unrolled: 1-line block ×8, first 2 shown]
	s_waitcnt vmcnt(7)
	v_cvt_f64_f32_e32 v[50:51], v31
	v_cvt_f64_f32_e32 v[31:32], v32
	;; [unrolled: 1-line block ×4, first 2 shown]
	s_waitcnt vmcnt(6)
	v_cvt_f64_f32_e32 v[96:97], v35
	v_cvt_f64_f32_e32 v[35:36], v36
	;; [unrolled: 1-line block ×4, first 2 shown]
	v_fma_f64 v[19:20], -v[19:20], v[25:26], v[58:59]
	v_fma_f64 v[39:40], v[39:40], v[25:26], v[52:53]
	v_fma_f64 v[21:22], -v[21:22], v[25:26], v[62:63]
	v_fma_f64 v[52:53], v[88:89], v[25:26], v[54:55]
	;; [unrolled: 2-line block ×4, first 2 shown]
	s_waitcnt vmcnt(5)
	v_cvt_f64_f32_e32 v[56:57], v67
	s_waitcnt vmcnt(4)
	v_cvt_f64_f32_e32 v[58:59], v68
	v_cvt_f64_f32_e32 v[60:61], v69
	v_cvt_f64_f32_e32 v[62:63], v70
	s_waitcnt vmcnt(0)
	v_cvt_f64_f32_e32 v[68:69], v87
	v_fma_f64 v[19:20], v[50:51], v[27:28], v[19:20]
	v_fma_f64 v[25:26], v[31:32], v[27:28], v[39:40]
	;; [unrolled: 1-line block ×8, first 2 shown]
	v_cvt_f64_f32_e32 v[27:28], v64
	v_cvt_f64_f32_e32 v[52:53], v65
	;; [unrolled: 1-line block ×5, first 2 shown]
	v_fma_f64 v[19:20], -v[31:32], v[29:30], v[19:20]
	v_fma_f64 v[25:26], v[50:51], v[29:30], v[25:26]
	v_fma_f64 v[21:22], -v[33:34], v[29:30], v[21:22]
	v_fma_f64 v[31:32], v[94:95], v[29:30], v[39:40]
	v_fma_f64 v[15:16], -v[35:36], v[29:30], v[15:16]
	v_fma_f64 v[33:34], v[96:97], v[29:30], v[48:49]
	v_fma_f64 v[17:18], -v[37:38], v[29:30], v[17:18]
	v_fma_f64 v[23:24], v[98:99], v[29:30], v[23:24]
	v_cvt_f64_f32_e32 v[35:36], v81
	v_cvt_f64_f32_e32 v[37:38], v82
	v_cvt_f64_f32_e32 v[39:40], v83
	v_cvt_f64_f32_e32 v[48:49], v84
	v_cvt_f64_f32_e32 v[50:51], v85
	v_fma_f64 v[19:20], v[27:28], v[72:73], v[19:20]
	v_fma_f64 v[25:26], v[52:53], v[72:73], v[25:26]
	;; [unrolled: 1-line block ×8, first 2 shown]
	v_cvt_f64_f32_e32 v[33:34], v80
	v_fma_f64 v[19:20], -v[52:53], v[74:75], v[19:20]
	v_fma_f64 v[25:26], v[27:28], v[74:75], v[25:26]
	v_fma_f64 v[21:22], -v[56:57], v[74:75], v[21:22]
	v_fma_f64 v[27:28], v[54:55], v[74:75], v[29:30]
	;; [unrolled: 2-line block ×4, first 2 shown]
	v_fma_f64 v[19:20], v[33:34], v[76:77], v[19:20]
	v_fma_f64 v[25:26], v[35:36], v[76:77], v[25:26]
	;; [unrolled: 1-line block ×8, first 2 shown]
	v_fma_f64 v[58:59], -v[35:36], v[78:79], v[19:20]
	v_fma_f64 v[52:53], v[33:34], v[78:79], v[25:26]
	v_fma_f64 v[62:63], -v[39:40], v[78:79], v[21:22]
	v_fma_f64 v[54:55], v[37:38], v[78:79], v[27:28]
	;; [unrolled: 2-line block ×4, first 2 shown]
	s_andn2_b32 exec_lo, exec_lo, s8
	s_cbranch_execnz .LBB173_27
; %bb.28:
	s_or_b32 exec_lo, exec_lo, s8
.LBB173_29:
	s_or_b32 exec_lo, exec_lo, s3
	s_mov_b32 s3, exec_lo
	v_cmpx_lt_u64_e32 0x5f, v[9:10]
	s_cbranch_execz .LBB173_33
; %bb.30:
	v_lshlrev_b64 v[9:10], 2, v[42:43]
	s_mov_b32 s8, 0
	v_add_co_u32 v9, vcc_lo, s12, v9
	v_add_co_ci_u32_e64 v10, null, s13, v10, vcc_lo
	v_add_co_u32 v9, vcc_lo, 0x100, v9
	v_add_co_ci_u32_e64 v10, null, 0, v10, vcc_lo
.LBB173_31:                             ; =>This Inner Loop Header: Depth=1
	s_clause 0x1
	global_load_dword v39, v[9:10], off offset:-256
	global_load_dword v124, v[9:10], off offset:-128
	s_clause 0x6
	global_load_dwordx4 v[11:14], v[46:47], off
	global_load_dwordx4 v[15:18], v[46:47], off offset:16
	global_load_dwordx4 v[19:22], v[46:47], off offset:32
	;; [unrolled: 1-line block ×6, first 2 shown]
	s_clause 0x1
	global_load_dword v188, v[9:10], off
	global_load_dword v189, v[9:10], off offset:128
	s_waitcnt vmcnt(10)
	v_subrev_nc_u32_e32 v39, s2, v39
	s_waitcnt vmcnt(9)
	v_subrev_nc_u32_e32 v130, s2, v124
	s_waitcnt vmcnt(8)
	v_cvt_f64_f32_e32 v[124:125], v12
	v_cvt_f64_f32_e32 v[126:127], v13
	v_cvt_f64_f32_e32 v[128:129], v14
	v_lshlrev_b32_e32 v39, 2, v39
	s_waitcnt vmcnt(7)
	v_cvt_f64_f32_e32 v[132:133], v15
	v_cvt_f64_f32_e32 v[134:135], v16
	;; [unrolled: 1-line block ×4, first 2 shown]
	v_ashrrev_i32_e32 v40, 31, v39
	s_waitcnt vmcnt(5)
	v_cvt_f64_f32_e32 v[148:149], v23
	v_cvt_f64_f32_e32 v[150:151], v24
	;; [unrolled: 1-line block ×4, first 2 shown]
	v_lshlrev_b64 v[39:40], 4, v[39:40]
	v_cvt_f64_f32_e32 v[140:141], v19
	v_cvt_f64_f32_e32 v[142:143], v20
	s_waitcnt vmcnt(4)
	v_cvt_f64_f32_e32 v[156:157], v27
	v_cvt_f64_f32_e32 v[158:159], v28
	s_waitcnt vmcnt(2)
	v_cvt_f64_f32_e32 v[172:173], v35
	v_add_co_u32 v39, vcc_lo, s6, v39
	v_add_co_ci_u32_e64 v40, null, s7, v40, vcc_lo
	v_add_co_u32 v112, vcc_lo, 0x1000, v46
	v_add_co_ci_u32_e64 v113, null, 0, v47, vcc_lo
	global_load_dwordx4 v[64:67], v[39:40], off
	global_load_dwordx4 v[68:71], v[46:47], off offset:112
	global_load_dwordx4 v[72:75], v[39:40], off offset:16
	v_add_co_u32 v120, vcc_lo, 0x2000, v46
	v_add_co_ci_u32_e64 v121, null, 0, v47, vcc_lo
	global_load_dwordx4 v[76:79], v[39:40], off offset:32
	s_clause 0x4
	global_load_dwordx4 v[80:83], v[112:113], off
	global_load_dwordx4 v[84:87], v[112:113], off offset:16
	global_load_dwordx4 v[88:91], v[112:113], off offset:32
	;; [unrolled: 1-line block ×5, first 2 shown]
	s_clause 0x3
	global_load_dwordx4 v[104:107], v[112:113], off offset:80
	global_load_dwordx4 v[108:111], v[112:113], off offset:96
	;; [unrolled: 1-line block ×3, first 2 shown]
	global_load_dwordx4 v[116:119], v[120:121], off
	v_cvt_f64_f32_e32 v[39:40], v11
	v_lshlrev_b32_e32 v11, 2, v130
	v_add_co_u32 v122, vcc_lo, 0x3000, v46
	v_add_co_ci_u32_e64 v123, null, 0, v47, vcc_lo
	v_ashrrev_i32_e32 v12, 31, v11
	v_cvt_f64_f32_e32 v[174:175], v36
	v_cvt_f64_f32_e32 v[144:145], v21
	v_cvt_f64_f32_e32 v[146:147], v22
	v_cvt_f64_f32_e32 v[160:161], v29
	v_lshlrev_b64 v[11:12], 4, v[11:12]
	v_cvt_f64_f32_e32 v[162:163], v30
	v_cvt_f64_f32_e32 v[164:165], v31
	;; [unrolled: 1-line block ×5, first 2 shown]
	v_add_co_u32 v130, vcc_lo, s6, v11
	v_add_co_ci_u32_e64 v131, null, s7, v12, vcc_lo
	v_cvt_f64_f32_e32 v[176:177], v37
	s_waitcnt vmcnt(15)
	v_subrev_nc_u32_e32 v37, s2, v188
	v_cvt_f64_f32_e32 v[178:179], v38
	s_clause 0x1
	global_load_dwordx4 v[11:14], v[130:131], off
	global_load_dwordx4 v[15:18], v[130:131], off offset:16
	v_add_co_u32 v46, s0, 0x4000, v46
	v_add_co_ci_u32_e64 v47, null, 0, v47, s0
	s_waitcnt vmcnt(15)
	v_fma_f64 v[23:24], v[126:127], v[64:65], v[62:63]
	v_fma_f64 v[25:26], v[128:129], v[64:65], v[54:55]
	;; [unrolled: 1-line block ×8, first 2 shown]
	s_waitcnt vmcnt(14)
	v_cvt_f64_f32_e32 v[180:181], v68
	v_cvt_f64_f32_e32 v[182:183], v69
	;; [unrolled: 1-line block ×4, first 2 shown]
	v_fma_f64 v[54:55], -v[128:129], v[66:67], v[23:24]
	v_fma_f64 v[58:59], v[126:127], v[66:67], v[25:26]
	global_load_dwordx4 v[23:26], v[130:131], off offset:32
	v_fma_f64 v[56:57], -v[134:135], v[66:67], v[27:28]
	global_load_dwordx4 v[27:30], v[130:131], off offset:48
	v_fma_f64 v[60:61], v[136:137], v[66:67], v[35:36]
	v_lshlrev_b32_e32 v35, 2, v37
	v_fma_f64 v[52:53], -v[124:125], v[66:67], v[19:20]
	v_fma_f64 v[39:40], v[39:40], v[66:67], v[21:22]
	global_load_dwordx4 v[19:22], v[120:121], off offset:16
	v_fma_f64 v[48:49], v[132:133], v[66:67], v[31:32]
	v_ashrrev_i32_e32 v36, 31, v35
	v_fma_f64 v[50:51], -v[138:139], v[66:67], v[33:34]
	global_load_dwordx4 v[31:34], v[120:121], off offset:32
	s_waitcnt vmcnt(15)
	v_cvt_f64_f32_e32 v[126:127], v80
	v_cvt_f64_f32_e32 v[128:129], v81
	v_lshlrev_b64 v[35:36], 4, v[35:36]
	v_cvt_f64_f32_e32 v[130:131], v82
	v_cvt_f64_f32_e32 v[132:133], v83
	s_waitcnt vmcnt(14)
	v_cvt_f64_f32_e32 v[138:139], v84
	v_add_co_u32 v124, vcc_lo, s6, v35
	v_add_co_ci_u32_e64 v125, null, s7, v36, vcc_lo
	v_fma_f64 v[54:55], v[144:145], v[72:73], v[54:55]
	v_fma_f64 v[58:59], v[146:147], v[72:73], v[58:59]
	v_fma_f64 v[56:57], v[148:149], v[72:73], v[56:57]
	global_load_dwordx4 v[35:38], v[124:125], off
	v_fma_f64 v[52:53], v[140:141], v[72:73], v[52:53]
	v_fma_f64 v[39:40], v[142:143], v[72:73], v[39:40]
	;; [unrolled: 1-line block ×5, first 2 shown]
	global_load_dwordx4 v[48:51], v[120:121], off offset:48
	v_fma_f64 v[68:69], -v[146:147], v[74:75], v[54:55]
	v_fma_f64 v[70:71], v[144:145], v[74:75], v[58:59]
	v_fma_f64 v[72:73], -v[150:151], v[74:75], v[56:57]
	global_load_dwordx4 v[56:59], v[124:125], off offset:16
	v_fma_f64 v[66:67], -v[142:143], v[74:75], v[52:53]
	v_fma_f64 v[39:40], v[140:141], v[74:75], v[39:40]
	v_fma_f64 v[62:63], v[148:149], v[74:75], v[62:63]
	;; [unrolled: 1-line block ×3, first 2 shown]
	v_fma_f64 v[64:65], -v[154:155], v[74:75], v[64:65]
	global_load_dwordx4 v[52:55], v[120:121], off offset:64
	v_cvt_f64_f32_e32 v[142:143], v85
	v_cvt_f64_f32_e32 v[144:145], v86
	;; [unrolled: 1-line block ×3, first 2 shown]
	s_waitcnt vmcnt(17)
	v_cvt_f64_f32_e32 v[148:149], v89
	v_cvt_f64_f32_e32 v[150:151], v90
	;; [unrolled: 1-line block ×3, first 2 shown]
	v_fma_f64 v[68:69], v[160:161], v[76:77], v[68:69]
	v_fma_f64 v[74:75], v[162:163], v[76:77], v[70:71]
	;; [unrolled: 1-line block ×8, first 2 shown]
	global_load_dwordx4 v[60:63], v[120:121], off offset:80
	v_fma_f64 v[136:137], -v[162:163], v[78:79], v[68:69]
	global_load_dwordx4 v[68:71], v[120:121], off offset:112
	v_fma_f64 v[140:141], -v[166:167], v[78:79], v[72:73]
	s_waitcnt vmcnt(13)
	v_cvt_f64_f32_e32 v[162:163], v115
	v_fma_f64 v[134:135], -v[158:159], v[78:79], v[66:67]
	v_fma_f64 v[39:40], v[156:157], v[78:79], v[39:40]
	global_load_dwordx4 v[64:67], v[120:121], off offset:96
	v_fma_f64 v[120:121], v[160:161], v[78:79], v[74:75]
	v_fma_f64 v[80:81], v[164:165], v[78:79], v[80:81]
	v_fma_f64 v[82:83], -v[170:171], v[78:79], v[82:83]
	v_fma_f64 v[76:77], v[168:169], v[78:79], v[76:77]
	global_load_dwordx4 v[72:75], v[124:125], off offset:32
	v_cvt_f64_f32_e32 v[156:157], v92
	v_cvt_f64_f32_e32 v[158:159], v93
	v_cvt_f64_f32_e32 v[160:161], v114
	v_fma_f64 v[84:85], v[176:177], v[100:101], v[136:137]
	v_fma_f64 v[78:79], v[172:173], v[100:101], v[134:135]
	;; [unrolled: 1-line block ×8, first 2 shown]
	v_cvt_f64_f32_e32 v[140:141], v88
	global_load_dwordx4 v[80:83], v[122:123], off offset:16
	v_fma_f64 v[90:91], -v[178:179], v[102:103], v[84:85]
	v_subrev_nc_u32_e32 v84, s2, v189
	v_fma_f64 v[88:89], -v[174:175], v[102:103], v[78:79]
	v_fma_f64 v[39:40], v[172:173], v[102:103], v[39:40]
	global_load_dwordx4 v[76:79], v[122:123], off
	v_fma_f64 v[154:155], v[176:177], v[102:103], v[86:87]
	v_fma_f64 v[120:121], -v[182:183], v[102:103], v[120:121]
	v_fma_f64 v[92:93], v[180:181], v[102:103], v[134:135]
	v_fma_f64 v[136:137], -v[186:187], v[102:103], v[136:137]
	v_fma_f64 v[100:101], v[184:185], v[102:103], v[100:101]
	v_cvt_f64_f32_e32 v[134:135], v94
	v_lshlrev_b32_e32 v94, 2, v84
	global_load_dwordx4 v[84:87], v[124:125], off offset:48
	v_cvt_f64_f32_e32 v[102:103], v95
	v_ashrrev_i32_e32 v95, 31, v94
	s_waitcnt vmcnt(16)
	v_fma_f64 v[90:91], v[130:131], v[11:12], v[90:91]
	v_lshlrev_b64 v[94:95], 4, v[94:95]
	v_fma_f64 v[88:89], v[126:127], v[11:12], v[88:89]
	v_fma_f64 v[39:40], v[128:129], v[11:12], v[39:40]
	;; [unrolled: 1-line block ×7, first 2 shown]
	v_add_co_u32 v154, vcc_lo, s6, v94
	v_add_co_ci_u32_e64 v155, null, s7, v95, vcc_lo
	v_add_co_u32 v42, vcc_lo, 0x80, v42
	v_add_co_ci_u32_e64 v43, null, 0, v43, vcc_lo
	;; [unrolled: 2-line block ×3, first 2 shown]
	v_cmp_ge_i64_e32 vcc_lo, v[42:43], v[44:45]
	v_fma_f64 v[100:101], -v[128:129], v[13:14], v[88:89]
	v_fma_f64 v[39:40], v[126:127], v[13:14], v[39:40]
	v_fma_f64 v[126:127], -v[132:133], v[13:14], v[90:91]
	v_fma_f64 v[124:125], v[130:131], v[13:14], v[124:125]
	;; [unrolled: 2-line block ×4, first 2 shown]
	global_load_dwordx4 v[11:14], v[154:155], off
	global_load_dwordx4 v[88:91], v[122:123], off offset:32
	v_cvt_f64_f32_e32 v[136:137], v97
	v_cvt_f64_f32_e32 v[138:139], v98
	;; [unrolled: 1-line block ×7, first 2 shown]
	s_or_b32 s8, vcc_lo, s8
	s_waitcnt vmcnt(17)
	v_fma_f64 v[100:101], v[140:141], v[15:16], v[100:101]
	v_fma_f64 v[39:40], v[148:149], v[15:16], v[39:40]
	v_fma_f64 v[126:127], v[150:151], v[15:16], v[126:127]
	v_fma_f64 v[124:125], v[152:153], v[15:16], v[124:125]
	v_fma_f64 v[120:121], v[156:157], v[15:16], v[120:121]
	v_fma_f64 v[132:133], v[158:159], v[15:16], v[92:93]
	v_fma_f64 v[128:129], v[134:135], v[15:16], v[128:129]
	v_fma_f64 v[15:16], v[102:103], v[15:16], v[130:131]
	global_load_dwordx4 v[92:95], v[122:123], off offset:48
	v_cvt_f64_f32_e32 v[130:131], v96
	v_fma_f64 v[100:101], -v[148:149], v[17:18], v[100:101]
	v_fma_f64 v[39:40], v[140:141], v[17:18], v[39:40]
	v_fma_f64 v[126:127], -v[152:153], v[17:18], v[126:127]
	v_fma_f64 v[124:125], v[150:151], v[17:18], v[124:125]
	;; [unrolled: 2-line block ×4, first 2 shown]
	global_load_dwordx4 v[15:18], v[154:155], off offset:16
	global_load_dwordx4 v[96:99], v[122:123], off offset:64
	v_cvt_f64_f32_e32 v[148:149], v109
	v_cvt_f64_f32_e32 v[150:151], v110
	;; [unrolled: 1-line block ×5, first 2 shown]
	s_waitcnt vmcnt(19)
	v_fma_f64 v[134:135], v[130:131], v[23:24], v[100:101]
	v_fma_f64 v[39:40], v[136:137], v[23:24], v[39:40]
	;; [unrolled: 1-line block ×8, first 2 shown]
	global_load_dwordx4 v[100:103], v[122:123], off offset:80
	v_cvt_f64_f32_e32 v[128:129], v108
	v_fma_f64 v[112:113], -v[136:137], v[25:26], v[134:135]
	v_fma_f64 v[39:40], v[130:131], v[25:26], v[39:40]
	v_fma_f64 v[114:115], -v[142:143], v[25:26], v[126:127]
	v_fma_f64 v[124:125], v[138:139], v[25:26], v[124:125]
	;; [unrolled: 2-line block ×4, first 2 shown]
	s_clause 0x1
	global_load_dwordx4 v[23:26], v[154:155], off offset:32
	global_load_dwordx4 v[104:107], v[154:155], off offset:48
	;; [unrolled: 1-line block ×3, first 2 shown]
	s_waitcnt vmcnt(21)
	v_cvt_f64_f32_e32 v[138:139], v19
	v_cvt_f64_f32_e32 v[19:20], v20
	;; [unrolled: 1-line block ×4, first 2 shown]
	s_waitcnt vmcnt(18)
	v_cvt_f64_f32_e32 v[142:143], v50
	v_cvt_f64_f32_e32 v[50:51], v51
	v_fma_f64 v[134:135], v[128:129], v[27:28], v[112:113]
	v_fma_f64 v[39:40], v[148:149], v[27:28], v[39:40]
	;; [unrolled: 1-line block ×8, first 2 shown]
	global_load_dwordx4 v[112:115], v[122:123], off offset:112
	v_cvt_f64_f32_e32 v[122:123], v116
	v_cvt_f64_f32_e32 v[116:117], v117
	;; [unrolled: 1-line block ×4, first 2 shown]
	v_fma_f64 v[134:135], -v[148:149], v[29:30], v[134:135]
	v_fma_f64 v[39:40], v[128:129], v[29:30], v[39:40]
	v_fma_f64 v[128:129], -v[152:153], v[29:30], v[136:137]
	v_fma_f64 v[124:125], v[150:151], v[29:30], v[124:125]
	;; [unrolled: 2-line block ×4, first 2 shown]
	v_cvt_f64_f32_e32 v[136:137], v48
	v_cvt_f64_f32_e32 v[48:49], v49
	v_fma_f64 v[29:30], v[122:123], v[35:36], v[134:135]
	v_fma_f64 v[39:40], v[116:117], v[35:36], v[39:40]
	;; [unrolled: 1-line block ×8, first 2 shown]
	v_cvt_f64_f32_e32 v[35:36], v31
	v_cvt_f64_f32_e32 v[31:32], v32
	;; [unrolled: 1-line block ×4, first 2 shown]
	v_fma_f64 v[29:30], -v[116:117], v[37:38], v[29:30]
	v_fma_f64 v[39:40], v[122:123], v[37:38], v[39:40]
	v_fma_f64 v[116:117], -v[118:119], v[37:38], v[128:129]
	v_fma_f64 v[118:119], v[132:133], v[37:38], v[124:125]
	v_fma_f64 v[19:20], -v[19:20], v[37:38], v[120:121]
	v_fma_f64 v[120:121], v[138:139], v[37:38], v[126:127]
	v_fma_f64 v[21:22], -v[21:22], v[37:38], v[130:131]
	v_fma_f64 v[27:28], v[140:141], v[37:38], v[27:28]
	s_waitcnt vmcnt(16)
	v_cvt_f64_f32_e32 v[122:123], v60
	v_cvt_f64_f32_e32 v[60:61], v61
	;; [unrolled: 1-line block ×4, first 2 shown]
	v_fma_f64 v[29:30], v[35:36], v[56:57], v[29:30]
	v_fma_f64 v[37:38], v[31:32], v[56:57], v[39:40]
	;; [unrolled: 1-line block ×8, first 2 shown]
	v_cvt_f64_f32_e32 v[56:57], v52
	v_cvt_f64_f32_e32 v[52:53], v53
	;; [unrolled: 1-line block ×4, first 2 shown]
	v_fma_f64 v[29:30], -v[31:32], v[58:59], v[29:30]
	v_fma_f64 v[31:32], v[35:36], v[58:59], v[37:38]
	v_fma_f64 v[33:34], -v[33:34], v[58:59], v[39:40]
	v_fma_f64 v[35:36], v[134:135], v[58:59], v[116:117]
	;; [unrolled: 2-line block ×4, first 2 shown]
	s_waitcnt vmcnt(14)
	v_cvt_f64_f32_e32 v[39:40], v64
	v_cvt_f64_f32_e32 v[48:49], v65
	;; [unrolled: 1-line block ×8, first 2 shown]
	s_waitcnt vmcnt(13)
	v_fma_f64 v[29:30], v[56:57], v[72:73], v[29:30]
	v_fma_f64 v[31:32], v[52:53], v[72:73], v[31:32]
	;; [unrolled: 1-line block ×8, first 2 shown]
	s_waitcnt vmcnt(12)
	v_cvt_f64_f32_e32 v[72:73], v81
	v_fma_f64 v[29:30], -v[52:53], v[74:75], v[29:30]
	v_fma_f64 v[31:32], v[56:57], v[74:75], v[31:32]
	v_fma_f64 v[33:34], -v[54:55], v[74:75], v[33:34]
	v_fma_f64 v[35:36], v[120:121], v[74:75], v[35:36]
	;; [unrolled: 2-line block ×4, first 2 shown]
	s_waitcnt vmcnt(11)
	v_cvt_f64_f32_e32 v[52:53], v76
	v_cvt_f64_f32_e32 v[54:55], v77
	;; [unrolled: 1-line block ×7, first 2 shown]
	s_waitcnt vmcnt(10)
	v_fma_f64 v[29:30], v[39:40], v[84:85], v[29:30]
	v_fma_f64 v[31:32], v[48:49], v[84:85], v[31:32]
	;; [unrolled: 1-line block ×8, first 2 shown]
	v_fma_f64 v[29:30], -v[48:49], v[86:87], v[29:30]
	v_fma_f64 v[31:32], v[39:40], v[86:87], v[31:32]
	v_fma_f64 v[33:34], -v[58:59], v[86:87], v[33:34]
	v_fma_f64 v[35:36], v[50:51], v[86:87], v[35:36]
	v_fma_f64 v[19:20], -v[66:67], v[86:87], v[19:20]
	v_fma_f64 v[37:38], v[64:65], v[86:87], v[37:38]
	v_fma_f64 v[21:22], -v[70:71], v[86:87], v[21:22]
	v_fma_f64 v[27:28], v[68:69], v[86:87], v[27:28]
	s_waitcnt vmcnt(8)
	v_cvt_f64_f32_e32 v[39:40], v89
	v_cvt_f64_f32_e32 v[48:49], v90
	;; [unrolled: 1-line block ×3, first 2 shown]
	s_waitcnt vmcnt(7)
	v_cvt_f64_f32_e32 v[58:59], v92
	v_cvt_f64_f32_e32 v[64:65], v93
	;; [unrolled: 1-line block ×4, first 2 shown]
	v_fma_f64 v[29:30], v[52:53], v[11:12], v[29:30]
	v_fma_f64 v[31:32], v[54:55], v[11:12], v[31:32]
	;; [unrolled: 1-line block ×8, first 2 shown]
	v_cvt_f64_f32_e32 v[27:28], v88
	v_fma_f64 v[29:30], -v[54:55], v[13:14], v[29:30]
	v_fma_f64 v[31:32], v[52:53], v[13:14], v[31:32]
	v_fma_f64 v[33:34], -v[60:61], v[13:14], v[33:34]
	v_fma_f64 v[35:36], v[56:57], v[13:14], v[35:36]
	;; [unrolled: 2-line block ×4, first 2 shown]
	s_waitcnt vmcnt(5)
	v_cvt_f64_f32_e32 v[52:53], v98
	v_cvt_f64_f32_e32 v[54:55], v99
	v_fma_f64 v[13:14], v[27:28], v[15:16], v[29:30]
	v_fma_f64 v[29:30], v[39:40], v[15:16], v[31:32]
	;; [unrolled: 1-line block ×8, first 2 shown]
	v_cvt_f64_f32_e32 v[15:16], v96
	v_cvt_f64_f32_e32 v[37:38], v97
	s_waitcnt vmcnt(4)
	v_cvt_f64_f32_e32 v[56:57], v100
	v_cvt_f64_f32_e32 v[60:61], v101
	;; [unrolled: 1-line block ×4, first 2 shown]
	v_fma_f64 v[13:14], -v[39:40], v[17:18], v[13:14]
	v_fma_f64 v[27:28], v[27:28], v[17:18], v[29:30]
	v_fma_f64 v[29:30], -v[50:51], v[17:18], v[31:32]
	v_fma_f64 v[31:32], v[48:49], v[17:18], v[33:34]
	;; [unrolled: 2-line block ×4, first 2 shown]
	s_waitcnt vmcnt(1)
	v_cvt_f64_f32_e32 v[35:36], v110
	v_cvt_f64_f32_e32 v[39:40], v111
	v_fma_f64 v[13:14], v[15:16], v[23:24], v[13:14]
	v_fma_f64 v[17:18], v[37:38], v[23:24], v[27:28]
	;; [unrolled: 1-line block ×8, first 2 shown]
	v_cvt_f64_f32_e32 v[23:24], v108
	v_cvt_f64_f32_e32 v[33:34], v109
	s_waitcnt vmcnt(0)
	v_cvt_f64_f32_e32 v[48:49], v112
	v_cvt_f64_f32_e32 v[50:51], v113
	;; [unrolled: 1-line block ×4, first 2 shown]
	v_fma_f64 v[13:14], -v[37:38], v[25:26], v[13:14]
	v_fma_f64 v[15:16], v[15:16], v[25:26], v[17:18]
	v_fma_f64 v[17:18], -v[54:55], v[25:26], v[27:28]
	v_fma_f64 v[27:28], v[52:53], v[25:26], v[29:30]
	;; [unrolled: 2-line block ×4, first 2 shown]
	v_fma_f64 v[13:14], v[23:24], v[104:105], v[13:14]
	v_fma_f64 v[15:16], v[33:34], v[104:105], v[15:16]
	;; [unrolled: 1-line block ×8, first 2 shown]
	v_fma_f64 v[58:59], -v[33:34], v[106:107], v[13:14]
	v_fma_f64 v[52:53], v[23:24], v[106:107], v[15:16]
	v_fma_f64 v[62:63], -v[39:40], v[106:107], v[17:18]
	v_fma_f64 v[54:55], v[35:36], v[106:107], v[25:26]
	;; [unrolled: 2-line block ×4, first 2 shown]
	s_andn2_b32 exec_lo, exec_lo, s8
	s_cbranch_execnz .LBB173_31
; %bb.32:
	s_or_b32 exec_lo, exec_lo, s8
.LBB173_33:
	s_or_b32 exec_lo, exec_lo, s3
.LBB173_34:
	s_or_b32 exec_lo, exec_lo, s1
.LBB173_35:
	v_mbcnt_lo_u32_b32 v42, -1, 0
	v_xor_b32_e32 v9, 16, v42
	v_xor_b32_e32 v25, 8, v42
	v_cmp_gt_i32_e32 vcc_lo, 32, v9
	v_cndmask_b32_e32 v9, v42, v9, vcc_lo
	v_cmp_gt_i32_e32 vcc_lo, 32, v25
	v_lshlrev_b32_e32 v24, 2, v9
	v_cndmask_b32_e32 v25, v42, v25, vcc_lo
	ds_bpermute_b32 v9, v24, v58
	ds_bpermute_b32 v10, v24, v59
	;; [unrolled: 1-line block ×16, first 2 shown]
	v_lshlrev_b32_e32 v40, 2, v25
	s_waitcnt lgkmcnt(14)
	v_add_f64 v[9:10], v[58:59], v[9:10]
	s_waitcnt lgkmcnt(12)
	v_add_f64 v[11:12], v[52:53], v[11:12]
	;; [unrolled: 2-line block ×8, first 2 shown]
	ds_bpermute_b32 v25, v40, v9
	ds_bpermute_b32 v26, v40, v10
	;; [unrolled: 1-line block ×16, first 2 shown]
	s_waitcnt lgkmcnt(14)
	v_add_f64 v[9:10], v[9:10], v[25:26]
	v_xor_b32_e32 v25, 4, v42
	s_waitcnt lgkmcnt(12)
	v_add_f64 v[11:12], v[11:12], v[27:28]
	s_waitcnt lgkmcnt(10)
	v_add_f64 v[13:14], v[13:14], v[29:30]
	v_cmp_gt_i32_e32 vcc_lo, 32, v25
	s_waitcnt lgkmcnt(8)
	v_add_f64 v[15:16], v[15:16], v[31:32]
	s_waitcnt lgkmcnt(6)
	v_add_f64 v[17:18], v[17:18], v[33:34]
	;; [unrolled: 2-line block ×3, first 2 shown]
	v_cndmask_b32_e32 v25, v42, v25, vcc_lo
	s_waitcnt lgkmcnt(2)
	v_add_f64 v[21:22], v[21:22], v[37:38]
	s_waitcnt lgkmcnt(0)
	v_add_f64 v[23:24], v[23:24], v[39:40]
	v_lshlrev_b32_e32 v40, 2, v25
	ds_bpermute_b32 v25, v40, v9
	ds_bpermute_b32 v26, v40, v10
	;; [unrolled: 1-line block ×16, first 2 shown]
	s_waitcnt lgkmcnt(14)
	v_add_f64 v[9:10], v[9:10], v[25:26]
	v_xor_b32_e32 v25, 2, v42
	s_waitcnt lgkmcnt(12)
	v_add_f64 v[11:12], v[11:12], v[27:28]
	s_waitcnt lgkmcnt(10)
	v_add_f64 v[13:14], v[13:14], v[29:30]
	v_cmp_gt_i32_e32 vcc_lo, 32, v25
	s_waitcnt lgkmcnt(8)
	v_add_f64 v[15:16], v[15:16], v[31:32]
	s_waitcnt lgkmcnt(6)
	v_add_f64 v[17:18], v[17:18], v[33:34]
	;; [unrolled: 2-line block ×3, first 2 shown]
	v_cndmask_b32_e32 v27, v42, v25, vcc_lo
	s_waitcnt lgkmcnt(2)
	v_add_f64 v[21:22], v[21:22], v[37:38]
	s_waitcnt lgkmcnt(0)
	v_add_f64 v[25:26], v[23:24], v[39:40]
	v_lshlrev_b32_e32 v40, 2, v27
	ds_bpermute_b32 v23, v40, v9
	ds_bpermute_b32 v24, v40, v10
	;; [unrolled: 1-line block ×16, first 2 shown]
	s_waitcnt lgkmcnt(14)
	v_add_f64 v[9:10], v[9:10], v[23:24]
	s_waitcnt lgkmcnt(12)
	v_add_f64 v[27:28], v[11:12], v[27:28]
	;; [unrolled: 2-line block ×3, first 2 shown]
	v_xor_b32_e32 v29, 1, v42
	s_waitcnt lgkmcnt(8)
	v_add_f64 v[23:24], v[15:16], v[31:32]
	s_waitcnt lgkmcnt(6)
	v_add_f64 v[13:14], v[17:18], v[33:34]
	v_cmp_gt_i32_e32 vcc_lo, 32, v29
	s_waitcnt lgkmcnt(4)
	v_add_f64 v[17:18], v[19:20], v[35:36]
	s_waitcnt lgkmcnt(2)
	v_add_f64 v[15:16], v[21:22], v[37:38]
	;; [unrolled: 2-line block ×3, first 2 shown]
	v_cndmask_b32_e32 v29, v42, v29, vcc_lo
	v_cmp_eq_u32_e32 vcc_lo, 31, v0
	v_lshlrev_b32_e32 v34, 2, v29
	ds_bpermute_b32 v21, v34, v9
	ds_bpermute_b32 v22, v34, v10
	;; [unrolled: 1-line block ×16, first 2 shown]
	s_and_b32 exec_lo, exec_lo, vcc_lo
	s_cbranch_execz .LBB173_8
; %bb.36:
	s_waitcnt lgkmcnt(12)
	v_add_f64 v[27:28], v[27:28], v[39:40]
	s_waitcnt lgkmcnt(8)
	v_add_f64 v[23:24], v[23:24], v[37:38]
	;; [unrolled: 2-line block ×4, first 2 shown]
	v_add_f64 v[9:10], v[9:10], v[21:22]
	v_add_f64 v[11:12], v[11:12], v[25:26]
	;; [unrolled: 1-line block ×4, first 2 shown]
	v_cmp_eq_f64_e32 vcc_lo, 0, v[1:2]
	v_cmp_eq_f64_e64 s0, 0, v[3:4]
	s_load_dwordx2 s[2:3], s[4:5], 0x60
	v_mul_f64 v[13:14], v[27:28], -v[7:8]
	v_mul_f64 v[15:16], v[5:6], v[27:28]
	v_mul_f64 v[27:28], v[23:24], -v[7:8]
	v_mul_f64 v[23:24], v[5:6], v[23:24]
	;; [unrolled: 2-line block ×4, first 2 shown]
	s_and_b32 s0, vcc_lo, s0
	v_fma_f64 v[17:18], v[5:6], v[9:10], v[13:14]
	v_fma_f64 v[19:20], v[7:8], v[9:10], v[15:16]
	;; [unrolled: 1-line block ×8, first 2 shown]
	v_lshlrev_b32_e32 v21, 2, v41
	s_and_saveexec_b32 s1, s0
	s_xor_b32 s0, exec_lo, s1
	s_cbranch_execz .LBB173_38
; %bb.37:
	v_ashrrev_i32_e32 v22, 31, v21
	v_lshlrev_b64 v[0:1], 4, v[21:22]
                                        ; implicit-def: $vgpr21
	s_waitcnt lgkmcnt(0)
	v_add_co_u32 v0, vcc_lo, s2, v0
	v_add_co_ci_u32_e64 v1, null, s3, v1, vcc_lo
	global_store_dwordx4 v[0:1], v[17:20], off
	global_store_dwordx4 v[0:1], v[13:16], off offset:16
	global_store_dwordx4 v[0:1], v[9:12], off offset:32
	global_store_dwordx4 v[0:1], v[5:8], off offset:48
                                        ; implicit-def: $vgpr3_vgpr4
                                        ; implicit-def: $vgpr17_vgpr18
                                        ; implicit-def: $vgpr13_vgpr14
                                        ; implicit-def: $vgpr9_vgpr10
                                        ; implicit-def: $vgpr5_vgpr6
.LBB173_38:
	s_andn2_saveexec_b32 s0, s0
	s_cbranch_execz .LBB173_8
; %bb.39:
	v_ashrrev_i32_e32 v22, 31, v21
	v_lshlrev_b64 v[21:22], 4, v[21:22]
	s_waitcnt lgkmcnt(0)
	v_add_co_u32 v37, vcc_lo, s2, v21
	v_add_co_ci_u32_e64 v38, null, s3, v22, vcc_lo
	s_clause 0x3
	global_load_dwordx4 v[21:24], v[37:38], off
	global_load_dwordx4 v[25:28], v[37:38], off offset:16
	global_load_dwordx4 v[29:32], v[37:38], off offset:32
	;; [unrolled: 1-line block ×3, first 2 shown]
	s_waitcnt vmcnt(3)
	v_fma_f64 v[17:18], v[1:2], v[21:22], v[17:18]
	v_fma_f64 v[19:20], v[3:4], v[21:22], v[19:20]
	s_waitcnt vmcnt(2)
	v_fma_f64 v[13:14], v[1:2], v[25:26], v[13:14]
	v_fma_f64 v[15:16], v[3:4], v[25:26], v[15:16]
	;; [unrolled: 3-line block ×4, first 2 shown]
	v_fma_f64 v[5:6], -v[3:4], v[23:24], v[17:18]
	v_fma_f64 v[7:8], v[1:2], v[23:24], v[19:20]
	v_fma_f64 v[9:10], -v[3:4], v[27:28], v[13:14]
	v_fma_f64 v[11:12], v[1:2], v[27:28], v[15:16]
	;; [unrolled: 2-line block ×4, first 2 shown]
	global_store_dwordx4 v[37:38], v[5:8], off
	global_store_dwordx4 v[37:38], v[9:12], off offset:16
	global_store_dwordx4 v[37:38], v[13:16], off offset:32
	;; [unrolled: 1-line block ×3, first 2 shown]
	s_endpgm
	.section	.rodata,"a",@progbits
	.p2align	6, 0x0
	.amdhsa_kernel _ZN9rocsparseL18bsrxmvn_4x4_kernelILj128ELj32E21rocsparse_complex_numIdEliS1_IfES2_S2_EEvT3_20rocsparse_direction_NS_24const_host_device_scalarIT1_EES4_PKS4_PKT2_SD_SA_PKT4_PKT5_S8_PT6_21rocsparse_index_base_b
		.amdhsa_group_segment_fixed_size 0
		.amdhsa_private_segment_fixed_size 0
		.amdhsa_kernarg_size 112
		.amdhsa_user_sgpr_count 6
		.amdhsa_user_sgpr_private_segment_buffer 1
		.amdhsa_user_sgpr_dispatch_ptr 0
		.amdhsa_user_sgpr_queue_ptr 0
		.amdhsa_user_sgpr_kernarg_segment_ptr 1
		.amdhsa_user_sgpr_dispatch_id 0
		.amdhsa_user_sgpr_flat_scratch_init 0
		.amdhsa_user_sgpr_private_segment_size 0
		.amdhsa_wavefront_size32 1
		.amdhsa_uses_dynamic_stack 0
		.amdhsa_system_sgpr_private_segment_wavefront_offset 0
		.amdhsa_system_sgpr_workgroup_id_x 1
		.amdhsa_system_sgpr_workgroup_id_y 0
		.amdhsa_system_sgpr_workgroup_id_z 0
		.amdhsa_system_sgpr_workgroup_info 0
		.amdhsa_system_vgpr_workitem_id 0
		.amdhsa_next_free_vgpr 207
		.amdhsa_next_free_sgpr 16
		.amdhsa_reserve_vcc 1
		.amdhsa_reserve_flat_scratch 0
		.amdhsa_float_round_mode_32 0
		.amdhsa_float_round_mode_16_64 0
		.amdhsa_float_denorm_mode_32 3
		.amdhsa_float_denorm_mode_16_64 3
		.amdhsa_dx10_clamp 1
		.amdhsa_ieee_mode 1
		.amdhsa_fp16_overflow 0
		.amdhsa_workgroup_processor_mode 1
		.amdhsa_memory_ordered 1
		.amdhsa_forward_progress 1
		.amdhsa_shared_vgpr_count 0
		.amdhsa_exception_fp_ieee_invalid_op 0
		.amdhsa_exception_fp_denorm_src 0
		.amdhsa_exception_fp_ieee_div_zero 0
		.amdhsa_exception_fp_ieee_overflow 0
		.amdhsa_exception_fp_ieee_underflow 0
		.amdhsa_exception_fp_ieee_inexact 0
		.amdhsa_exception_int_div_zero 0
	.end_amdhsa_kernel
	.section	.text._ZN9rocsparseL18bsrxmvn_4x4_kernelILj128ELj32E21rocsparse_complex_numIdEliS1_IfES2_S2_EEvT3_20rocsparse_direction_NS_24const_host_device_scalarIT1_EES4_PKS4_PKT2_SD_SA_PKT4_PKT5_S8_PT6_21rocsparse_index_base_b,"axG",@progbits,_ZN9rocsparseL18bsrxmvn_4x4_kernelILj128ELj32E21rocsparse_complex_numIdEliS1_IfES2_S2_EEvT3_20rocsparse_direction_NS_24const_host_device_scalarIT1_EES4_PKS4_PKT2_SD_SA_PKT4_PKT5_S8_PT6_21rocsparse_index_base_b,comdat
.Lfunc_end173:
	.size	_ZN9rocsparseL18bsrxmvn_4x4_kernelILj128ELj32E21rocsparse_complex_numIdEliS1_IfES2_S2_EEvT3_20rocsparse_direction_NS_24const_host_device_scalarIT1_EES4_PKS4_PKT2_SD_SA_PKT4_PKT5_S8_PT6_21rocsparse_index_base_b, .Lfunc_end173-_ZN9rocsparseL18bsrxmvn_4x4_kernelILj128ELj32E21rocsparse_complex_numIdEliS1_IfES2_S2_EEvT3_20rocsparse_direction_NS_24const_host_device_scalarIT1_EES4_PKS4_PKT2_SD_SA_PKT4_PKT5_S8_PT6_21rocsparse_index_base_b
                                        ; -- End function
	.set _ZN9rocsparseL18bsrxmvn_4x4_kernelILj128ELj32E21rocsparse_complex_numIdEliS1_IfES2_S2_EEvT3_20rocsparse_direction_NS_24const_host_device_scalarIT1_EES4_PKS4_PKT2_SD_SA_PKT4_PKT5_S8_PT6_21rocsparse_index_base_b.num_vgpr, 207
	.set _ZN9rocsparseL18bsrxmvn_4x4_kernelILj128ELj32E21rocsparse_complex_numIdEliS1_IfES2_S2_EEvT3_20rocsparse_direction_NS_24const_host_device_scalarIT1_EES4_PKS4_PKT2_SD_SA_PKT4_PKT5_S8_PT6_21rocsparse_index_base_b.num_agpr, 0
	.set _ZN9rocsparseL18bsrxmvn_4x4_kernelILj128ELj32E21rocsparse_complex_numIdEliS1_IfES2_S2_EEvT3_20rocsparse_direction_NS_24const_host_device_scalarIT1_EES4_PKS4_PKT2_SD_SA_PKT4_PKT5_S8_PT6_21rocsparse_index_base_b.numbered_sgpr, 16
	.set _ZN9rocsparseL18bsrxmvn_4x4_kernelILj128ELj32E21rocsparse_complex_numIdEliS1_IfES2_S2_EEvT3_20rocsparse_direction_NS_24const_host_device_scalarIT1_EES4_PKS4_PKT2_SD_SA_PKT4_PKT5_S8_PT6_21rocsparse_index_base_b.num_named_barrier, 0
	.set _ZN9rocsparseL18bsrxmvn_4x4_kernelILj128ELj32E21rocsparse_complex_numIdEliS1_IfES2_S2_EEvT3_20rocsparse_direction_NS_24const_host_device_scalarIT1_EES4_PKS4_PKT2_SD_SA_PKT4_PKT5_S8_PT6_21rocsparse_index_base_b.private_seg_size, 0
	.set _ZN9rocsparseL18bsrxmvn_4x4_kernelILj128ELj32E21rocsparse_complex_numIdEliS1_IfES2_S2_EEvT3_20rocsparse_direction_NS_24const_host_device_scalarIT1_EES4_PKS4_PKT2_SD_SA_PKT4_PKT5_S8_PT6_21rocsparse_index_base_b.uses_vcc, 1
	.set _ZN9rocsparseL18bsrxmvn_4x4_kernelILj128ELj32E21rocsparse_complex_numIdEliS1_IfES2_S2_EEvT3_20rocsparse_direction_NS_24const_host_device_scalarIT1_EES4_PKS4_PKT2_SD_SA_PKT4_PKT5_S8_PT6_21rocsparse_index_base_b.uses_flat_scratch, 0
	.set _ZN9rocsparseL18bsrxmvn_4x4_kernelILj128ELj32E21rocsparse_complex_numIdEliS1_IfES2_S2_EEvT3_20rocsparse_direction_NS_24const_host_device_scalarIT1_EES4_PKS4_PKT2_SD_SA_PKT4_PKT5_S8_PT6_21rocsparse_index_base_b.has_dyn_sized_stack, 0
	.set _ZN9rocsparseL18bsrxmvn_4x4_kernelILj128ELj32E21rocsparse_complex_numIdEliS1_IfES2_S2_EEvT3_20rocsparse_direction_NS_24const_host_device_scalarIT1_EES4_PKS4_PKT2_SD_SA_PKT4_PKT5_S8_PT6_21rocsparse_index_base_b.has_recursion, 0
	.set _ZN9rocsparseL18bsrxmvn_4x4_kernelILj128ELj32E21rocsparse_complex_numIdEliS1_IfES2_S2_EEvT3_20rocsparse_direction_NS_24const_host_device_scalarIT1_EES4_PKS4_PKT2_SD_SA_PKT4_PKT5_S8_PT6_21rocsparse_index_base_b.has_indirect_call, 0
	.section	.AMDGPU.csdata,"",@progbits
; Kernel info:
; codeLenInByte = 11900
; TotalNumSgprs: 18
; NumVgprs: 207
; ScratchSize: 0
; MemoryBound: 0
; FloatMode: 240
; IeeeMode: 1
; LDSByteSize: 0 bytes/workgroup (compile time only)
; SGPRBlocks: 0
; VGPRBlocks: 25
; NumSGPRsForWavesPerEU: 18
; NumVGPRsForWavesPerEU: 207
; Occupancy: 4
; WaveLimiterHint : 1
; COMPUTE_PGM_RSRC2:SCRATCH_EN: 0
; COMPUTE_PGM_RSRC2:USER_SGPR: 6
; COMPUTE_PGM_RSRC2:TRAP_HANDLER: 0
; COMPUTE_PGM_RSRC2:TGID_X_EN: 1
; COMPUTE_PGM_RSRC2:TGID_Y_EN: 0
; COMPUTE_PGM_RSRC2:TGID_Z_EN: 0
; COMPUTE_PGM_RSRC2:TIDIG_COMP_CNT: 0
	.section	.text._ZN9rocsparseL18bsrxmvn_4x4_kernelILj128ELj64E21rocsparse_complex_numIdEliS1_IfES2_S2_EEvT3_20rocsparse_direction_NS_24const_host_device_scalarIT1_EES4_PKS4_PKT2_SD_SA_PKT4_PKT5_S8_PT6_21rocsparse_index_base_b,"axG",@progbits,_ZN9rocsparseL18bsrxmvn_4x4_kernelILj128ELj64E21rocsparse_complex_numIdEliS1_IfES2_S2_EEvT3_20rocsparse_direction_NS_24const_host_device_scalarIT1_EES4_PKS4_PKT2_SD_SA_PKT4_PKT5_S8_PT6_21rocsparse_index_base_b,comdat
	.globl	_ZN9rocsparseL18bsrxmvn_4x4_kernelILj128ELj64E21rocsparse_complex_numIdEliS1_IfES2_S2_EEvT3_20rocsparse_direction_NS_24const_host_device_scalarIT1_EES4_PKS4_PKT2_SD_SA_PKT4_PKT5_S8_PT6_21rocsparse_index_base_b ; -- Begin function _ZN9rocsparseL18bsrxmvn_4x4_kernelILj128ELj64E21rocsparse_complex_numIdEliS1_IfES2_S2_EEvT3_20rocsparse_direction_NS_24const_host_device_scalarIT1_EES4_PKS4_PKT2_SD_SA_PKT4_PKT5_S8_PT6_21rocsparse_index_base_b
	.p2align	8
	.type	_ZN9rocsparseL18bsrxmvn_4x4_kernelILj128ELj64E21rocsparse_complex_numIdEliS1_IfES2_S2_EEvT3_20rocsparse_direction_NS_24const_host_device_scalarIT1_EES4_PKS4_PKT2_SD_SA_PKT4_PKT5_S8_PT6_21rocsparse_index_base_b,@function
_ZN9rocsparseL18bsrxmvn_4x4_kernelILj128ELj64E21rocsparse_complex_numIdEliS1_IfES2_S2_EEvT3_20rocsparse_direction_NS_24const_host_device_scalarIT1_EES4_PKS4_PKT2_SD_SA_PKT4_PKT5_S8_PT6_21rocsparse_index_base_b: ; @_ZN9rocsparseL18bsrxmvn_4x4_kernelILj128ELj64E21rocsparse_complex_numIdEliS1_IfES2_S2_EEvT3_20rocsparse_direction_NS_24const_host_device_scalarIT1_EES4_PKS4_PKT2_SD_SA_PKT4_PKT5_S8_PT6_21rocsparse_index_base_b
; %bb.0:
	s_clause 0x1
	s_load_dwordx2 s[2:3], s[4:5], 0x68
	s_load_dwordx2 s[0:1], s[4:5], 0x8
	s_add_u32 s7, s4, 8
	s_addc_u32 s10, s5, 0
	s_add_u32 s11, s4, 0x50
	s_addc_u32 s12, s5, 0
	s_load_dwordx2 s[8:9], s[4:5], 0x50
	s_waitcnt lgkmcnt(0)
	s_bitcmp1_b32 s3, 0
	s_cselect_b32 s0, s7, s0
	s_cselect_b32 s1, s10, s1
	v_mov_b32_e32 v1, s0
	v_mov_b32_e32 v2, s1
	s_cselect_b32 s0, s11, s8
	s_cselect_b32 s1, s12, s9
	flat_load_dwordx4 v[5:8], v[1:2]
	v_mov_b32_e32 v1, s0
	v_mov_b32_e32 v2, s1
	flat_load_dwordx4 v[1:4], v[1:2]
	s_waitcnt vmcnt(1) lgkmcnt(1)
	v_cmp_eq_f64_e32 vcc_lo, 0, v[5:6]
	v_cmp_eq_f64_e64 s0, 0, v[7:8]
	s_and_b32 s3, vcc_lo, s0
	s_mov_b32 s0, -1
	s_and_saveexec_b32 s1, s3
	s_cbranch_execz .LBB174_2
; %bb.1:
	s_waitcnt vmcnt(0) lgkmcnt(0)
	v_cmp_neq_f64_e32 vcc_lo, 1.0, v[1:2]
	v_cmp_neq_f64_e64 s0, 0, v[3:4]
	s_or_b32 s0, vcc_lo, s0
	s_orn2_b32 s0, s0, exec_lo
.LBB174_2:
	s_or_b32 exec_lo, exec_lo, s1
	s_and_saveexec_b32 s1, s0
	s_cbranch_execz .LBB174_8
; %bb.3:
	s_clause 0x1
	s_load_dwordx2 s[8:9], s[4:5], 0x20
	s_load_dwordx2 s[0:1], s[4:5], 0x0
	v_lshrrev_b32_e32 v9, 6, v0
	v_lshl_or_b32 v41, s6, 1, v9
	s_waitcnt lgkmcnt(0)
	s_cmp_lg_u64 s[8:9], 0
	s_cbranch_scc0 .LBB174_9
; %bb.4:
	s_load_dword s3, s[4:5], 0x18
	s_mov_b32 s6, 0
                                        ; implicit-def: $vgpr9
	s_waitcnt lgkmcnt(0)
	v_cmp_gt_i32_e32 vcc_lo, s3, v41
	s_mov_b32 s3, 0
	s_and_saveexec_b32 s7, vcc_lo
	s_xor_b32 s7, exec_lo, s7
	s_cbranch_execz .LBB174_6
; %bb.5:
	v_ashrrev_i32_e32 v42, 31, v41
	s_mov_b32 s3, exec_lo
	v_lshlrev_b64 v[9:10], 2, v[41:42]
	v_add_co_u32 v9, vcc_lo, s8, v9
	v_add_co_ci_u32_e64 v10, null, s9, v10, vcc_lo
	global_load_dword v9, v[9:10], off
	s_waitcnt vmcnt(0)
	v_subrev_nc_u32_e32 v9, s2, v9
.LBB174_6:
	s_or_b32 exec_lo, exec_lo, s7
	s_and_b32 vcc_lo, exec_lo, s6
	s_cbranch_vccz .LBB174_10
.LBB174_7:
	v_cmp_gt_i32_e32 vcc_lo, s0, v41
	s_andn2_b32 s0, s3, exec_lo
	s_and_b32 s3, vcc_lo, exec_lo
	s_or_b32 s3, s0, s3
	s_and_b32 exec_lo, exec_lo, s3
	s_cbranch_execnz .LBB174_11
.LBB174_8:
	s_endpgm
.LBB174_9:
	s_mov_b32 s3, 0
                                        ; implicit-def: $vgpr9
	s_cbranch_execnz .LBB174_7
.LBB174_10:
	v_mov_b32_e32 v41, v9
	s_and_b32 exec_lo, exec_lo, s3
	s_cbranch_execz .LBB174_8
.LBB174_11:
	s_load_dwordx8 s[8:15], s[4:5], 0x28
	v_ashrrev_i32_e32 v42, 31, v41
	v_and_b32_e32 v0, 63, v0
	s_load_dwordx2 s[6:7], s[4:5], 0x48
	v_lshlrev_b64 v[9:10], 3, v[41:42]
	s_waitcnt lgkmcnt(0)
	v_add_co_u32 v11, vcc_lo, s8, v9
	v_add_co_ci_u32_e64 v12, null, s9, v10, vcc_lo
	v_add_co_u32 v9, vcc_lo, s10, v9
	v_add_co_ci_u32_e64 v10, null, s11, v10, vcc_lo
	;; [unrolled: 2-line block ×3, first 2 shown]
	global_load_dwordx2 v[64:65], v[11:12], off
	s_cmp_eq_u64 s[10:11], 0
	s_cselect_b32 vcc_lo, -1, 0
	s_cmp_eq_u32 s1, 1
	v_cndmask_b32_e32 v10, v10, v14, vcc_lo
	v_cndmask_b32_e32 v9, v9, v13, vcc_lo
	global_load_dwordx2 v[9:10], v[9:10], off
	s_waitcnt vmcnt(1)
	v_sub_co_u32 v11, vcc_lo, v64, s2
	v_subrev_co_ci_u32_e64 v12, null, 0, v65, vcc_lo
	v_add_co_u32 v42, vcc_lo, v11, v0
	v_add_co_ci_u32_e64 v43, null, 0, v12, vcc_lo
	s_waitcnt vmcnt(0)
	v_sub_co_u32 v44, vcc_lo, v9, s2
	v_subrev_co_ci_u32_e64 v45, null, 0, v10, vcc_lo
	v_lshlrev_b64 v[9:10], 7, v[42:43]
	v_cmp_lt_i64_e64 s0, v[42:43], v[44:45]
	v_add_co_u32 v46, vcc_lo, s14, v9
	v_add_co_ci_u32_e64 v47, null, s15, v10, vcc_lo
	s_cbranch_scc1 .LBB174_23
; %bb.12:
	v_mov_b32_e32 v52, 0
	v_mov_b32_e32 v58, 0
	;; [unrolled: 1-line block ×16, first 2 shown]
	s_and_saveexec_b32 s3, s0
	s_cbranch_execz .LBB174_22
; %bb.13:
	v_or_b32_e32 v9, 64, v0
	v_not_b32_e32 v13, v64
	v_not_b32_e32 v11, v65
	v_mov_b32_e32 v48, 0
	v_mov_b32_e32 v50, 0
	v_sub_co_u32 v9, s1, v9, s2
	v_sub_co_ci_u32_e64 v10, null, 0, 0, s1
	v_sub_co_u32 v14, s1, s2, v0
	v_add_co_u32 v9, vcc_lo, v9, v64
	v_add_co_ci_u32_e64 v10, null, v10, v65, vcc_lo
	v_sub_co_ci_u32_e64 v15, null, 0, 0, s1
	v_add_co_u32 v13, s1, v14, v13
	v_cmp_gt_i64_e32 vcc_lo, v[9:10], v[44:45]
	v_add_co_ci_u32_e64 v11, null, v15, v11, s1
	v_mov_b32_e32 v60, 0
	v_mov_b32_e32 v56, 0
	;; [unrolled: 1-line block ×3, first 2 shown]
	v_cndmask_b32_e32 v9, v44, v9, vcc_lo
	v_cndmask_b32_e32 v10, v45, v10, vcc_lo
	v_mov_b32_e32 v54, 0
	v_mov_b32_e32 v58, 0
	;; [unrolled: 1-line block ×3, first 2 shown]
	v_add_co_u32 v9, vcc_lo, v13, v9
	v_mov_b32_e32 v69, v47
	v_mov_b32_e32 v67, v43
	;; [unrolled: 1-line block ×7, first 2 shown]
	v_add_co_ci_u32_e64 v10, null, v11, v10, vcc_lo
	v_and_b32_e32 v11, 0xc0, v9
	v_mov_b32_e32 v63, 0
	v_mov_b32_e32 v55, 0
	;; [unrolled: 1-line block ×6, first 2 shown]
	s_mov_b32 s8, exec_lo
	v_cmpx_ne_u64_e32 0xc0, v[11:12]
	s_cbranch_execz .LBB174_17
; %bb.14:
	v_lshrrev_b32_e32 v13, 6, v9
	v_lshlrev_b64 v[11:12], 2, v[42:43]
	v_mov_b32_e32 v52, 0
	v_mov_b32_e32 v67, v43
	;; [unrolled: 1-line block ×3, first 2 shown]
	v_add_nc_u32_e32 v13, 1, v13
	v_mov_b32_e32 v54, 0
	v_add_co_u32 v11, vcc_lo, s12, v11
	v_mov_b32_e32 v62, 0
	v_and_b32_e32 v13, 3, v13
	v_mov_b32_e32 v56, 0
	v_mov_b32_e32 v60, 0
	v_mov_b32_e32 v50, 0
	v_mov_b32_e32 v48, 0
	v_sub_co_u32 v13, s1, 0, v13
	v_mov_b32_e32 v69, v47
	v_mov_b32_e32 v53, 0
	;; [unrolled: 1-line block ×5, first 2 shown]
	v_add_co_ci_u32_e64 v12, null, s13, v12, vcc_lo
	v_sub_co_ci_u32_e64 v14, null, 0, 0, s1
	v_mov_b32_e32 v63, 0
	v_mov_b32_e32 v57, 0
	;; [unrolled: 1-line block ×6, first 2 shown]
	s_mov_b32 s9, 0
.LBB174_15:                             ; =>This Inner Loop Header: Depth=1
	global_load_dword v31, v[11:12], off
	s_clause 0x3
	global_load_dwordx4 v[15:18], v[68:69], off
	global_load_dwordx4 v[19:22], v[68:69], off offset:32
	global_load_dwordx4 v[23:26], v[68:69], off offset:64
	;; [unrolled: 1-line block ×3, first 2 shown]
	v_add_co_u32 v11, s1, 0x100, v11
	v_add_co_ci_u32_e64 v12, null, 0, v12, s1
	s_waitcnt vmcnt(4)
	v_subrev_nc_u32_e32 v31, s2, v31
	s_waitcnt vmcnt(2)
	v_cvt_f64_f32_e32 v[94:95], v19
	v_cvt_f64_f32_e32 v[19:20], v20
	s_waitcnt vmcnt(1)
	v_cvt_f64_f32_e32 v[96:97], v23
	v_lshlrev_b32_e32 v31, 2, v31
	v_cvt_f64_f32_e32 v[23:24], v24
	s_waitcnt vmcnt(0)
	v_cvt_f64_f32_e32 v[98:99], v27
	v_cvt_f64_f32_e32 v[27:28], v28
	;; [unrolled: 1-line block ×3, first 2 shown]
	v_ashrrev_i32_e32 v32, 31, v31
	v_cvt_f64_f32_e32 v[21:22], v22
	v_cvt_f64_f32_e32 v[102:103], v25
	;; [unrolled: 1-line block ×4, first 2 shown]
	v_lshlrev_b64 v[31:32], 4, v[31:32]
	v_cvt_f64_f32_e32 v[29:30], v30
	v_add_co_u32 v39, vcc_lo, s6, v31
	v_add_co_ci_u32_e64 v40, null, s7, v32, vcc_lo
	s_clause 0x1
	global_load_dwordx4 v[31:34], v[39:40], off
	global_load_dwordx4 v[35:38], v[39:40], off offset:16
	s_clause 0x3
	global_load_dwordx4 v[70:73], v[68:69], off offset:16
	global_load_dwordx4 v[74:77], v[68:69], off offset:48
	global_load_dwordx4 v[78:81], v[68:69], off offset:80
	global_load_dwordx4 v[82:85], v[68:69], off offset:112
	s_clause 0x1
	global_load_dwordx4 v[86:89], v[39:40], off offset:32
	global_load_dwordx4 v[90:93], v[39:40], off offset:48
	v_cvt_f64_f32_e32 v[39:40], v15
	v_cvt_f64_f32_e32 v[15:16], v16
	v_add_co_u32 v68, vcc_lo, 0x2000, v68
	v_add_co_ci_u32_e64 v69, null, 0, v69, vcc_lo
	v_add_co_u32 v13, vcc_lo, v13, 1
	v_add_co_ci_u32_e64 v14, null, 0, v14, vcc_lo
	;; [unrolled: 2-line block ×3, first 2 shown]
	v_cmp_eq_u64_e32 vcc_lo, 0, v[13:14]
	s_or_b32 s9, vcc_lo, s9
	s_waitcnt vmcnt(7)
	v_fma_f64 v[58:59], v[39:40], v[31:32], v[58:59]
	v_fma_f64 v[52:53], v[15:16], v[31:32], v[52:53]
	;; [unrolled: 1-line block ×8, first 2 shown]
	v_cvt_f64_f32_e32 v[50:51], v17
	v_cvt_f64_f32_e32 v[17:18], v18
	v_fma_f64 v[15:16], -v[15:16], v[33:34], v[58:59]
	v_fma_f64 v[39:40], v[39:40], v[33:34], v[52:53]
	v_fma_f64 v[19:20], -v[19:20], v[33:34], v[62:63]
	v_fma_f64 v[52:53], v[94:95], v[33:34], v[54:55]
	;; [unrolled: 2-line block ×4, first 2 shown]
	s_waitcnt vmcnt(4)
	v_cvt_f64_f32_e32 v[56:57], v75
	s_waitcnt vmcnt(3)
	v_cvt_f64_f32_e32 v[58:59], v78
	v_cvt_f64_f32_e32 v[60:61], v79
	s_waitcnt vmcnt(2)
	v_cvt_f64_f32_e32 v[62:63], v82
	v_fma_f64 v[15:16], v[50:51], v[35:36], v[15:16]
	v_fma_f64 v[33:34], v[17:18], v[35:36], v[39:40]
	;; [unrolled: 1-line block ×8, first 2 shown]
	v_cvt_f64_f32_e32 v[35:36], v70
	v_cvt_f64_f32_e32 v[52:53], v71
	;; [unrolled: 1-line block ×5, first 2 shown]
	v_fma_f64 v[15:16], -v[17:18], v[37:38], v[15:16]
	v_fma_f64 v[17:18], v[50:51], v[37:38], v[33:34]
	v_fma_f64 v[19:20], -v[21:22], v[37:38], v[19:20]
	v_fma_f64 v[21:22], v[100:101], v[37:38], v[39:40]
	;; [unrolled: 2-line block ×4, first 2 shown]
	v_cvt_f64_f32_e32 v[31:32], v72
	v_cvt_f64_f32_e32 v[33:34], v73
	;; [unrolled: 1-line block ×7, first 2 shown]
	s_waitcnt vmcnt(1)
	v_fma_f64 v[15:16], v[35:36], v[86:87], v[15:16]
	v_fma_f64 v[17:18], v[52:53], v[86:87], v[17:18]
	;; [unrolled: 1-line block ×8, first 2 shown]
	v_fma_f64 v[15:16], -v[52:53], v[88:89], v[15:16]
	v_fma_f64 v[17:18], v[35:36], v[88:89], v[17:18]
	v_fma_f64 v[19:20], -v[56:57], v[88:89], v[19:20]
	v_fma_f64 v[21:22], v[54:55], v[88:89], v[21:22]
	;; [unrolled: 2-line block ×4, first 2 shown]
	s_waitcnt vmcnt(0)
	v_fma_f64 v[15:16], v[31:32], v[90:91], v[15:16]
	v_fma_f64 v[17:18], v[33:34], v[90:91], v[17:18]
	;; [unrolled: 1-line block ×8, first 2 shown]
	v_fma_f64 v[58:59], -v[33:34], v[92:93], v[15:16]
	v_fma_f64 v[52:53], v[31:32], v[92:93], v[17:18]
	v_fma_f64 v[62:63], -v[39:40], v[92:93], v[19:20]
	v_fma_f64 v[54:55], v[37:38], v[92:93], v[21:22]
	;; [unrolled: 2-line block ×4, first 2 shown]
	s_andn2_b32 exec_lo, exec_lo, s9
	s_cbranch_execnz .LBB174_15
; %bb.16:
	s_or_b32 exec_lo, exec_lo, s9
.LBB174_17:
	s_or_b32 exec_lo, exec_lo, s8
	s_mov_b32 s8, exec_lo
	v_cmpx_lt_u64_e32 0xbf, v[9:10]
	s_cbranch_execz .LBB174_21
; %bb.18:
	v_lshlrev_b64 v[9:10], 2, v[66:67]
	s_mov_b32 s9, 0
	v_add_co_u32 v9, vcc_lo, s12, v9
	v_add_co_ci_u32_e64 v10, null, s13, v10, vcc_lo
	v_add_co_u32 v70, vcc_lo, 0x200, v9
	v_add_co_ci_u32_e64 v71, null, 0, v10, vcc_lo
.LBB174_19:                             ; =>This Inner Loop Header: Depth=1
	s_clause 0x1
	global_load_dword v9, v[70:71], off offset:-512
	global_load_dword v13, v[70:71], off offset:-256
	s_clause 0x3
	global_load_dwordx4 v[72:75], v[68:69], off
	global_load_dwordx4 v[76:79], v[68:69], off offset:32
	global_load_dwordx4 v[80:83], v[68:69], off offset:64
	;; [unrolled: 1-line block ×3, first 2 shown]
	s_clause 0x1
	global_load_dword v200, v[70:71], off
	global_load_dword v206, v[70:71], off offset:256
	s_waitcnt vmcnt(7)
	v_subrev_nc_u32_e32 v9, s2, v9
	s_waitcnt vmcnt(5)
	v_cvt_f64_f32_e32 v[180:181], v72
	v_cvt_f64_f32_e32 v[182:183], v73
	;; [unrolled: 1-line block ×3, first 2 shown]
	v_lshlrev_b32_e32 v9, 2, v9
	v_cvt_f64_f32_e32 v[186:187], v75
	s_waitcnt vmcnt(4)
	v_cvt_f64_f32_e32 v[188:189], v76
	v_cvt_f64_f32_e32 v[190:191], v77
	s_waitcnt vmcnt(3)
	v_cvt_f64_f32_e32 v[196:197], v80
	v_ashrrev_i32_e32 v10, 31, v9
	v_cvt_f64_f32_e32 v[80:81], v81
	s_waitcnt vmcnt(1)
	v_subrev_nc_u32_e32 v76, s2, v200
	v_cvt_f64_f32_e32 v[200:201], v84
	v_cvt_f64_f32_e32 v[84:85], v85
	v_lshlrev_b64 v[9:10], 4, v[9:10]
	v_cvt_f64_f32_e32 v[192:193], v78
	v_cvt_f64_f32_e32 v[194:195], v79
	v_lshlrev_b32_e32 v204, 2, v76
	v_cvt_f64_f32_e32 v[198:199], v82
	v_cvt_f64_f32_e32 v[82:83], v83
	v_add_co_u32 v9, vcc_lo, s6, v9
	v_add_co_ci_u32_e64 v10, null, s7, v10, vcc_lo
	v_add_co_u32 v11, vcc_lo, 0x2000, v68
	v_add_co_ci_u32_e64 v12, null, 0, v69, vcc_lo
	s_clause 0x1
	global_load_dwordx4 v[88:91], v[9:10], off
	global_load_dwordx4 v[92:95], v[9:10], off offset:16
	s_clause 0x3
	global_load_dwordx4 v[96:99], v[68:69], off offset:16
	global_load_dwordx4 v[100:103], v[68:69], off offset:48
	;; [unrolled: 1-line block ×5, first 2 shown]
	global_load_dwordx4 v[116:119], v[11:12], off
	global_load_dwordx4 v[120:123], v[9:10], off offset:48
	s_clause 0x2
	global_load_dwordx4 v[124:127], v[11:12], off offset:32
	global_load_dwordx4 v[128:131], v[11:12], off offset:64
	;; [unrolled: 1-line block ×3, first 2 shown]
	v_subrev_nc_u32_e32 v9, s2, v13
	v_ashrrev_i32_e32 v205, 31, v204
	v_cvt_f64_f32_e32 v[202:203], v86
	v_cvt_f64_f32_e32 v[86:87], v87
	v_lshlrev_b32_e32 v9, 2, v9
	v_ashrrev_i32_e32 v10, 31, v9
	v_lshlrev_b64 v[9:10], 4, v[9:10]
	v_add_co_u32 v176, vcc_lo, s6, v9
	v_add_co_ci_u32_e64 v177, null, s7, v10, vcc_lo
	v_add_co_u32 v9, vcc_lo, 0x4000, v68
	v_add_co_ci_u32_e64 v10, null, 0, v69, vcc_lo
	s_clause 0x1
	global_load_dwordx4 v[136:139], v[176:177], off
	global_load_dwordx4 v[140:143], v[176:177], off offset:16
	v_add_co_u32 v178, vcc_lo, 0x6000, v68
	v_add_co_ci_u32_e64 v179, null, 0, v69, vcc_lo
	s_clause 0xf
	global_load_dwordx4 v[144:147], v[11:12], off offset:16
	global_load_dwordx4 v[148:151], v[11:12], off offset:48
	;; [unrolled: 1-line block ×6, first 2 shown]
	global_load_dwordx4 v[164:167], v[9:10], off
	global_load_dwordx4 v[37:40], v[9:10], off offset:16
	global_load_dwordx4 v[29:32], v[9:10], off offset:112
	;; [unrolled: 1-line block ×5, first 2 shown]
	global_load_dwordx4 v[13:16], v[178:179], off
	global_load_dwordx4 v[9:12], v[178:179], off offset:48
	global_load_dwordx4 v[17:20], v[178:179], off offset:32
	;; [unrolled: 1-line block ×3, first 2 shown]
	s_clause 0x1
	global_load_dwordx4 v[72:75], v[176:177], off offset:32
	global_load_dwordx4 v[76:79], v[176:177], off offset:48
	v_add_co_u32 v68, s1, 0x8000, v68
	v_add_co_ci_u32_e64 v69, null, 0, v69, s1
	s_waitcnt vmcnt(31)
	v_fma_f64 v[58:59], v[180:181], v[88:89], v[58:59]
	v_fma_f64 v[52:53], v[182:183], v[88:89], v[52:53]
	;; [unrolled: 1-line block ×8, first 2 shown]
	v_lshlrev_b64 v[88:89], 4, v[204:205]
	v_add_co_u32 v88, vcc_lo, s6, v88
	v_add_co_ci_u32_e64 v89, null, s7, v89, vcc_lo
	v_fma_f64 v[58:59], -v[182:183], v[90:91], v[58:59]
	v_fma_f64 v[52:53], v[180:181], v[90:91], v[52:53]
	v_fma_f64 v[62:63], -v[190:191], v[90:91], v[62:63]
	v_fma_f64 v[54:55], v[188:189], v[90:91], v[54:55]
	;; [unrolled: 2-line block ×4, first 2 shown]
	global_load_dwordx4 v[48:51], v[88:89], off
	s_waitcnt vmcnt(29)
	v_cvt_f64_f32_e32 v[188:189], v100
	v_cvt_f64_f32_e32 v[100:101], v101
	s_waitcnt vmcnt(27)
	v_cvt_f64_f32_e32 v[190:191], v108
	v_cvt_f64_f32_e32 v[108:109], v109
	s_waitcnt vmcnt(25)
	v_cvt_f64_f32_e32 v[196:197], v118
	v_fma_f64 v[90:91], v[184:185], v[92:93], v[58:59]
	v_fma_f64 v[176:177], v[186:187], v[92:93], v[52:53]
	v_fma_f64 v[62:63], v[192:193], v[92:93], v[62:63]
	v_fma_f64 v[180:181], v[194:195], v[92:93], v[54:55]
	v_fma_f64 v[60:61], v[198:199], v[92:93], v[60:61]
	v_fma_f64 v[182:183], v[82:83], v[92:93], v[56:57]
	v_fma_f64 v[80:81], v[202:203], v[92:93], v[80:81]
	v_fma_f64 v[84:85], v[86:87], v[92:93], v[84:85]
	v_cvt_f64_f32_e32 v[92:93], v96
	v_cvt_f64_f32_e32 v[96:97], v97
	s_clause 0x1
	global_load_dwordx4 v[52:55], v[178:179], off offset:96
	global_load_dwordx4 v[56:59], v[178:179], off offset:64
	v_fma_f64 v[90:91], -v[186:187], v[94:95], v[90:91]
	v_fma_f64 v[176:177], v[184:185], v[94:95], v[176:177]
	v_cvt_f64_f32_e32 v[184:185], v104
	v_fma_f64 v[186:187], -v[194:195], v[94:95], v[62:63]
	v_cvt_f64_f32_e32 v[104:105], v105
	v_fma_f64 v[180:181], v[192:193], v[94:95], v[180:181]
	v_fma_f64 v[82:83], -v[82:83], v[94:95], v[60:61]
	v_fma_f64 v[182:183], v[198:199], v[94:95], v[182:183]
	v_fma_f64 v[80:81], -v[86:87], v[94:95], v[80:81]
	v_fma_f64 v[84:85], v[202:203], v[94:95], v[84:85]
	global_load_dwordx4 v[60:63], v[88:89], off offset:16
	v_cvt_f64_f32_e32 v[86:87], v98
	v_cvt_f64_f32_e32 v[94:95], v99
	;; [unrolled: 1-line block ×6, first 2 shown]
	v_subrev_nc_u32_e32 v198, s2, v206
	v_fma_f64 v[90:91], v[92:93], v[112:113], v[90:91]
	v_fma_f64 v[98:99], v[96:97], v[112:113], v[176:177]
	;; [unrolled: 1-line block ×3, first 2 shown]
	v_cvt_f64_f32_e32 v[186:187], v106
	v_fma_f64 v[180:181], v[100:101], v[112:113], v[180:181]
	v_fma_f64 v[82:83], v[184:185], v[112:113], v[82:83]
	;; [unrolled: 1-line block ×5, first 2 shown]
	v_cvt_f64_f32_e32 v[112:113], v102
	v_cvt_f64_f32_e32 v[102:103], v103
	v_cvt_f64_f32_e32 v[106:107], v107
	v_fma_f64 v[90:91], -v[96:97], v[114:115], v[90:91]
	v_fma_f64 v[92:93], v[92:93], v[114:115], v[98:99]
	v_fma_f64 v[96:97], -v[100:101], v[114:115], v[176:177]
	s_waitcnt vmcnt(25)
	v_cvt_f64_f32_e32 v[176:177], v128
	v_fma_f64 v[98:99], v[188:189], v[114:115], v[180:181]
	v_fma_f64 v[100:101], -v[104:105], v[114:115], v[82:83]
	v_fma_f64 v[104:105], v[184:185], v[114:115], v[182:183]
	v_fma_f64 v[108:109], -v[108:109], v[114:115], v[80:81]
	v_fma_f64 v[84:85], v[190:191], v[114:115], v[84:85]
	global_load_dwordx4 v[80:83], v[88:89], off offset:32
	v_cvt_f64_f32_e32 v[114:115], v119
	v_cvt_f64_f32_e32 v[118:119], v124
	;; [unrolled: 1-line block ×3, first 2 shown]
	s_waitcnt vmcnt(25)
	v_cvt_f64_f32_e32 v[182:183], v132
	v_cvt_f64_f32_e32 v[132:133], v133
	;; [unrolled: 1-line block ×5, first 2 shown]
	v_fma_f64 v[90:91], v[86:87], v[120:121], v[90:91]
	v_fma_f64 v[92:93], v[94:95], v[120:121], v[92:93]
	;; [unrolled: 1-line block ×8, first 2 shown]
	v_cvt_f64_f32_e32 v[120:121], v125
	v_cvt_f64_f32_e32 v[124:125], v126
	;; [unrolled: 1-line block ×3, first 2 shown]
	v_fma_f64 v[90:91], -v[94:95], v[122:123], v[90:91]
	v_fma_f64 v[92:93], v[86:87], v[122:123], v[92:93]
	v_fma_f64 v[94:95], -v[102:103], v[122:123], v[96:97]
	v_fma_f64 v[96:97], v[112:113], v[122:123], v[98:99]
	;; [unrolled: 2-line block ×4, first 2 shown]
	global_load_dwordx4 v[84:87], v[88:89], off offset:48
	v_lshlrev_b32_e32 v108, 2, v198
	v_cvt_f64_f32_e32 v[106:107], v135
	s_waitcnt vmcnt(23)
	v_cvt_f64_f32_e32 v[112:113], v144
	s_waitcnt vmcnt(21)
	v_cvt_f64_f32_e32 v[122:123], v152
	s_waitcnt vmcnt(20)
	v_cvt_f64_f32_e32 v[134:135], v157
	v_ashrrev_i32_e32 v109, 31, v108
	v_fma_f64 v[88:89], v[194:195], v[136:137], v[90:91]
	v_fma_f64 v[90:91], v[116:117], v[136:137], v[92:93]
	v_fma_f64 v[92:93], v[118:119], v[136:137], v[94:95]
	v_fma_f64 v[94:95], v[120:121], v[136:137], v[96:97]
	v_fma_f64 v[96:97], v[176:177], v[136:137], v[98:99]
	v_fma_f64 v[98:99], v[128:129], v[136:137], v[100:101]
	v_fma_f64 v[100:101], v[182:183], v[136:137], v[102:103]
	v_fma_f64 v[102:103], v[132:133], v[136:137], v[104:105]
	v_lshlrev_b64 v[104:105], 4, v[108:109]
	v_cvt_f64_f32_e32 v[136:137], v146
	v_add_co_u32 v104, vcc_lo, s6, v104
	v_add_co_ci_u32_e64 v105, null, s7, v105, vcc_lo
	v_add_co_u32 v66, vcc_lo, 0x100, v66
	v_fma_f64 v[108:109], -v[116:117], v[138:139], v[88:89]
	v_fma_f64 v[110:111], v[194:195], v[138:139], v[90:91]
	global_load_dwordx4 v[88:91], v[104:105], off
	v_fma_f64 v[92:93], -v[120:121], v[138:139], v[92:93]
	v_cvt_f64_f32_e32 v[116:117], v145
	v_fma_f64 v[94:95], v[118:119], v[138:139], v[94:95]
	v_fma_f64 v[96:97], -v[128:129], v[138:139], v[96:97]
	v_fma_f64 v[98:99], v[176:177], v[138:139], v[98:99]
	v_fma_f64 v[100:101], -v[132:133], v[138:139], v[100:101]
	v_fma_f64 v[102:103], v[182:183], v[138:139], v[102:103]
	v_cvt_f64_f32_e32 v[118:119], v148
	v_cvt_f64_f32_e32 v[120:121], v149
	;; [unrolled: 1-line block ×8, first 2 shown]
	v_add_co_ci_u32_e64 v67, null, 0, v67, vcc_lo
	v_add_co_u32 v70, vcc_lo, 0x400, v70
	v_fma_f64 v[108:109], v[196:197], v[140:141], v[108:109]
	v_fma_f64 v[110:111], v[114:115], v[140:141], v[110:111]
	v_add_co_ci_u32_e64 v71, null, 0, v71, vcc_lo
	v_fma_f64 v[92:93], v[124:125], v[140:141], v[92:93]
	v_fma_f64 v[94:95], v[126:127], v[140:141], v[94:95]
	v_fma_f64 v[96:97], v[180:181], v[140:141], v[96:97]
	v_fma_f64 v[98:99], v[130:131], v[140:141], v[98:99]
	v_fma_f64 v[100:101], v[184:185], v[140:141], v[100:101]
	v_fma_f64 v[102:103], v[106:107], v[140:141], v[102:103]
	v_cvt_f64_f32_e32 v[140:141], v150
	v_cmp_ge_i64_e32 vcc_lo, v[66:67], v[44:45]
	s_or_b32 s9, vcc_lo, s9
	v_fma_f64 v[108:109], -v[114:115], v[142:143], v[108:109]
	v_fma_f64 v[110:111], v[196:197], v[142:143], v[110:111]
	v_fma_f64 v[114:115], -v[126:127], v[142:143], v[92:93]
	v_fma_f64 v[124:125], v[124:125], v[142:143], v[94:95]
	;; [unrolled: 2-line block ×4, first 2 shown]
	global_load_dwordx4 v[92:95], v[104:105], off offset:16
	global_load_dwordx4 v[96:99], v[178:179], off offset:16
	v_cvt_f64_f32_e32 v[142:143], v151
	v_cvt_f64_f32_e32 v[150:151], v159
	s_waitcnt vmcnt(10)
	v_fma_f64 v[106:107], v[112:113], v[72:73], v[108:109]
	v_fma_f64 v[108:109], v[116:117], v[72:73], v[110:111]
	v_fma_f64 v[110:111], v[118:119], v[72:73], v[114:115]
	v_fma_f64 v[114:115], v[120:121], v[72:73], v[124:125]
	v_fma_f64 v[124:125], v[122:123], v[72:73], v[126:127]
	v_fma_f64 v[126:127], v[128:129], v[72:73], v[130:131]
	v_fma_f64 v[130:131], v[132:133], v[72:73], v[100:101]
	v_fma_f64 v[72:73], v[134:135], v[72:73], v[102:103]
	global_load_dwordx4 v[100:103], v[178:179], off offset:80
	v_fma_f64 v[106:107], -v[116:117], v[74:75], v[106:107]
	v_fma_f64 v[108:109], v[112:113], v[74:75], v[108:109]
	v_fma_f64 v[110:111], -v[120:121], v[74:75], v[110:111]
	v_fma_f64 v[112:113], v[118:119], v[74:75], v[114:115]
	;; [unrolled: 2-line block ×4, first 2 shown]
	global_load_dwordx4 v[72:75], v[104:105], off offset:32
	v_cvt_f64_f32_e32 v[122:123], v165
	v_cvt_f64_f32_e32 v[124:125], v160
	;; [unrolled: 1-line block ×7, first 2 shown]
	s_waitcnt vmcnt(11)
	v_fma_f64 v[106:107], v[136:137], v[76:77], v[106:107]
	v_fma_f64 v[108:109], v[138:139], v[76:77], v[108:109]
	v_fma_f64 v[110:111], v[140:141], v[76:77], v[110:111]
	v_fma_f64 v[112:113], v[142:143], v[76:77], v[112:113]
	v_fma_f64 v[114:115], v[144:145], v[76:77], v[114:115]
	v_fma_f64 v[116:117], v[146:147], v[76:77], v[116:117]
	v_fma_f64 v[118:119], v[148:149], v[76:77], v[118:119]
	v_fma_f64 v[76:77], v[150:151], v[76:77], v[120:121]
	v_cvt_f64_f32_e32 v[120:121], v164
	v_fma_f64 v[106:107], -v[138:139], v[78:79], v[106:107]
	v_fma_f64 v[108:109], v[136:137], v[78:79], v[108:109]
	v_cvt_f64_f32_e32 v[138:139], v162
	v_fma_f64 v[110:111], -v[142:143], v[78:79], v[110:111]
	v_fma_f64 v[112:113], v[140:141], v[78:79], v[112:113]
	v_fma_f64 v[114:115], -v[146:147], v[78:79], v[114:115]
	v_fma_f64 v[116:117], v[144:145], v[78:79], v[116:117]
	;; [unrolled: 2-line block ×3, first 2 shown]
	global_load_dwordx4 v[76:79], v[104:105], off offset:48
	v_cvt_f64_f32_e32 v[140:141], v163
	v_cvt_f64_f32_e32 v[142:143], v174
	;; [unrolled: 1-line block ×5, first 2 shown]
	s_waitcnt vmcnt(11)
	v_fma_f64 v[104:105], v[120:121], v[48:49], v[106:107]
	v_fma_f64 v[106:107], v[122:123], v[48:49], v[108:109]
	;; [unrolled: 1-line block ×8, first 2 shown]
	v_cvt_f64_f32_e32 v[118:119], v166
	v_cvt_f64_f32_e32 v[136:137], v167
	v_fma_f64 v[104:105], -v[122:123], v[50:51], v[104:105]
	v_fma_f64 v[106:107], v[120:121], v[50:51], v[106:107]
	v_cvt_f64_f32_e32 v[120:121], v33
	v_cvt_f64_f32_e32 v[33:34], v34
	v_fma_f64 v[108:109], -v[126:127], v[50:51], v[108:109]
	v_fma_f64 v[110:111], v[124:125], v[50:51], v[110:111]
	v_fma_f64 v[112:113], -v[130:131], v[50:51], v[112:113]
	v_fma_f64 v[114:115], v[128:129], v[50:51], v[114:115]
	;; [unrolled: 2-line block ×3, first 2 shown]
	v_cvt_f64_f32_e32 v[122:123], v29
	v_cvt_f64_f32_e32 v[29:30], v30
	;; [unrolled: 1-line block ×4, first 2 shown]
	s_waitcnt vmcnt(8)
	v_fma_f64 v[50:51], v[118:119], v[60:61], v[104:105]
	v_fma_f64 v[104:105], v[136:137], v[60:61], v[106:107]
	;; [unrolled: 1-line block ×8, first 2 shown]
	v_cvt_f64_f32_e32 v[60:61], v37
	v_cvt_f64_f32_e32 v[37:38], v38
	;; [unrolled: 1-line block ×4, first 2 shown]
	v_fma_f64 v[50:51], -v[136:137], v[62:63], v[50:51]
	v_fma_f64 v[104:105], v[118:119], v[62:63], v[104:105]
	v_cvt_f64_f32_e32 v[118:119], v35
	v_cvt_f64_f32_e32 v[35:36], v36
	v_fma_f64 v[106:107], -v[140:141], v[62:63], v[106:107]
	v_fma_f64 v[108:109], v[138:139], v[62:63], v[108:109]
	v_fma_f64 v[110:111], -v[144:145], v[62:63], v[110:111]
	v_fma_f64 v[112:113], v[142:143], v[62:63], v[112:113]
	;; [unrolled: 2-line block ×3, first 2 shown]
	s_waitcnt vmcnt(7)
	v_fma_f64 v[50:51], v[60:61], v[80:81], v[50:51]
	v_fma_f64 v[62:63], v[37:38], v[80:81], v[104:105]
	;; [unrolled: 1-line block ×8, first 2 shown]
	v_cvt_f64_f32_e32 v[80:81], v39
	v_cvt_f64_f32_e32 v[39:40], v40
	;; [unrolled: 1-line block ×4, first 2 shown]
	v_fma_f64 v[37:38], -v[37:38], v[82:83], v[50:51]
	v_fma_f64 v[50:51], v[60:61], v[82:83], v[62:63]
	v_fma_f64 v[25:26], -v[25:26], v[82:83], v[104:105]
	v_fma_f64 v[60:61], v[116:117], v[82:83], v[106:107]
	;; [unrolled: 2-line block ×4, first 2 shown]
	v_cvt_f64_f32_e32 v[82:83], v13
	v_cvt_f64_f32_e32 v[13:14], v14
	;; [unrolled: 1-line block ×6, first 2 shown]
	s_waitcnt vmcnt(6)
	v_fma_f64 v[37:38], v[80:81], v[84:85], v[37:38]
	v_fma_f64 v[50:51], v[39:40], v[84:85], v[50:51]
	v_fma_f64 v[25:26], v[114:115], v[84:85], v[25:26]
	v_fma_f64 v[60:61], v[27:28], v[84:85], v[60:61]
	v_fma_f64 v[33:34], v[118:119], v[84:85], v[33:34]
	v_fma_f64 v[62:63], v[35:36], v[84:85], v[62:63]
	v_fma_f64 v[29:30], v[124:125], v[84:85], v[29:30]
	v_fma_f64 v[48:49], v[31:32], v[84:85], v[48:49]
	v_cvt_f64_f32_e32 v[84:85], v17
	v_cvt_f64_f32_e32 v[17:18], v18
	v_fma_f64 v[37:38], -v[39:40], v[86:87], v[37:38]
	v_fma_f64 v[39:40], v[80:81], v[86:87], v[50:51]
	v_cvt_f64_f32_e32 v[50:51], v19
	v_cvt_f64_f32_e32 v[19:20], v20
	v_fma_f64 v[25:26], -v[27:28], v[86:87], v[25:26]
	v_fma_f64 v[27:28], v[114:115], v[86:87], v[60:61]
	v_fma_f64 v[33:34], -v[35:36], v[86:87], v[33:34]
	v_fma_f64 v[35:36], v[118:119], v[86:87], v[62:63]
	;; [unrolled: 2-line block ×3, first 2 shown]
	v_cvt_f64_f32_e32 v[48:49], v15
	v_cvt_f64_f32_e32 v[15:16], v16
	;; [unrolled: 1-line block ×6, first 2 shown]
	s_waitcnt vmcnt(5)
	v_fma_f64 v[37:38], v[82:83], v[88:89], v[37:38]
	v_fma_f64 v[39:40], v[13:14], v[88:89], v[39:40]
	v_fma_f64 v[25:26], v[84:85], v[88:89], v[25:26]
	v_fma_f64 v[27:28], v[17:18], v[88:89], v[27:28]
	v_fma_f64 v[33:34], v[104:105], v[88:89], v[33:34]
	v_fma_f64 v[35:36], v[56:57], v[88:89], v[35:36]
	v_fma_f64 v[29:30], v[106:107], v[88:89], v[29:30]
	v_fma_f64 v[31:32], v[52:53], v[88:89], v[31:32]
	v_fma_f64 v[13:14], -v[13:14], v[90:91], v[37:38]
	v_fma_f64 v[37:38], v[82:83], v[90:91], v[39:40]
	v_cvt_f64_f32_e32 v[82:83], v21
	v_cvt_f64_f32_e32 v[21:22], v22
	v_fma_f64 v[17:18], -v[17:18], v[90:91], v[25:26]
	v_fma_f64 v[25:26], v[84:85], v[90:91], v[27:28]
	v_fma_f64 v[27:28], -v[56:57], v[90:91], v[33:34]
	v_fma_f64 v[33:34], v[104:105], v[90:91], v[35:36]
	;; [unrolled: 2-line block ×3, first 2 shown]
	v_cvt_f64_f32_e32 v[52:53], v9
	v_cvt_f64_f32_e32 v[9:10], v10
	s_waitcnt vmcnt(3)
	v_cvt_f64_f32_e32 v[39:40], v97
	v_fma_f64 v[13:14], v[48:49], v[92:93], v[13:14]
	v_fma_f64 v[35:36], v[15:16], v[92:93], v[37:38]
	v_cvt_f64_f32_e32 v[37:38], v96
	v_fma_f64 v[17:18], v[50:51], v[92:93], v[17:18]
	v_fma_f64 v[25:26], v[19:20], v[92:93], v[25:26]
	;; [unrolled: 1-line block ×6, first 2 shown]
	s_waitcnt vmcnt(2)
	v_cvt_f64_f32_e32 v[56:57], v100
	v_cvt_f64_f32_e32 v[80:81], v101
	v_fma_f64 v[13:14], -v[15:16], v[94:95], v[13:14]
	v_fma_f64 v[15:16], v[48:49], v[94:95], v[35:36]
	v_fma_f64 v[17:18], -v[19:20], v[94:95], v[17:18]
	v_fma_f64 v[19:20], v[50:51], v[94:95], v[25:26]
	;; [unrolled: 2-line block ×4, first 2 shown]
	v_cvt_f64_f32_e32 v[33:34], v98
	v_cvt_f64_f32_e32 v[35:36], v99
	;; [unrolled: 1-line block ×6, first 2 shown]
	s_waitcnt vmcnt(1)
	v_fma_f64 v[13:14], v[37:38], v[72:73], v[13:14]
	v_fma_f64 v[15:16], v[39:40], v[72:73], v[15:16]
	;; [unrolled: 1-line block ×8, first 2 shown]
	v_cvt_f64_f32_e32 v[72:73], v23
	v_cvt_f64_f32_e32 v[23:24], v24
	v_fma_f64 v[13:14], -v[39:40], v[74:75], v[13:14]
	v_fma_f64 v[15:16], v[37:38], v[74:75], v[15:16]
	v_fma_f64 v[9:10], -v[9:10], v[74:75], v[17:18]
	v_fma_f64 v[17:18], v[52:53], v[74:75], v[19:20]
	;; [unrolled: 2-line block ×4, first 2 shown]
	s_waitcnt vmcnt(0)
	v_fma_f64 v[13:14], v[33:34], v[76:77], v[13:14]
	v_fma_f64 v[15:16], v[35:36], v[76:77], v[15:16]
	;; [unrolled: 1-line block ×8, first 2 shown]
	v_fma_f64 v[58:59], -v[35:36], v[78:79], v[13:14]
	v_fma_f64 v[52:53], v[33:34], v[78:79], v[15:16]
	v_fma_f64 v[62:63], -v[11:12], v[78:79], v[9:10]
	v_fma_f64 v[54:55], v[48:49], v[78:79], v[17:18]
	;; [unrolled: 2-line block ×4, first 2 shown]
	s_andn2_b32 exec_lo, exec_lo, s9
	s_cbranch_execnz .LBB174_19
; %bb.20:
	s_or_b32 exec_lo, exec_lo, s9
.LBB174_21:
	s_or_b32 exec_lo, exec_lo, s8
.LBB174_22:
	s_or_b32 exec_lo, exec_lo, s3
	s_cbranch_execz .LBB174_24
	s_branch .LBB174_35
.LBB174_23:
                                        ; implicit-def: $vgpr52_vgpr53
                                        ; implicit-def: $vgpr58_vgpr59
                                        ; implicit-def: $vgpr54_vgpr55
                                        ; implicit-def: $vgpr62_vgpr63
                                        ; implicit-def: $vgpr56_vgpr57
                                        ; implicit-def: $vgpr60_vgpr61
                                        ; implicit-def: $vgpr50_vgpr51
                                        ; implicit-def: $vgpr48_vgpr49
.LBB174_24:
	v_mov_b32_e32 v52, 0
	v_mov_b32_e32 v58, 0
	;; [unrolled: 1-line block ×16, first 2 shown]
	s_and_saveexec_b32 s1, s0
	s_cbranch_execz .LBB174_34
; %bb.25:
	v_or_b32_e32 v9, 64, v0
	v_not_b32_e32 v13, v64
	v_not_b32_e32 v11, v65
	v_mov_b32_e32 v48, 0
	v_mov_b32_e32 v50, 0
	v_sub_co_u32 v9, s0, v9, s2
	v_sub_co_ci_u32_e64 v10, null, 0, 0, s0
	v_sub_co_u32 v14, s0, s2, v0
	v_add_co_u32 v9, vcc_lo, v9, v64
	v_add_co_ci_u32_e64 v10, null, v10, v65, vcc_lo
	v_sub_co_ci_u32_e64 v15, null, 0, 0, s0
	v_add_co_u32 v13, s0, v14, v13
	v_cmp_gt_i64_e32 vcc_lo, v[9:10], v[44:45]
	v_add_co_ci_u32_e64 v11, null, v15, v11, s0
	v_mov_b32_e32 v60, 0
	v_mov_b32_e32 v56, 0
	;; [unrolled: 1-line block ×3, first 2 shown]
	v_cndmask_b32_e32 v9, v44, v9, vcc_lo
	v_cndmask_b32_e32 v10, v45, v10, vcc_lo
	v_mov_b32_e32 v54, 0
	v_mov_b32_e32 v58, 0
	;; [unrolled: 1-line block ×3, first 2 shown]
	v_add_co_u32 v9, vcc_lo, v13, v9
	v_mov_b32_e32 v12, 0
	v_mov_b32_e32 v49, 0
	;; [unrolled: 1-line block ×4, first 2 shown]
	v_add_co_ci_u32_e64 v10, null, v11, v10, vcc_lo
	v_and_b32_e32 v11, 0xc0, v9
	v_mov_b32_e32 v57, 0
	v_mov_b32_e32 v63, 0
	;; [unrolled: 1-line block ×5, first 2 shown]
	s_mov_b32 s3, exec_lo
	v_cmpx_ne_u64_e32 0xc0, v[11:12]
	s_cbranch_execz .LBB174_29
; %bb.26:
	v_lshrrev_b32_e32 v13, 6, v9
	v_lshlrev_b64 v[11:12], 2, v[42:43]
	v_mov_b32_e32 v52, 0
	v_mov_b32_e32 v58, 0
	;; [unrolled: 1-line block ×3, first 2 shown]
	v_add_nc_u32_e32 v13, 1, v13
	v_mov_b32_e32 v62, 0
	v_add_co_u32 v11, vcc_lo, s12, v11
	v_mov_b32_e32 v56, 0
	v_and_b32_e32 v13, 3, v13
	v_mov_b32_e32 v60, 0
	v_mov_b32_e32 v50, 0
	;; [unrolled: 1-line block ×4, first 2 shown]
	v_sub_co_u32 v13, s0, 0, v13
	v_mov_b32_e32 v59, 0
	v_mov_b32_e32 v55, 0
	v_add_co_ci_u32_e64 v12, null, s13, v12, vcc_lo
	v_mov_b32_e32 v63, 0
	v_mov_b32_e32 v57, 0
	v_mov_b32_e32 v61, 0
	v_mov_b32_e32 v51, 0
	v_mov_b32_e32 v49, 0
	v_sub_co_ci_u32_e64 v14, null, 0, 0, s0
	s_mov_b32 s8, 0
.LBB174_27:                             ; =>This Inner Loop Header: Depth=1
	global_load_dword v23, v[11:12], off
	s_clause 0x1
	global_load_dwordx4 v[15:18], v[46:47], off offset:16
	global_load_dwordx4 v[19:22], v[46:47], off
	v_add_co_u32 v11, s0, 0x100, v11
	v_add_co_ci_u32_e64 v12, null, 0, v12, s0
	s_waitcnt vmcnt(2)
	v_subrev_nc_u32_e32 v23, s2, v23
	s_waitcnt vmcnt(1)
	v_cvt_f64_f32_e32 v[90:91], v15
	s_waitcnt vmcnt(0)
	v_cvt_f64_f32_e32 v[88:89], v21
	v_cvt_f64_f32_e32 v[21:22], v22
	;; [unrolled: 1-line block ×3, first 2 shown]
	v_lshlrev_b32_e32 v23, 2, v23
	v_cvt_f64_f32_e32 v[92:93], v17
	v_cvt_f64_f32_e32 v[17:18], v18
	v_ashrrev_i32_e32 v24, 31, v23
	v_lshlrev_b64 v[23:24], 4, v[23:24]
	v_add_co_u32 v39, vcc_lo, s6, v23
	v_add_co_ci_u32_e64 v40, null, s7, v24, vcc_lo
	s_clause 0x1
	global_load_dwordx4 v[23:26], v[39:40], off
	global_load_dwordx4 v[27:30], v[39:40], off offset:16
	s_clause 0x3
	global_load_dwordx4 v[31:34], v[46:47], off offset:32
	global_load_dwordx4 v[35:38], v[46:47], off offset:48
	;; [unrolled: 1-line block ×4, first 2 shown]
	s_clause 0x1
	global_load_dwordx4 v[72:75], v[39:40], off offset:32
	global_load_dwordx4 v[76:79], v[39:40], off offset:48
	s_clause 0x1
	global_load_dwordx4 v[80:83], v[46:47], off offset:96
	global_load_dwordx4 v[84:87], v[46:47], off offset:112
	v_cvt_f64_f32_e32 v[39:40], v19
	v_cvt_f64_f32_e32 v[19:20], v20
	v_add_co_u32 v46, vcc_lo, 0x2000, v46
	v_add_co_ci_u32_e64 v47, null, 0, v47, vcc_lo
	v_add_co_u32 v13, vcc_lo, v13, 1
	v_add_co_ci_u32_e64 v14, null, 0, v14, vcc_lo
	;; [unrolled: 2-line block ×3, first 2 shown]
	v_cmp_eq_u64_e32 vcc_lo, 0, v[13:14]
	s_or_b32 s8, vcc_lo, s8
	s_waitcnt vmcnt(9)
	v_fma_f64 v[58:59], v[39:40], v[23:24], v[58:59]
	v_fma_f64 v[52:53], v[19:20], v[23:24], v[52:53]
	;; [unrolled: 1-line block ×8, first 2 shown]
	s_waitcnt vmcnt(7)
	v_cvt_f64_f32_e32 v[50:51], v31
	v_cvt_f64_f32_e32 v[31:32], v32
	;; [unrolled: 1-line block ×4, first 2 shown]
	s_waitcnt vmcnt(6)
	v_cvt_f64_f32_e32 v[96:97], v35
	v_cvt_f64_f32_e32 v[35:36], v36
	;; [unrolled: 1-line block ×4, first 2 shown]
	v_fma_f64 v[19:20], -v[19:20], v[25:26], v[58:59]
	v_fma_f64 v[39:40], v[39:40], v[25:26], v[52:53]
	v_fma_f64 v[21:22], -v[21:22], v[25:26], v[62:63]
	v_fma_f64 v[52:53], v[88:89], v[25:26], v[54:55]
	;; [unrolled: 2-line block ×4, first 2 shown]
	s_waitcnt vmcnt(5)
	v_cvt_f64_f32_e32 v[56:57], v67
	s_waitcnt vmcnt(4)
	v_cvt_f64_f32_e32 v[58:59], v68
	v_cvt_f64_f32_e32 v[60:61], v69
	;; [unrolled: 1-line block ×3, first 2 shown]
	s_waitcnt vmcnt(0)
	v_cvt_f64_f32_e32 v[68:69], v87
	v_fma_f64 v[19:20], v[50:51], v[27:28], v[19:20]
	v_fma_f64 v[25:26], v[31:32], v[27:28], v[39:40]
	;; [unrolled: 1-line block ×8, first 2 shown]
	v_cvt_f64_f32_e32 v[27:28], v64
	v_cvt_f64_f32_e32 v[52:53], v65
	;; [unrolled: 1-line block ×5, first 2 shown]
	v_fma_f64 v[19:20], -v[31:32], v[29:30], v[19:20]
	v_fma_f64 v[25:26], v[50:51], v[29:30], v[25:26]
	v_fma_f64 v[21:22], -v[33:34], v[29:30], v[21:22]
	v_fma_f64 v[31:32], v[94:95], v[29:30], v[39:40]
	;; [unrolled: 2-line block ×4, first 2 shown]
	v_cvt_f64_f32_e32 v[35:36], v81
	v_cvt_f64_f32_e32 v[37:38], v82
	;; [unrolled: 1-line block ×5, first 2 shown]
	v_fma_f64 v[19:20], v[27:28], v[72:73], v[19:20]
	v_fma_f64 v[25:26], v[52:53], v[72:73], v[25:26]
	;; [unrolled: 1-line block ×8, first 2 shown]
	v_cvt_f64_f32_e32 v[33:34], v80
	v_fma_f64 v[19:20], -v[52:53], v[74:75], v[19:20]
	v_fma_f64 v[25:26], v[27:28], v[74:75], v[25:26]
	v_fma_f64 v[21:22], -v[56:57], v[74:75], v[21:22]
	v_fma_f64 v[27:28], v[54:55], v[74:75], v[29:30]
	;; [unrolled: 2-line block ×4, first 2 shown]
	v_fma_f64 v[19:20], v[33:34], v[76:77], v[19:20]
	v_fma_f64 v[25:26], v[35:36], v[76:77], v[25:26]
	;; [unrolled: 1-line block ×8, first 2 shown]
	v_fma_f64 v[58:59], -v[35:36], v[78:79], v[19:20]
	v_fma_f64 v[52:53], v[33:34], v[78:79], v[25:26]
	v_fma_f64 v[62:63], -v[39:40], v[78:79], v[21:22]
	v_fma_f64 v[54:55], v[37:38], v[78:79], v[27:28]
	;; [unrolled: 2-line block ×4, first 2 shown]
	s_andn2_b32 exec_lo, exec_lo, s8
	s_cbranch_execnz .LBB174_27
; %bb.28:
	s_or_b32 exec_lo, exec_lo, s8
.LBB174_29:
	s_or_b32 exec_lo, exec_lo, s3
	s_mov_b32 s3, exec_lo
	v_cmpx_lt_u64_e32 0xbf, v[9:10]
	s_cbranch_execz .LBB174_33
; %bb.30:
	v_lshlrev_b64 v[9:10], 2, v[42:43]
	s_mov_b32 s8, 0
	v_add_co_u32 v9, vcc_lo, s12, v9
	v_add_co_ci_u32_e64 v10, null, s13, v10, vcc_lo
	v_add_co_u32 v9, vcc_lo, 0x200, v9
	v_add_co_ci_u32_e64 v10, null, 0, v10, vcc_lo
.LBB174_31:                             ; =>This Inner Loop Header: Depth=1
	s_clause 0x1
	global_load_dword v39, v[9:10], off offset:-512
	global_load_dword v124, v[9:10], off offset:-256
	s_clause 0x6
	global_load_dwordx4 v[11:14], v[46:47], off
	global_load_dwordx4 v[15:18], v[46:47], off offset:16
	global_load_dwordx4 v[19:22], v[46:47], off offset:32
	;; [unrolled: 1-line block ×6, first 2 shown]
	s_clause 0x1
	global_load_dword v188, v[9:10], off
	global_load_dword v189, v[9:10], off offset:256
	s_waitcnt vmcnt(10)
	v_subrev_nc_u32_e32 v39, s2, v39
	s_waitcnt vmcnt(9)
	v_subrev_nc_u32_e32 v130, s2, v124
	s_waitcnt vmcnt(8)
	v_cvt_f64_f32_e32 v[124:125], v12
	v_cvt_f64_f32_e32 v[126:127], v13
	;; [unrolled: 1-line block ×3, first 2 shown]
	v_lshlrev_b32_e32 v39, 2, v39
	s_waitcnt vmcnt(7)
	v_cvt_f64_f32_e32 v[132:133], v15
	v_cvt_f64_f32_e32 v[134:135], v16
	;; [unrolled: 1-line block ×4, first 2 shown]
	v_ashrrev_i32_e32 v40, 31, v39
	s_waitcnt vmcnt(5)
	v_cvt_f64_f32_e32 v[148:149], v23
	v_cvt_f64_f32_e32 v[150:151], v24
	;; [unrolled: 1-line block ×4, first 2 shown]
	v_lshlrev_b64 v[39:40], 4, v[39:40]
	v_cvt_f64_f32_e32 v[140:141], v19
	v_cvt_f64_f32_e32 v[142:143], v20
	s_waitcnt vmcnt(4)
	v_cvt_f64_f32_e32 v[156:157], v27
	v_cvt_f64_f32_e32 v[158:159], v28
	s_waitcnt vmcnt(2)
	v_cvt_f64_f32_e32 v[172:173], v35
	v_add_co_u32 v39, vcc_lo, s6, v39
	v_add_co_ci_u32_e64 v40, null, s7, v40, vcc_lo
	v_add_co_u32 v112, vcc_lo, 0x2000, v46
	v_add_co_ci_u32_e64 v113, null, 0, v47, vcc_lo
	global_load_dwordx4 v[64:67], v[39:40], off
	global_load_dwordx4 v[68:71], v[46:47], off offset:112
	global_load_dwordx4 v[72:75], v[39:40], off offset:16
	v_add_co_u32 v120, vcc_lo, 0x4000, v46
	v_add_co_ci_u32_e64 v121, null, 0, v47, vcc_lo
	global_load_dwordx4 v[76:79], v[39:40], off offset:32
	s_clause 0x4
	global_load_dwordx4 v[80:83], v[112:113], off
	global_load_dwordx4 v[84:87], v[112:113], off offset:16
	global_load_dwordx4 v[88:91], v[112:113], off offset:32
	;; [unrolled: 1-line block ×5, first 2 shown]
	s_clause 0x3
	global_load_dwordx4 v[104:107], v[112:113], off offset:80
	global_load_dwordx4 v[108:111], v[112:113], off offset:96
	;; [unrolled: 1-line block ×3, first 2 shown]
	global_load_dwordx4 v[116:119], v[120:121], off
	v_cvt_f64_f32_e32 v[39:40], v11
	v_lshlrev_b32_e32 v11, 2, v130
	v_add_co_u32 v122, vcc_lo, 0x6000, v46
	v_add_co_ci_u32_e64 v123, null, 0, v47, vcc_lo
	v_ashrrev_i32_e32 v12, 31, v11
	v_cvt_f64_f32_e32 v[174:175], v36
	v_cvt_f64_f32_e32 v[144:145], v21
	v_cvt_f64_f32_e32 v[146:147], v22
	v_cvt_f64_f32_e32 v[160:161], v29
	v_lshlrev_b64 v[11:12], 4, v[11:12]
	v_cvt_f64_f32_e32 v[162:163], v30
	v_cvt_f64_f32_e32 v[164:165], v31
	;; [unrolled: 1-line block ×5, first 2 shown]
	v_add_co_u32 v130, vcc_lo, s6, v11
	v_add_co_ci_u32_e64 v131, null, s7, v12, vcc_lo
	v_cvt_f64_f32_e32 v[176:177], v37
	s_waitcnt vmcnt(15)
	v_subrev_nc_u32_e32 v37, s2, v188
	v_cvt_f64_f32_e32 v[178:179], v38
	s_clause 0x1
	global_load_dwordx4 v[11:14], v[130:131], off
	global_load_dwordx4 v[15:18], v[130:131], off offset:16
	v_add_co_u32 v46, s0, 0x8000, v46
	v_add_co_ci_u32_e64 v47, null, 0, v47, s0
	s_waitcnt vmcnt(15)
	v_fma_f64 v[23:24], v[126:127], v[64:65], v[62:63]
	v_fma_f64 v[25:26], v[128:129], v[64:65], v[54:55]
	;; [unrolled: 1-line block ×8, first 2 shown]
	s_waitcnt vmcnt(14)
	v_cvt_f64_f32_e32 v[180:181], v68
	v_cvt_f64_f32_e32 v[182:183], v69
	;; [unrolled: 1-line block ×4, first 2 shown]
	v_fma_f64 v[54:55], -v[128:129], v[66:67], v[23:24]
	v_fma_f64 v[58:59], v[126:127], v[66:67], v[25:26]
	global_load_dwordx4 v[23:26], v[130:131], off offset:32
	v_fma_f64 v[56:57], -v[134:135], v[66:67], v[27:28]
	global_load_dwordx4 v[27:30], v[130:131], off offset:48
	v_fma_f64 v[60:61], v[136:137], v[66:67], v[35:36]
	v_lshlrev_b32_e32 v35, 2, v37
	v_fma_f64 v[52:53], -v[124:125], v[66:67], v[19:20]
	v_fma_f64 v[39:40], v[39:40], v[66:67], v[21:22]
	global_load_dwordx4 v[19:22], v[120:121], off offset:16
	v_fma_f64 v[48:49], v[132:133], v[66:67], v[31:32]
	v_ashrrev_i32_e32 v36, 31, v35
	v_fma_f64 v[50:51], -v[138:139], v[66:67], v[33:34]
	global_load_dwordx4 v[31:34], v[120:121], off offset:32
	s_waitcnt vmcnt(15)
	v_cvt_f64_f32_e32 v[126:127], v80
	v_cvt_f64_f32_e32 v[128:129], v81
	v_lshlrev_b64 v[35:36], 4, v[35:36]
	v_cvt_f64_f32_e32 v[130:131], v82
	v_cvt_f64_f32_e32 v[132:133], v83
	s_waitcnt vmcnt(14)
	v_cvt_f64_f32_e32 v[138:139], v84
	v_add_co_u32 v124, vcc_lo, s6, v35
	v_add_co_ci_u32_e64 v125, null, s7, v36, vcc_lo
	v_fma_f64 v[54:55], v[144:145], v[72:73], v[54:55]
	v_fma_f64 v[58:59], v[146:147], v[72:73], v[58:59]
	;; [unrolled: 1-line block ×3, first 2 shown]
	global_load_dwordx4 v[35:38], v[124:125], off
	v_fma_f64 v[52:53], v[140:141], v[72:73], v[52:53]
	v_fma_f64 v[39:40], v[142:143], v[72:73], v[39:40]
	;; [unrolled: 1-line block ×5, first 2 shown]
	global_load_dwordx4 v[48:51], v[120:121], off offset:48
	v_fma_f64 v[68:69], -v[146:147], v[74:75], v[54:55]
	v_fma_f64 v[70:71], v[144:145], v[74:75], v[58:59]
	v_fma_f64 v[72:73], -v[150:151], v[74:75], v[56:57]
	global_load_dwordx4 v[56:59], v[124:125], off offset:16
	v_fma_f64 v[66:67], -v[142:143], v[74:75], v[52:53]
	v_fma_f64 v[39:40], v[140:141], v[74:75], v[39:40]
	v_fma_f64 v[62:63], v[148:149], v[74:75], v[62:63]
	;; [unrolled: 1-line block ×3, first 2 shown]
	v_fma_f64 v[64:65], -v[154:155], v[74:75], v[64:65]
	global_load_dwordx4 v[52:55], v[120:121], off offset:64
	v_cvt_f64_f32_e32 v[142:143], v85
	v_cvt_f64_f32_e32 v[144:145], v86
	v_cvt_f64_f32_e32 v[146:147], v87
	s_waitcnt vmcnt(17)
	v_cvt_f64_f32_e32 v[148:149], v89
	v_cvt_f64_f32_e32 v[150:151], v90
	;; [unrolled: 1-line block ×3, first 2 shown]
	v_fma_f64 v[68:69], v[160:161], v[76:77], v[68:69]
	v_fma_f64 v[74:75], v[162:163], v[76:77], v[70:71]
	;; [unrolled: 1-line block ×8, first 2 shown]
	global_load_dwordx4 v[60:63], v[120:121], off offset:80
	v_fma_f64 v[136:137], -v[162:163], v[78:79], v[68:69]
	global_load_dwordx4 v[68:71], v[120:121], off offset:112
	v_fma_f64 v[140:141], -v[166:167], v[78:79], v[72:73]
	s_waitcnt vmcnt(13)
	v_cvt_f64_f32_e32 v[162:163], v115
	v_fma_f64 v[134:135], -v[158:159], v[78:79], v[66:67]
	v_fma_f64 v[39:40], v[156:157], v[78:79], v[39:40]
	global_load_dwordx4 v[64:67], v[120:121], off offset:96
	v_fma_f64 v[120:121], v[160:161], v[78:79], v[74:75]
	v_fma_f64 v[80:81], v[164:165], v[78:79], v[80:81]
	v_fma_f64 v[82:83], -v[170:171], v[78:79], v[82:83]
	v_fma_f64 v[76:77], v[168:169], v[78:79], v[76:77]
	global_load_dwordx4 v[72:75], v[124:125], off offset:32
	v_cvt_f64_f32_e32 v[156:157], v92
	v_cvt_f64_f32_e32 v[158:159], v93
	;; [unrolled: 1-line block ×3, first 2 shown]
	v_fma_f64 v[84:85], v[176:177], v[100:101], v[136:137]
	v_fma_f64 v[78:79], v[172:173], v[100:101], v[134:135]
	;; [unrolled: 1-line block ×8, first 2 shown]
	v_cvt_f64_f32_e32 v[140:141], v88
	global_load_dwordx4 v[80:83], v[122:123], off offset:16
	v_fma_f64 v[90:91], -v[178:179], v[102:103], v[84:85]
	v_subrev_nc_u32_e32 v84, s2, v189
	v_fma_f64 v[88:89], -v[174:175], v[102:103], v[78:79]
	v_fma_f64 v[39:40], v[172:173], v[102:103], v[39:40]
	global_load_dwordx4 v[76:79], v[122:123], off
	v_fma_f64 v[154:155], v[176:177], v[102:103], v[86:87]
	v_fma_f64 v[120:121], -v[182:183], v[102:103], v[120:121]
	v_fma_f64 v[92:93], v[180:181], v[102:103], v[134:135]
	v_fma_f64 v[136:137], -v[186:187], v[102:103], v[136:137]
	v_fma_f64 v[100:101], v[184:185], v[102:103], v[100:101]
	v_cvt_f64_f32_e32 v[134:135], v94
	v_lshlrev_b32_e32 v94, 2, v84
	global_load_dwordx4 v[84:87], v[124:125], off offset:48
	v_cvt_f64_f32_e32 v[102:103], v95
	v_ashrrev_i32_e32 v95, 31, v94
	s_waitcnt vmcnt(16)
	v_fma_f64 v[90:91], v[130:131], v[11:12], v[90:91]
	v_lshlrev_b64 v[94:95], 4, v[94:95]
	v_fma_f64 v[88:89], v[126:127], v[11:12], v[88:89]
	v_fma_f64 v[39:40], v[128:129], v[11:12], v[39:40]
	;; [unrolled: 1-line block ×7, first 2 shown]
	v_add_co_u32 v154, vcc_lo, s6, v94
	v_add_co_ci_u32_e64 v155, null, s7, v95, vcc_lo
	v_add_co_u32 v42, vcc_lo, 0x100, v42
	v_add_co_ci_u32_e64 v43, null, 0, v43, vcc_lo
	;; [unrolled: 2-line block ×3, first 2 shown]
	v_cmp_ge_i64_e32 vcc_lo, v[42:43], v[44:45]
	v_fma_f64 v[100:101], -v[128:129], v[13:14], v[88:89]
	v_fma_f64 v[39:40], v[126:127], v[13:14], v[39:40]
	v_fma_f64 v[126:127], -v[132:133], v[13:14], v[90:91]
	v_fma_f64 v[124:125], v[130:131], v[13:14], v[124:125]
	;; [unrolled: 2-line block ×4, first 2 shown]
	global_load_dwordx4 v[11:14], v[154:155], off
	global_load_dwordx4 v[88:91], v[122:123], off offset:32
	v_cvt_f64_f32_e32 v[136:137], v97
	v_cvt_f64_f32_e32 v[138:139], v98
	;; [unrolled: 1-line block ×7, first 2 shown]
	s_or_b32 s8, vcc_lo, s8
	s_waitcnt vmcnt(17)
	v_fma_f64 v[100:101], v[140:141], v[15:16], v[100:101]
	v_fma_f64 v[39:40], v[148:149], v[15:16], v[39:40]
	;; [unrolled: 1-line block ×8, first 2 shown]
	global_load_dwordx4 v[92:95], v[122:123], off offset:48
	v_cvt_f64_f32_e32 v[130:131], v96
	v_fma_f64 v[100:101], -v[148:149], v[17:18], v[100:101]
	v_fma_f64 v[39:40], v[140:141], v[17:18], v[39:40]
	v_fma_f64 v[126:127], -v[152:153], v[17:18], v[126:127]
	v_fma_f64 v[124:125], v[150:151], v[17:18], v[124:125]
	;; [unrolled: 2-line block ×4, first 2 shown]
	global_load_dwordx4 v[15:18], v[154:155], off offset:16
	global_load_dwordx4 v[96:99], v[122:123], off offset:64
	v_cvt_f64_f32_e32 v[148:149], v109
	v_cvt_f64_f32_e32 v[150:151], v110
	v_cvt_f64_f32_e32 v[152:153], v111
	v_cvt_f64_f32_e32 v[156:157], v112
	v_cvt_f64_f32_e32 v[158:159], v113
	s_waitcnt vmcnt(19)
	v_fma_f64 v[134:135], v[130:131], v[23:24], v[100:101]
	v_fma_f64 v[39:40], v[136:137], v[23:24], v[39:40]
	;; [unrolled: 1-line block ×8, first 2 shown]
	global_load_dwordx4 v[100:103], v[122:123], off offset:80
	v_cvt_f64_f32_e32 v[128:129], v108
	v_fma_f64 v[112:113], -v[136:137], v[25:26], v[134:135]
	v_fma_f64 v[39:40], v[130:131], v[25:26], v[39:40]
	v_fma_f64 v[114:115], -v[142:143], v[25:26], v[126:127]
	v_fma_f64 v[124:125], v[138:139], v[25:26], v[124:125]
	;; [unrolled: 2-line block ×4, first 2 shown]
	s_clause 0x1
	global_load_dwordx4 v[23:26], v[154:155], off offset:32
	global_load_dwordx4 v[104:107], v[154:155], off offset:48
	;; [unrolled: 1-line block ×3, first 2 shown]
	s_waitcnt vmcnt(21)
	v_cvt_f64_f32_e32 v[138:139], v19
	v_cvt_f64_f32_e32 v[19:20], v20
	;; [unrolled: 1-line block ×4, first 2 shown]
	s_waitcnt vmcnt(18)
	v_cvt_f64_f32_e32 v[142:143], v50
	v_cvt_f64_f32_e32 v[50:51], v51
	v_fma_f64 v[134:135], v[128:129], v[27:28], v[112:113]
	v_fma_f64 v[39:40], v[148:149], v[27:28], v[39:40]
	;; [unrolled: 1-line block ×8, first 2 shown]
	global_load_dwordx4 v[112:115], v[122:123], off offset:112
	v_cvt_f64_f32_e32 v[122:123], v116
	v_cvt_f64_f32_e32 v[116:117], v117
	;; [unrolled: 1-line block ×4, first 2 shown]
	v_fma_f64 v[134:135], -v[148:149], v[29:30], v[134:135]
	v_fma_f64 v[39:40], v[128:129], v[29:30], v[39:40]
	v_fma_f64 v[128:129], -v[152:153], v[29:30], v[136:137]
	v_fma_f64 v[124:125], v[150:151], v[29:30], v[124:125]
	v_fma_f64 v[120:121], -v[158:159], v[29:30], v[120:121]
	v_fma_f64 v[126:127], v[156:157], v[29:30], v[126:127]
	v_fma_f64 v[130:131], -v[162:163], v[29:30], v[130:131]
	v_fma_f64 v[27:28], v[160:161], v[29:30], v[27:28]
	v_cvt_f64_f32_e32 v[136:137], v48
	v_cvt_f64_f32_e32 v[48:49], v49
	v_fma_f64 v[29:30], v[122:123], v[35:36], v[134:135]
	v_fma_f64 v[39:40], v[116:117], v[35:36], v[39:40]
	;; [unrolled: 1-line block ×8, first 2 shown]
	v_cvt_f64_f32_e32 v[35:36], v31
	v_cvt_f64_f32_e32 v[31:32], v32
	;; [unrolled: 1-line block ×4, first 2 shown]
	v_fma_f64 v[29:30], -v[116:117], v[37:38], v[29:30]
	v_fma_f64 v[39:40], v[122:123], v[37:38], v[39:40]
	v_fma_f64 v[116:117], -v[118:119], v[37:38], v[128:129]
	v_fma_f64 v[118:119], v[132:133], v[37:38], v[124:125]
	;; [unrolled: 2-line block ×4, first 2 shown]
	s_waitcnt vmcnt(16)
	v_cvt_f64_f32_e32 v[122:123], v60
	v_cvt_f64_f32_e32 v[60:61], v61
	;; [unrolled: 1-line block ×4, first 2 shown]
	v_fma_f64 v[29:30], v[35:36], v[56:57], v[29:30]
	v_fma_f64 v[37:38], v[31:32], v[56:57], v[39:40]
	;; [unrolled: 1-line block ×8, first 2 shown]
	v_cvt_f64_f32_e32 v[56:57], v52
	v_cvt_f64_f32_e32 v[52:53], v53
	v_cvt_f64_f32_e32 v[120:121], v54
	v_cvt_f64_f32_e32 v[54:55], v55
	v_fma_f64 v[29:30], -v[31:32], v[58:59], v[29:30]
	v_fma_f64 v[31:32], v[35:36], v[58:59], v[37:38]
	v_fma_f64 v[33:34], -v[33:34], v[58:59], v[39:40]
	v_fma_f64 v[35:36], v[134:135], v[58:59], v[116:117]
	;; [unrolled: 2-line block ×4, first 2 shown]
	s_waitcnt vmcnt(14)
	v_cvt_f64_f32_e32 v[39:40], v64
	v_cvt_f64_f32_e32 v[48:49], v65
	;; [unrolled: 1-line block ×8, first 2 shown]
	s_waitcnt vmcnt(13)
	v_fma_f64 v[29:30], v[56:57], v[72:73], v[29:30]
	v_fma_f64 v[31:32], v[52:53], v[72:73], v[31:32]
	;; [unrolled: 1-line block ×8, first 2 shown]
	s_waitcnt vmcnt(12)
	v_cvt_f64_f32_e32 v[72:73], v81
	v_fma_f64 v[29:30], -v[52:53], v[74:75], v[29:30]
	v_fma_f64 v[31:32], v[56:57], v[74:75], v[31:32]
	v_fma_f64 v[33:34], -v[54:55], v[74:75], v[33:34]
	v_fma_f64 v[35:36], v[120:121], v[74:75], v[35:36]
	;; [unrolled: 2-line block ×4, first 2 shown]
	s_waitcnt vmcnt(11)
	v_cvt_f64_f32_e32 v[52:53], v76
	v_cvt_f64_f32_e32 v[54:55], v77
	v_cvt_f64_f32_e32 v[56:57], v78
	v_cvt_f64_f32_e32 v[60:61], v79
	v_cvt_f64_f32_e32 v[62:63], v80
	v_cvt_f64_f32_e32 v[74:75], v82
	v_cvt_f64_f32_e32 v[76:77], v83
	s_waitcnt vmcnt(10)
	v_fma_f64 v[29:30], v[39:40], v[84:85], v[29:30]
	v_fma_f64 v[31:32], v[48:49], v[84:85], v[31:32]
	;; [unrolled: 1-line block ×8, first 2 shown]
	v_fma_f64 v[29:30], -v[48:49], v[86:87], v[29:30]
	v_fma_f64 v[31:32], v[39:40], v[86:87], v[31:32]
	v_fma_f64 v[33:34], -v[58:59], v[86:87], v[33:34]
	v_fma_f64 v[35:36], v[50:51], v[86:87], v[35:36]
	;; [unrolled: 2-line block ×4, first 2 shown]
	s_waitcnt vmcnt(8)
	v_cvt_f64_f32_e32 v[39:40], v89
	v_cvt_f64_f32_e32 v[48:49], v90
	;; [unrolled: 1-line block ×3, first 2 shown]
	s_waitcnt vmcnt(7)
	v_cvt_f64_f32_e32 v[58:59], v92
	v_cvt_f64_f32_e32 v[64:65], v93
	;; [unrolled: 1-line block ×4, first 2 shown]
	v_fma_f64 v[29:30], v[52:53], v[11:12], v[29:30]
	v_fma_f64 v[31:32], v[54:55], v[11:12], v[31:32]
	;; [unrolled: 1-line block ×8, first 2 shown]
	v_cvt_f64_f32_e32 v[27:28], v88
	v_fma_f64 v[29:30], -v[54:55], v[13:14], v[29:30]
	v_fma_f64 v[31:32], v[52:53], v[13:14], v[31:32]
	v_fma_f64 v[33:34], -v[60:61], v[13:14], v[33:34]
	v_fma_f64 v[35:36], v[56:57], v[13:14], v[35:36]
	;; [unrolled: 2-line block ×4, first 2 shown]
	s_waitcnt vmcnt(5)
	v_cvt_f64_f32_e32 v[52:53], v98
	v_cvt_f64_f32_e32 v[54:55], v99
	v_fma_f64 v[13:14], v[27:28], v[15:16], v[29:30]
	v_fma_f64 v[29:30], v[39:40], v[15:16], v[31:32]
	;; [unrolled: 1-line block ×8, first 2 shown]
	v_cvt_f64_f32_e32 v[15:16], v96
	v_cvt_f64_f32_e32 v[37:38], v97
	s_waitcnt vmcnt(4)
	v_cvt_f64_f32_e32 v[56:57], v100
	v_cvt_f64_f32_e32 v[60:61], v101
	;; [unrolled: 1-line block ×4, first 2 shown]
	v_fma_f64 v[13:14], -v[39:40], v[17:18], v[13:14]
	v_fma_f64 v[27:28], v[27:28], v[17:18], v[29:30]
	v_fma_f64 v[29:30], -v[50:51], v[17:18], v[31:32]
	v_fma_f64 v[31:32], v[48:49], v[17:18], v[33:34]
	;; [unrolled: 2-line block ×4, first 2 shown]
	s_waitcnt vmcnt(1)
	v_cvt_f64_f32_e32 v[35:36], v110
	v_cvt_f64_f32_e32 v[39:40], v111
	v_fma_f64 v[13:14], v[15:16], v[23:24], v[13:14]
	v_fma_f64 v[17:18], v[37:38], v[23:24], v[27:28]
	;; [unrolled: 1-line block ×8, first 2 shown]
	v_cvt_f64_f32_e32 v[23:24], v108
	v_cvt_f64_f32_e32 v[33:34], v109
	s_waitcnt vmcnt(0)
	v_cvt_f64_f32_e32 v[48:49], v112
	v_cvt_f64_f32_e32 v[50:51], v113
	;; [unrolled: 1-line block ×4, first 2 shown]
	v_fma_f64 v[13:14], -v[37:38], v[25:26], v[13:14]
	v_fma_f64 v[15:16], v[15:16], v[25:26], v[17:18]
	v_fma_f64 v[17:18], -v[54:55], v[25:26], v[27:28]
	v_fma_f64 v[27:28], v[52:53], v[25:26], v[29:30]
	;; [unrolled: 2-line block ×4, first 2 shown]
	v_fma_f64 v[13:14], v[23:24], v[104:105], v[13:14]
	v_fma_f64 v[15:16], v[33:34], v[104:105], v[15:16]
	;; [unrolled: 1-line block ×8, first 2 shown]
	v_fma_f64 v[58:59], -v[33:34], v[106:107], v[13:14]
	v_fma_f64 v[52:53], v[23:24], v[106:107], v[15:16]
	v_fma_f64 v[62:63], -v[39:40], v[106:107], v[17:18]
	v_fma_f64 v[54:55], v[35:36], v[106:107], v[25:26]
	;; [unrolled: 2-line block ×4, first 2 shown]
	s_andn2_b32 exec_lo, exec_lo, s8
	s_cbranch_execnz .LBB174_31
; %bb.32:
	s_or_b32 exec_lo, exec_lo, s8
.LBB174_33:
	s_or_b32 exec_lo, exec_lo, s3
.LBB174_34:
	s_or_b32 exec_lo, exec_lo, s1
.LBB174_35:
	v_mbcnt_lo_u32_b32 v42, -1, 0
	v_or_b32_e32 v9, 32, v42
	v_xor_b32_e32 v25, 16, v42
	v_cmp_gt_i32_e32 vcc_lo, 32, v9
	v_cndmask_b32_e32 v9, v42, v9, vcc_lo
	v_cmp_gt_i32_e32 vcc_lo, 32, v25
	v_lshlrev_b32_e32 v24, 2, v9
	v_cndmask_b32_e32 v25, v42, v25, vcc_lo
	ds_bpermute_b32 v9, v24, v58
	ds_bpermute_b32 v10, v24, v59
	;; [unrolled: 1-line block ×16, first 2 shown]
	v_lshlrev_b32_e32 v40, 2, v25
	s_waitcnt lgkmcnt(14)
	v_add_f64 v[9:10], v[58:59], v[9:10]
	s_waitcnt lgkmcnt(12)
	v_add_f64 v[11:12], v[52:53], v[11:12]
	;; [unrolled: 2-line block ×8, first 2 shown]
	ds_bpermute_b32 v25, v40, v9
	ds_bpermute_b32 v26, v40, v10
	ds_bpermute_b32 v27, v40, v11
	ds_bpermute_b32 v28, v40, v12
	ds_bpermute_b32 v29, v40, v13
	ds_bpermute_b32 v30, v40, v14
	ds_bpermute_b32 v31, v40, v15
	ds_bpermute_b32 v32, v40, v16
	ds_bpermute_b32 v33, v40, v17
	ds_bpermute_b32 v34, v40, v18
	ds_bpermute_b32 v35, v40, v19
	ds_bpermute_b32 v36, v40, v20
	ds_bpermute_b32 v37, v40, v21
	ds_bpermute_b32 v38, v40, v22
	ds_bpermute_b32 v39, v40, v23
	ds_bpermute_b32 v40, v40, v24
	s_waitcnt lgkmcnt(14)
	v_add_f64 v[9:10], v[9:10], v[25:26]
	v_xor_b32_e32 v25, 8, v42
	s_waitcnt lgkmcnt(12)
	v_add_f64 v[11:12], v[11:12], v[27:28]
	s_waitcnt lgkmcnt(10)
	v_add_f64 v[13:14], v[13:14], v[29:30]
	v_cmp_gt_i32_e32 vcc_lo, 32, v25
	s_waitcnt lgkmcnt(8)
	v_add_f64 v[15:16], v[15:16], v[31:32]
	s_waitcnt lgkmcnt(6)
	v_add_f64 v[17:18], v[17:18], v[33:34]
	s_waitcnt lgkmcnt(4)
	v_add_f64 v[19:20], v[19:20], v[35:36]
	v_cndmask_b32_e32 v25, v42, v25, vcc_lo
	s_waitcnt lgkmcnt(2)
	v_add_f64 v[21:22], v[21:22], v[37:38]
	s_waitcnt lgkmcnt(0)
	v_add_f64 v[23:24], v[23:24], v[39:40]
	v_lshlrev_b32_e32 v40, 2, v25
	ds_bpermute_b32 v25, v40, v9
	ds_bpermute_b32 v26, v40, v10
	ds_bpermute_b32 v27, v40, v11
	ds_bpermute_b32 v28, v40, v12
	ds_bpermute_b32 v29, v40, v13
	ds_bpermute_b32 v30, v40, v14
	ds_bpermute_b32 v31, v40, v15
	ds_bpermute_b32 v32, v40, v16
	ds_bpermute_b32 v33, v40, v17
	ds_bpermute_b32 v34, v40, v18
	ds_bpermute_b32 v35, v40, v19
	ds_bpermute_b32 v36, v40, v20
	ds_bpermute_b32 v37, v40, v21
	ds_bpermute_b32 v38, v40, v22
	ds_bpermute_b32 v39, v40, v23
	ds_bpermute_b32 v40, v40, v24
	s_waitcnt lgkmcnt(14)
	v_add_f64 v[9:10], v[9:10], v[25:26]
	v_xor_b32_e32 v25, 4, v42
	s_waitcnt lgkmcnt(12)
	v_add_f64 v[11:12], v[11:12], v[27:28]
	s_waitcnt lgkmcnt(10)
	v_add_f64 v[13:14], v[13:14], v[29:30]
	v_cmp_gt_i32_e32 vcc_lo, 32, v25
	s_waitcnt lgkmcnt(8)
	v_add_f64 v[15:16], v[15:16], v[31:32]
	s_waitcnt lgkmcnt(6)
	v_add_f64 v[17:18], v[17:18], v[33:34]
	s_waitcnt lgkmcnt(4)
	v_add_f64 v[19:20], v[19:20], v[35:36]
	v_cndmask_b32_e32 v25, v42, v25, vcc_lo
	s_waitcnt lgkmcnt(2)
	v_add_f64 v[21:22], v[21:22], v[37:38]
	s_waitcnt lgkmcnt(0)
	v_add_f64 v[23:24], v[23:24], v[39:40]
	v_lshlrev_b32_e32 v40, 2, v25
	;; [unrolled: 36-line block ×3, first 2 shown]
	ds_bpermute_b32 v23, v40, v9
	ds_bpermute_b32 v24, v40, v10
	;; [unrolled: 1-line block ×16, first 2 shown]
	s_waitcnt lgkmcnt(14)
	v_add_f64 v[9:10], v[9:10], v[23:24]
	s_waitcnt lgkmcnt(12)
	v_add_f64 v[27:28], v[11:12], v[27:28]
	;; [unrolled: 2-line block ×3, first 2 shown]
	v_xor_b32_e32 v29, 1, v42
	s_waitcnt lgkmcnt(8)
	v_add_f64 v[23:24], v[15:16], v[31:32]
	s_waitcnt lgkmcnt(6)
	v_add_f64 v[13:14], v[17:18], v[33:34]
	v_cmp_gt_i32_e32 vcc_lo, 32, v29
	s_waitcnt lgkmcnt(4)
	v_add_f64 v[17:18], v[19:20], v[35:36]
	s_waitcnt lgkmcnt(2)
	v_add_f64 v[15:16], v[21:22], v[37:38]
	;; [unrolled: 2-line block ×3, first 2 shown]
	v_cndmask_b32_e32 v29, v42, v29, vcc_lo
	v_cmp_eq_u32_e32 vcc_lo, 63, v0
	v_lshlrev_b32_e32 v34, 2, v29
	ds_bpermute_b32 v21, v34, v9
	ds_bpermute_b32 v22, v34, v10
	;; [unrolled: 1-line block ×16, first 2 shown]
	s_and_b32 exec_lo, exec_lo, vcc_lo
	s_cbranch_execz .LBB174_8
; %bb.36:
	s_waitcnt lgkmcnt(12)
	v_add_f64 v[27:28], v[27:28], v[39:40]
	s_waitcnt lgkmcnt(8)
	v_add_f64 v[23:24], v[23:24], v[37:38]
	;; [unrolled: 2-line block ×4, first 2 shown]
	v_add_f64 v[9:10], v[9:10], v[21:22]
	v_add_f64 v[11:12], v[11:12], v[25:26]
	;; [unrolled: 1-line block ×4, first 2 shown]
	v_cmp_eq_f64_e32 vcc_lo, 0, v[1:2]
	v_cmp_eq_f64_e64 s0, 0, v[3:4]
	s_load_dwordx2 s[2:3], s[4:5], 0x60
	v_mul_f64 v[13:14], v[27:28], -v[7:8]
	v_mul_f64 v[15:16], v[5:6], v[27:28]
	v_mul_f64 v[27:28], v[23:24], -v[7:8]
	v_mul_f64 v[23:24], v[5:6], v[23:24]
	;; [unrolled: 2-line block ×4, first 2 shown]
	s_and_b32 s0, vcc_lo, s0
	v_fma_f64 v[17:18], v[5:6], v[9:10], v[13:14]
	v_fma_f64 v[19:20], v[7:8], v[9:10], v[15:16]
	;; [unrolled: 1-line block ×8, first 2 shown]
	v_lshlrev_b32_e32 v21, 2, v41
	s_and_saveexec_b32 s1, s0
	s_xor_b32 s0, exec_lo, s1
	s_cbranch_execz .LBB174_38
; %bb.37:
	v_ashrrev_i32_e32 v22, 31, v21
	v_lshlrev_b64 v[0:1], 4, v[21:22]
                                        ; implicit-def: $vgpr21
	s_waitcnt lgkmcnt(0)
	v_add_co_u32 v0, vcc_lo, s2, v0
	v_add_co_ci_u32_e64 v1, null, s3, v1, vcc_lo
	global_store_dwordx4 v[0:1], v[17:20], off
	global_store_dwordx4 v[0:1], v[13:16], off offset:16
	global_store_dwordx4 v[0:1], v[9:12], off offset:32
	;; [unrolled: 1-line block ×3, first 2 shown]
                                        ; implicit-def: $vgpr3_vgpr4
                                        ; implicit-def: $vgpr17_vgpr18
                                        ; implicit-def: $vgpr13_vgpr14
                                        ; implicit-def: $vgpr9_vgpr10
                                        ; implicit-def: $vgpr5_vgpr6
.LBB174_38:
	s_andn2_saveexec_b32 s0, s0
	s_cbranch_execz .LBB174_8
; %bb.39:
	v_ashrrev_i32_e32 v22, 31, v21
	v_lshlrev_b64 v[21:22], 4, v[21:22]
	s_waitcnt lgkmcnt(0)
	v_add_co_u32 v37, vcc_lo, s2, v21
	v_add_co_ci_u32_e64 v38, null, s3, v22, vcc_lo
	s_clause 0x3
	global_load_dwordx4 v[21:24], v[37:38], off
	global_load_dwordx4 v[25:28], v[37:38], off offset:16
	global_load_dwordx4 v[29:32], v[37:38], off offset:32
	;; [unrolled: 1-line block ×3, first 2 shown]
	s_waitcnt vmcnt(3)
	v_fma_f64 v[17:18], v[1:2], v[21:22], v[17:18]
	v_fma_f64 v[19:20], v[3:4], v[21:22], v[19:20]
	s_waitcnt vmcnt(2)
	v_fma_f64 v[13:14], v[1:2], v[25:26], v[13:14]
	v_fma_f64 v[15:16], v[3:4], v[25:26], v[15:16]
	;; [unrolled: 3-line block ×4, first 2 shown]
	v_fma_f64 v[5:6], -v[3:4], v[23:24], v[17:18]
	v_fma_f64 v[7:8], v[1:2], v[23:24], v[19:20]
	v_fma_f64 v[9:10], -v[3:4], v[27:28], v[13:14]
	v_fma_f64 v[11:12], v[1:2], v[27:28], v[15:16]
	;; [unrolled: 2-line block ×4, first 2 shown]
	global_store_dwordx4 v[37:38], v[5:8], off
	global_store_dwordx4 v[37:38], v[9:12], off offset:16
	global_store_dwordx4 v[37:38], v[13:16], off offset:32
	;; [unrolled: 1-line block ×3, first 2 shown]
	s_endpgm
	.section	.rodata,"a",@progbits
	.p2align	6, 0x0
	.amdhsa_kernel _ZN9rocsparseL18bsrxmvn_4x4_kernelILj128ELj64E21rocsparse_complex_numIdEliS1_IfES2_S2_EEvT3_20rocsparse_direction_NS_24const_host_device_scalarIT1_EES4_PKS4_PKT2_SD_SA_PKT4_PKT5_S8_PT6_21rocsparse_index_base_b
		.amdhsa_group_segment_fixed_size 0
		.amdhsa_private_segment_fixed_size 0
		.amdhsa_kernarg_size 112
		.amdhsa_user_sgpr_count 6
		.amdhsa_user_sgpr_private_segment_buffer 1
		.amdhsa_user_sgpr_dispatch_ptr 0
		.amdhsa_user_sgpr_queue_ptr 0
		.amdhsa_user_sgpr_kernarg_segment_ptr 1
		.amdhsa_user_sgpr_dispatch_id 0
		.amdhsa_user_sgpr_flat_scratch_init 0
		.amdhsa_user_sgpr_private_segment_size 0
		.amdhsa_wavefront_size32 1
		.amdhsa_uses_dynamic_stack 0
		.amdhsa_system_sgpr_private_segment_wavefront_offset 0
		.amdhsa_system_sgpr_workgroup_id_x 1
		.amdhsa_system_sgpr_workgroup_id_y 0
		.amdhsa_system_sgpr_workgroup_id_z 0
		.amdhsa_system_sgpr_workgroup_info 0
		.amdhsa_system_vgpr_workitem_id 0
		.amdhsa_next_free_vgpr 207
		.amdhsa_next_free_sgpr 16
		.amdhsa_reserve_vcc 1
		.amdhsa_reserve_flat_scratch 0
		.amdhsa_float_round_mode_32 0
		.amdhsa_float_round_mode_16_64 0
		.amdhsa_float_denorm_mode_32 3
		.amdhsa_float_denorm_mode_16_64 3
		.amdhsa_dx10_clamp 1
		.amdhsa_ieee_mode 1
		.amdhsa_fp16_overflow 0
		.amdhsa_workgroup_processor_mode 1
		.amdhsa_memory_ordered 1
		.amdhsa_forward_progress 1
		.amdhsa_shared_vgpr_count 0
		.amdhsa_exception_fp_ieee_invalid_op 0
		.amdhsa_exception_fp_denorm_src 0
		.amdhsa_exception_fp_ieee_div_zero 0
		.amdhsa_exception_fp_ieee_overflow 0
		.amdhsa_exception_fp_ieee_underflow 0
		.amdhsa_exception_fp_ieee_inexact 0
		.amdhsa_exception_int_div_zero 0
	.end_amdhsa_kernel
	.section	.text._ZN9rocsparseL18bsrxmvn_4x4_kernelILj128ELj64E21rocsparse_complex_numIdEliS1_IfES2_S2_EEvT3_20rocsparse_direction_NS_24const_host_device_scalarIT1_EES4_PKS4_PKT2_SD_SA_PKT4_PKT5_S8_PT6_21rocsparse_index_base_b,"axG",@progbits,_ZN9rocsparseL18bsrxmvn_4x4_kernelILj128ELj64E21rocsparse_complex_numIdEliS1_IfES2_S2_EEvT3_20rocsparse_direction_NS_24const_host_device_scalarIT1_EES4_PKS4_PKT2_SD_SA_PKT4_PKT5_S8_PT6_21rocsparse_index_base_b,comdat
.Lfunc_end174:
	.size	_ZN9rocsparseL18bsrxmvn_4x4_kernelILj128ELj64E21rocsparse_complex_numIdEliS1_IfES2_S2_EEvT3_20rocsparse_direction_NS_24const_host_device_scalarIT1_EES4_PKS4_PKT2_SD_SA_PKT4_PKT5_S8_PT6_21rocsparse_index_base_b, .Lfunc_end174-_ZN9rocsparseL18bsrxmvn_4x4_kernelILj128ELj64E21rocsparse_complex_numIdEliS1_IfES2_S2_EEvT3_20rocsparse_direction_NS_24const_host_device_scalarIT1_EES4_PKS4_PKT2_SD_SA_PKT4_PKT5_S8_PT6_21rocsparse_index_base_b
                                        ; -- End function
	.set _ZN9rocsparseL18bsrxmvn_4x4_kernelILj128ELj64E21rocsparse_complex_numIdEliS1_IfES2_S2_EEvT3_20rocsparse_direction_NS_24const_host_device_scalarIT1_EES4_PKS4_PKT2_SD_SA_PKT4_PKT5_S8_PT6_21rocsparse_index_base_b.num_vgpr, 207
	.set _ZN9rocsparseL18bsrxmvn_4x4_kernelILj128ELj64E21rocsparse_complex_numIdEliS1_IfES2_S2_EEvT3_20rocsparse_direction_NS_24const_host_device_scalarIT1_EES4_PKS4_PKT2_SD_SA_PKT4_PKT5_S8_PT6_21rocsparse_index_base_b.num_agpr, 0
	.set _ZN9rocsparseL18bsrxmvn_4x4_kernelILj128ELj64E21rocsparse_complex_numIdEliS1_IfES2_S2_EEvT3_20rocsparse_direction_NS_24const_host_device_scalarIT1_EES4_PKS4_PKT2_SD_SA_PKT4_PKT5_S8_PT6_21rocsparse_index_base_b.numbered_sgpr, 16
	.set _ZN9rocsparseL18bsrxmvn_4x4_kernelILj128ELj64E21rocsparse_complex_numIdEliS1_IfES2_S2_EEvT3_20rocsparse_direction_NS_24const_host_device_scalarIT1_EES4_PKS4_PKT2_SD_SA_PKT4_PKT5_S8_PT6_21rocsparse_index_base_b.num_named_barrier, 0
	.set _ZN9rocsparseL18bsrxmvn_4x4_kernelILj128ELj64E21rocsparse_complex_numIdEliS1_IfES2_S2_EEvT3_20rocsparse_direction_NS_24const_host_device_scalarIT1_EES4_PKS4_PKT2_SD_SA_PKT4_PKT5_S8_PT6_21rocsparse_index_base_b.private_seg_size, 0
	.set _ZN9rocsparseL18bsrxmvn_4x4_kernelILj128ELj64E21rocsparse_complex_numIdEliS1_IfES2_S2_EEvT3_20rocsparse_direction_NS_24const_host_device_scalarIT1_EES4_PKS4_PKT2_SD_SA_PKT4_PKT5_S8_PT6_21rocsparse_index_base_b.uses_vcc, 1
	.set _ZN9rocsparseL18bsrxmvn_4x4_kernelILj128ELj64E21rocsparse_complex_numIdEliS1_IfES2_S2_EEvT3_20rocsparse_direction_NS_24const_host_device_scalarIT1_EES4_PKS4_PKT2_SD_SA_PKT4_PKT5_S8_PT6_21rocsparse_index_base_b.uses_flat_scratch, 0
	.set _ZN9rocsparseL18bsrxmvn_4x4_kernelILj128ELj64E21rocsparse_complex_numIdEliS1_IfES2_S2_EEvT3_20rocsparse_direction_NS_24const_host_device_scalarIT1_EES4_PKS4_PKT2_SD_SA_PKT4_PKT5_S8_PT6_21rocsparse_index_base_b.has_dyn_sized_stack, 0
	.set _ZN9rocsparseL18bsrxmvn_4x4_kernelILj128ELj64E21rocsparse_complex_numIdEliS1_IfES2_S2_EEvT3_20rocsparse_direction_NS_24const_host_device_scalarIT1_EES4_PKS4_PKT2_SD_SA_PKT4_PKT5_S8_PT6_21rocsparse_index_base_b.has_recursion, 0
	.set _ZN9rocsparseL18bsrxmvn_4x4_kernelILj128ELj64E21rocsparse_complex_numIdEliS1_IfES2_S2_EEvT3_20rocsparse_direction_NS_24const_host_device_scalarIT1_EES4_PKS4_PKT2_SD_SA_PKT4_PKT5_S8_PT6_21rocsparse_index_base_b.has_indirect_call, 0
	.section	.AMDGPU.csdata,"",@progbits
; Kernel info:
; codeLenInByte = 12140
; TotalNumSgprs: 18
; NumVgprs: 207
; ScratchSize: 0
; MemoryBound: 0
; FloatMode: 240
; IeeeMode: 1
; LDSByteSize: 0 bytes/workgroup (compile time only)
; SGPRBlocks: 0
; VGPRBlocks: 25
; NumSGPRsForWavesPerEU: 18
; NumVGPRsForWavesPerEU: 207
; Occupancy: 4
; WaveLimiterHint : 1
; COMPUTE_PGM_RSRC2:SCRATCH_EN: 0
; COMPUTE_PGM_RSRC2:USER_SGPR: 6
; COMPUTE_PGM_RSRC2:TRAP_HANDLER: 0
; COMPUTE_PGM_RSRC2:TGID_X_EN: 1
; COMPUTE_PGM_RSRC2:TGID_Y_EN: 0
; COMPUTE_PGM_RSRC2:TGID_Z_EN: 0
; COMPUTE_PGM_RSRC2:TIDIG_COMP_CNT: 0
	.section	.text._ZN9rocsparseL18bsrxmvn_4x4_kernelILj128ELj4E21rocsparse_complex_numIdEllS1_IfES2_S2_EEvT3_20rocsparse_direction_NS_24const_host_device_scalarIT1_EES4_PKS4_PKT2_SD_SA_PKT4_PKT5_S8_PT6_21rocsparse_index_base_b,"axG",@progbits,_ZN9rocsparseL18bsrxmvn_4x4_kernelILj128ELj4E21rocsparse_complex_numIdEllS1_IfES2_S2_EEvT3_20rocsparse_direction_NS_24const_host_device_scalarIT1_EES4_PKS4_PKT2_SD_SA_PKT4_PKT5_S8_PT6_21rocsparse_index_base_b,comdat
	.globl	_ZN9rocsparseL18bsrxmvn_4x4_kernelILj128ELj4E21rocsparse_complex_numIdEllS1_IfES2_S2_EEvT3_20rocsparse_direction_NS_24const_host_device_scalarIT1_EES4_PKS4_PKT2_SD_SA_PKT4_PKT5_S8_PT6_21rocsparse_index_base_b ; -- Begin function _ZN9rocsparseL18bsrxmvn_4x4_kernelILj128ELj4E21rocsparse_complex_numIdEllS1_IfES2_S2_EEvT3_20rocsparse_direction_NS_24const_host_device_scalarIT1_EES4_PKS4_PKT2_SD_SA_PKT4_PKT5_S8_PT6_21rocsparse_index_base_b
	.p2align	8
	.type	_ZN9rocsparseL18bsrxmvn_4x4_kernelILj128ELj4E21rocsparse_complex_numIdEllS1_IfES2_S2_EEvT3_20rocsparse_direction_NS_24const_host_device_scalarIT1_EES4_PKS4_PKT2_SD_SA_PKT4_PKT5_S8_PT6_21rocsparse_index_base_b,@function
_ZN9rocsparseL18bsrxmvn_4x4_kernelILj128ELj4E21rocsparse_complex_numIdEllS1_IfES2_S2_EEvT3_20rocsparse_direction_NS_24const_host_device_scalarIT1_EES4_PKS4_PKT2_SD_SA_PKT4_PKT5_S8_PT6_21rocsparse_index_base_b: ; @_ZN9rocsparseL18bsrxmvn_4x4_kernelILj128ELj4E21rocsparse_complex_numIdEllS1_IfES2_S2_EEvT3_20rocsparse_direction_NS_24const_host_device_scalarIT1_EES4_PKS4_PKT2_SD_SA_PKT4_PKT5_S8_PT6_21rocsparse_index_base_b
; %bb.0:
	s_clause 0x1
	s_load_dwordx2 s[2:3], s[4:5], 0x70
	s_load_dwordx2 s[0:1], s[4:5], 0x10
	s_add_u32 s7, s4, 16
	s_addc_u32 s10, s5, 0
	s_add_u32 s11, s4, 0x58
	s_addc_u32 s12, s5, 0
	s_load_dwordx2 s[8:9], s[4:5], 0x58
	s_waitcnt lgkmcnt(0)
	s_bitcmp1_b32 s3, 0
	s_cselect_b32 s0, s7, s0
	s_cselect_b32 s1, s10, s1
	v_mov_b32_e32 v1, s0
	v_mov_b32_e32 v2, s1
	s_cselect_b32 s0, s11, s8
	s_cselect_b32 s1, s12, s9
	flat_load_dwordx4 v[5:8], v[1:2]
	v_mov_b32_e32 v1, s0
	v_mov_b32_e32 v2, s1
	flat_load_dwordx4 v[1:4], v[1:2]
	s_waitcnt vmcnt(1) lgkmcnt(1)
	v_cmp_eq_f64_e32 vcc_lo, 0, v[5:6]
	v_cmp_eq_f64_e64 s0, 0, v[7:8]
	s_and_b32 s3, vcc_lo, s0
	s_mov_b32 s0, -1
	s_and_saveexec_b32 s1, s3
	s_cbranch_execz .LBB175_2
; %bb.1:
	s_waitcnt vmcnt(0) lgkmcnt(0)
	v_cmp_neq_f64_e32 vcc_lo, 1.0, v[1:2]
	v_cmp_neq_f64_e64 s0, 0, v[3:4]
	s_or_b32 s0, vcc_lo, s0
	s_orn2_b32 s0, s0, exec_lo
.LBB175_2:
	s_or_b32 exec_lo, exec_lo, s1
	s_and_saveexec_b32 s1, s0
	s_cbranch_execz .LBB175_8
; %bb.3:
	s_load_dwordx2 s[0:1], s[4:5], 0x28
	v_lshrrev_b32_e32 v9, 2, v0
	v_mov_b32_e32 v10, 0
	v_lshl_or_b32 v9, s6, 5, v9
	s_waitcnt lgkmcnt(0)
	s_cmp_lg_u64 s[0:1], 0
	s_cbranch_scc0 .LBB175_9
; %bb.4:
	s_load_dwordx2 s[6:7], s[4:5], 0x20
                                        ; implicit-def: $vgpr25_vgpr26
                                        ; implicit-def: $vgpr27_vgpr28
	s_waitcnt lgkmcnt(0)
	v_cmp_gt_i64_e32 vcc_lo, s[6:7], v[9:10]
	s_mov_b32 s7, 0
	s_mov_b32 s6, 0
	s_and_saveexec_b32 s3, vcc_lo
	s_xor_b32 s8, exec_lo, s3
	s_cbranch_execz .LBB175_6
; %bb.5:
	v_lshlrev_b64 v[11:12], 3, v[9:10]
	s_mov_b32 s3, 0
	s_mov_b32 s6, exec_lo
	v_mov_b32_e32 v28, s3
	v_mov_b32_e32 v27, s2
	v_add_co_u32 v11, vcc_lo, s0, v11
	v_add_co_ci_u32_e64 v12, null, s1, v12, vcc_lo
	global_load_dwordx2 v[11:12], v[11:12], off
	s_waitcnt vmcnt(0)
	v_sub_co_u32 v25, vcc_lo, v11, s2
	v_subrev_co_ci_u32_e64 v26, null, 0, v12, vcc_lo
.LBB175_6:
	s_or_b32 exec_lo, exec_lo, s8
	s_and_b32 vcc_lo, exec_lo, s7
	s_cbranch_vccnz .LBB175_10
.LBB175_7:
	s_and_b32 exec_lo, exec_lo, s6
	s_cbranch_execnz .LBB175_13
.LBB175_8:
	s_endpgm
.LBB175_9:
	s_mov_b32 s6, 0
                                        ; implicit-def: $vgpr25_vgpr26
                                        ; implicit-def: $vgpr27_vgpr28
	s_cbranch_execz .LBB175_7
.LBB175_10:
	s_load_dwordx2 s[0:1], s[4:5], 0x0
	s_waitcnt lgkmcnt(0)
	v_cmp_gt_i64_e32 vcc_lo, s[0:1], v[9:10]
	s_and_saveexec_b32 s0, vcc_lo
; %bb.11:
	s_mov_b32 s3, 0
	s_or_b32 s6, s6, exec_lo
; %bb.12:
	s_or_b32 exec_lo, exec_lo, s0
	v_mov_b32_e32 v28, s3
	v_mov_b32_e32 v26, v10
	;; [unrolled: 1-line block ×4, first 2 shown]
	s_and_b32 exec_lo, exec_lo, s6
	s_cbranch_execz .LBB175_8
.LBB175_13:
	s_load_dwordx8 s[8:15], s[4:5], 0x30
	v_lshlrev_b64 v[9:10], 3, v[25:26]
	v_and_b32_e32 v0, 3, v0
	s_clause 0x1
	s_load_dword s1, s[4:5], 0x8
	s_load_dwordx2 s[2:3], s[4:5], 0x50
	s_waitcnt lgkmcnt(0)
	v_add_co_u32 v11, vcc_lo, s8, v9
	v_add_co_ci_u32_e64 v12, null, s9, v10, vcc_lo
	v_add_co_u32 v9, vcc_lo, s10, v9
	v_add_co_ci_u32_e64 v10, null, s11, v10, vcc_lo
	;; [unrolled: 2-line block ×3, first 2 shown]
	global_load_dwordx2 v[51:52], v[11:12], off
	s_cmp_eq_u64 s[10:11], 0
	s_cselect_b32 vcc_lo, -1, 0
	s_cmp_eq_u32 s1, 1
	v_cndmask_b32_e32 v10, v10, v14, vcc_lo
	v_cndmask_b32_e32 v9, v9, v13, vcc_lo
	global_load_dwordx2 v[9:10], v[9:10], off
	s_waitcnt vmcnt(1)
	v_sub_co_u32 v11, vcc_lo, v51, v27
	v_sub_co_ci_u32_e64 v12, null, v52, v28, vcc_lo
	v_add_co_u32 v29, vcc_lo, v11, v0
	v_add_co_ci_u32_e64 v30, null, 0, v12, vcc_lo
	s_waitcnt vmcnt(0)
	v_sub_co_u32 v31, vcc_lo, v9, v27
	v_sub_co_ci_u32_e64 v32, null, v10, v28, vcc_lo
	v_lshlrev_b64 v[9:10], 7, v[29:30]
	v_cmp_lt_i64_e64 s0, v[29:30], v[31:32]
	v_add_co_u32 v33, vcc_lo, s14, v9
	v_add_co_ci_u32_e64 v34, null, s15, v10, vcc_lo
	s_cbranch_scc1 .LBB175_25
; %bb.14:
	v_mov_b32_e32 v35, 0
	v_mov_b32_e32 v41, 0
	v_mov_b32_e32 v39, 0
	v_mov_b32_e32 v49, 0
	v_mov_b32_e32 v45, 0
	v_mov_b32_e32 v47, 0
	v_mov_b32_e32 v43, 0
	v_mov_b32_e32 v37, 0
	v_mov_b32_e32 v36, 0
	v_mov_b32_e32 v42, 0
	v_mov_b32_e32 v40, 0
	v_mov_b32_e32 v50, 0
	v_mov_b32_e32 v46, 0
	v_mov_b32_e32 v48, 0
	v_mov_b32_e32 v44, 0
	v_mov_b32_e32 v38, 0
	s_and_saveexec_b32 s6, s0
	s_cbranch_execz .LBB175_24
; %bb.15:
	v_or_b32_e32 v9, 4, v0
	v_not_b32_e32 v13, v51
	v_not_b32_e32 v11, v52
	v_mov_b32_e32 v37, 0
	v_mov_b32_e32 v43, 0
	v_sub_co_u32 v9, vcc_lo, v9, v27
	v_sub_co_ci_u32_e64 v10, null, 0, v28, vcc_lo
	v_mov_b32_e32 v47, 0
	v_add_co_u32 v9, vcc_lo, v9, v51
	v_add_co_ci_u32_e64 v10, null, v10, v52, vcc_lo
	v_sub_co_u32 v14, vcc_lo, v27, v0
	v_subrev_co_ci_u32_e64 v15, null, 0, v28, vcc_lo
	v_cmp_gt_i64_e32 vcc_lo, v[9:10], v[31:32]
	v_add_co_u32 v13, s1, v14, v13
	v_add_co_ci_u32_e64 v11, null, v15, v11, s1
	v_mov_b32_e32 v45, 0
	v_cndmask_b32_e32 v9, v31, v9, vcc_lo
	v_cndmask_b32_e32 v10, v32, v10, vcc_lo
	v_mov_b32_e32 v49, 0
	v_mov_b32_e32 v39, 0
	;; [unrolled: 1-line block ×3, first 2 shown]
	v_add_co_u32 v9, vcc_lo, v13, v9
	v_mov_b32_e32 v35, 0
	v_mov_b32_e32 v56, v34
	;; [unrolled: 1-line block ×8, first 2 shown]
	v_add_co_ci_u32_e64 v10, null, v11, v10, vcc_lo
	v_and_b32_e32 v11, 12, v9
	v_mov_b32_e32 v50, 0
	v_mov_b32_e32 v40, 0
	v_mov_b32_e32 v42, 0
	v_mov_b32_e32 v36, 0
	v_mov_b32_e32 v55, v33
	v_mov_b32_e32 v53, v29
	s_mov_b32 s7, exec_lo
	v_cmpx_ne_u64_e32 12, v[11:12]
	s_cbranch_execz .LBB175_19
; %bb.16:
	v_lshrrev_b32_e32 v13, 2, v9
	v_lshlrev_b64 v[11:12], 3, v[29:30]
	v_mov_b32_e32 v35, 0
	v_mov_b32_e32 v54, v30
	;; [unrolled: 1-line block ×3, first 2 shown]
	v_add_nc_u32_e32 v13, 1, v13
	v_mov_b32_e32 v39, 0
	v_add_co_u32 v11, vcc_lo, s12, v11
	v_mov_b32_e32 v49, 0
	v_and_b32_e32 v13, 3, v13
	v_mov_b32_e32 v45, 0
	v_mov_b32_e32 v47, 0
	;; [unrolled: 1-line block ×4, first 2 shown]
	v_sub_co_u32 v13, s1, 0, v13
	v_mov_b32_e32 v56, v34
	v_mov_b32_e32 v36, 0
	;; [unrolled: 1-line block ×5, first 2 shown]
	v_add_co_ci_u32_e64 v12, null, s13, v12, vcc_lo
	v_sub_co_ci_u32_e64 v14, null, 0, 0, s1
	v_mov_b32_e32 v50, 0
	v_mov_b32_e32 v46, 0
	;; [unrolled: 1-line block ×6, first 2 shown]
	s_mov_b32 s8, 0
.LBB175_17:                             ; =>This Inner Loop Header: Depth=1
	global_load_dwordx2 v[23:24], v[11:12], off
	s_clause 0x4
	global_load_dwordx4 v[15:18], v[55:56], off
	global_load_dwordx4 v[19:22], v[55:56], off offset:48
	global_load_dwordx4 v[57:60], v[55:56], off offset:32
	;; [unrolled: 1-line block ×4, first 2 shown]
	v_add_co_u32 v11, s1, v11, 32
	v_add_co_ci_u32_e64 v12, null, 0, v12, s1
	s_waitcnt vmcnt(5)
	v_sub_co_u32 v23, vcc_lo, v23, v27
	v_sub_co_ci_u32_e64 v24, null, v24, v28, vcc_lo
	s_waitcnt vmcnt(2)
	v_cvt_f64_f32_e32 v[97:98], v57
	v_cvt_f64_f32_e32 v[57:58], v58
	s_waitcnt vmcnt(0)
	v_cvt_f64_f32_e32 v[99:100], v65
	v_lshlrev_b64 v[23:24], 6, v[23:24]
	v_cvt_f64_f32_e32 v[65:66], v66
	v_cvt_f64_f32_e32 v[101:102], v61
	;; [unrolled: 1-line block ×5, first 2 shown]
	v_add_co_u32 v23, vcc_lo, s2, v23
	v_add_co_ci_u32_e64 v24, null, s3, v24, vcc_lo
	v_cvt_f64_f32_e32 v[105:106], v67
	v_cvt_f64_f32_e32 v[67:68], v68
	;; [unrolled: 1-line block ×3, first 2 shown]
	s_clause 0x1
	global_load_dwordx4 v[69:72], v[23:24], off
	global_load_dwordx4 v[73:76], v[23:24], off offset:16
	s_clause 0x2
	global_load_dwordx4 v[77:80], v[55:56], off offset:16
	global_load_dwordx4 v[81:84], v[55:56], off offset:80
	;; [unrolled: 1-line block ×3, first 2 shown]
	s_clause 0x1
	global_load_dwordx4 v[89:92], v[23:24], off offset:32
	global_load_dwordx4 v[93:96], v[23:24], off offset:48
	v_cvt_f64_f32_e32 v[23:24], v15
	v_cvt_f64_f32_e32 v[15:16], v16
	;; [unrolled: 1-line block ×3, first 2 shown]
	v_add_co_u32 v55, vcc_lo, 0x200, v55
	v_add_co_ci_u32_e64 v56, null, 0, v56, vcc_lo
	v_add_co_u32 v13, vcc_lo, v13, 1
	v_add_co_ci_u32_e64 v14, null, 0, v14, vcc_lo
	;; [unrolled: 2-line block ×3, first 2 shown]
	v_cmp_eq_u64_e32 vcc_lo, 0, v[13:14]
	s_or_b32 s8, vcc_lo, s8
	s_waitcnt vmcnt(6)
	v_fma_f64 v[41:42], v[23:24], v[69:70], v[41:42]
	v_fma_f64 v[35:36], v[15:16], v[69:70], v[35:36]
	v_fma_f64 v[49:50], v[97:98], v[69:70], v[49:50]
	v_fma_f64 v[39:40], v[57:58], v[69:70], v[39:40]
	v_fma_f64 v[47:48], v[99:100], v[69:70], v[47:48]
	v_fma_f64 v[45:46], v[65:66], v[69:70], v[45:46]
	v_fma_f64 v[37:38], v[101:102], v[69:70], v[37:38]
	v_fma_f64 v[43:44], v[61:62], v[69:70], v[43:44]
	v_cvt_f64_f32_e32 v[69:70], v17
	v_cvt_f64_f32_e32 v[17:18], v18
	v_fma_f64 v[15:16], -v[15:16], v[71:72], v[41:42]
	v_fma_f64 v[23:24], v[23:24], v[71:72], v[35:36]
	v_fma_f64 v[35:36], -v[57:58], v[71:72], v[49:50]
	v_fma_f64 v[39:40], v[97:98], v[71:72], v[39:40]
	;; [unrolled: 2-line block ×4, first 2 shown]
	s_waitcnt vmcnt(4)
	v_cvt_f64_f32_e32 v[47:48], v77
	v_cvt_f64_f32_e32 v[49:50], v78
	;; [unrolled: 1-line block ×4, first 2 shown]
	s_waitcnt vmcnt(3)
	v_cvt_f64_f32_e32 v[61:62], v81
	v_cvt_f64_f32_e32 v[65:66], v82
	s_waitcnt vmcnt(2)
	v_cvt_f64_f32_e32 v[71:72], v85
	v_cvt_f64_f32_e32 v[77:78], v88
	v_fma_f64 v[15:16], v[69:70], v[73:74], v[15:16]
	v_fma_f64 v[23:24], v[17:18], v[73:74], v[23:24]
	;; [unrolled: 1-line block ×8, first 2 shown]
	v_cvt_f64_f32_e32 v[73:74], v86
	v_fma_f64 v[15:16], -v[17:18], v[75:76], v[15:16]
	v_fma_f64 v[17:18], v[69:70], v[75:76], v[23:24]
	v_fma_f64 v[23:24], -v[59:60], v[75:76], v[35:36]
	v_fma_f64 v[35:36], v[103:104], v[75:76], v[39:40]
	;; [unrolled: 2-line block ×4, first 2 shown]
	v_cvt_f64_f32_e32 v[45:46], v79
	v_cvt_f64_f32_e32 v[59:60], v80
	;; [unrolled: 1-line block ×7, first 2 shown]
	s_waitcnt vmcnt(1)
	v_fma_f64 v[15:16], v[47:48], v[89:90], v[15:16]
	v_fma_f64 v[17:18], v[49:50], v[89:90], v[17:18]
	v_fma_f64 v[23:24], v[57:58], v[89:90], v[23:24]
	v_fma_f64 v[35:36], v[19:20], v[89:90], v[35:36]
	v_fma_f64 v[39:40], v[61:62], v[89:90], v[39:40]
	v_fma_f64 v[41:42], v[65:66], v[89:90], v[41:42]
	v_fma_f64 v[37:38], v[71:72], v[89:90], v[37:38]
	v_fma_f64 v[43:44], v[73:74], v[89:90], v[43:44]
	v_fma_f64 v[15:16], -v[49:50], v[91:92], v[15:16]
	v_fma_f64 v[17:18], v[47:48], v[91:92], v[17:18]
	v_fma_f64 v[19:20], -v[19:20], v[91:92], v[23:24]
	v_fma_f64 v[23:24], v[57:58], v[91:92], v[35:36]
	;; [unrolled: 2-line block ×4, first 2 shown]
	s_waitcnt vmcnt(0)
	v_fma_f64 v[15:16], v[45:46], v[93:94], v[15:16]
	v_fma_f64 v[17:18], v[59:60], v[93:94], v[17:18]
	;; [unrolled: 1-line block ×8, first 2 shown]
	v_fma_f64 v[41:42], -v[59:60], v[95:96], v[15:16]
	v_fma_f64 v[35:36], v[45:46], v[95:96], v[17:18]
	v_fma_f64 v[49:50], -v[21:22], v[95:96], v[19:20]
	v_fma_f64 v[39:40], v[63:64], v[95:96], v[23:24]
	;; [unrolled: 2-line block ×4, first 2 shown]
	s_andn2_b32 exec_lo, exec_lo, s8
	s_cbranch_execnz .LBB175_17
; %bb.18:
	s_or_b32 exec_lo, exec_lo, s8
.LBB175_19:
	s_or_b32 exec_lo, exec_lo, s7
	s_mov_b32 s7, exec_lo
	v_cmpx_lt_u64_e32 11, v[9:10]
	s_cbranch_execz .LBB175_23
; %bb.20:
	v_lshlrev_b64 v[9:10], 3, v[53:54]
	s_mov_b32 s8, 0
	v_add_co_u32 v9, vcc_lo, s12, v9
	v_add_co_ci_u32_e64 v10, null, s13, v10, vcc_lo
	v_add_co_u32 v57, vcc_lo, v9, 64
	v_add_co_ci_u32_e64 v58, null, 0, v10, vcc_lo
.LBB175_21:                             ; =>This Inner Loop Header: Depth=1
	s_clause 0x1
	global_load_dwordx2 v[61:62], v[57:58], off offset:-64
	global_load_dwordx2 v[113:114], v[57:58], off offset:-32
	s_clause 0x3
	global_load_dwordx4 v[21:24], v[55:56], off
	global_load_dwordx4 v[17:20], v[55:56], off offset:32
	global_load_dwordx4 v[13:16], v[55:56], off offset:64
	;; [unrolled: 1-line block ×3, first 2 shown]
	s_clause 0x1
	global_load_dwordx2 v[59:60], v[57:58], off
	global_load_dwordx2 v[181:182], v[57:58], off offset:32
	v_add_co_u32 v57, s1, 0x80, v57
	v_add_co_ci_u32_e64 v58, null, 0, v58, s1
	s_waitcnt vmcnt(7)
	v_sub_co_u32 v61, vcc_lo, v61, v27
	v_sub_co_ci_u32_e64 v62, null, v62, v28, vcc_lo
	s_waitcnt vmcnt(5)
	v_cvt_f64_f32_e32 v[185:186], v21
	v_cvt_f64_f32_e32 v[21:22], v22
	;; [unrolled: 1-line block ×3, first 2 shown]
	v_lshlrev_b64 v[61:62], 6, v[61:62]
	v_cvt_f64_f32_e32 v[189:190], v24
	s_waitcnt vmcnt(4)
	v_cvt_f64_f32_e32 v[23:24], v17
	v_cvt_f64_f32_e32 v[17:18], v18
	;; [unrolled: 1-line block ×4, first 2 shown]
	v_add_co_u32 v93, vcc_lo, s2, v61
	v_add_co_ci_u32_e64 v94, null, s3, v62, vcc_lo
	v_sub_co_u32 v113, vcc_lo, v113, v27
	v_sub_co_ci_u32_e64 v114, null, v114, v28, vcc_lo
	s_clause 0x1
	global_load_dwordx4 v[61:64], v[93:94], off
	global_load_dwordx4 v[65:68], v[93:94], off offset:16
	s_clause 0x3
	global_load_dwordx4 v[69:72], v[55:56], off offset:16
	global_load_dwordx4 v[73:76], v[55:56], off offset:48
	;; [unrolled: 1-line block ×7, first 2 shown]
	s_clause 0x3
	global_load_dwordx4 v[97:100], v[55:56], off offset:544
	global_load_dwordx4 v[101:104], v[55:56], off offset:576
	;; [unrolled: 1-line block ×4, first 2 shown]
	s_waitcnt vmcnt(16)
	v_cvt_f64_f32_e32 v[19:20], v13
	v_cvt_f64_f32_e32 v[195:196], v14
	v_lshlrev_b64 v[113:114], 6, v[113:114]
	s_waitcnt vmcnt(15)
	v_cvt_f64_f32_e32 v[201:202], v9
	v_cvt_f64_f32_e32 v[203:204], v10
	;; [unrolled: 1-line block ×5, first 2 shown]
	v_add_co_u32 v183, vcc_lo, s2, v113
	v_add_co_ci_u32_e64 v184, null, s3, v114, vcc_lo
	s_waitcnt vmcnt(14)
	v_sub_co_u32 v59, vcc_lo, v59, v27
	s_clause 0x1
	global_load_dwordx4 v[113:116], v[183:184], off
	global_load_dwordx4 v[117:120], v[183:184], off offset:16
	s_clause 0x2
	global_load_dwordx4 v[121:124], v[55:56], off offset:528
	global_load_dwordx4 v[125:128], v[55:56], off offset:560
	;; [unrolled: 1-line block ×4, first 2 shown]
	s_clause 0xa
	global_load_dwordx4 v[137:140], v[55:56], off offset:1072
	global_load_dwordx4 v[141:144], v[55:56], off offset:1056
	;; [unrolled: 1-line block ×12, first 2 shown]
	v_sub_co_ci_u32_e64 v60, null, v60, v28, vcc_lo
	v_cvt_f64_f32_e32 v[199:200], v16
	s_waitcnt vmcnt(30)
	v_fma_f64 v[13:14], v[185:186], v[61:62], v[41:42]
	v_fma_f64 v[35:36], v[21:22], v[61:62], v[35:36]
	;; [unrolled: 1-line block ×8, first 2 shown]
	v_lshlrev_b64 v[49:50], 6, v[59:60]
	v_add_co_u32 v59, vcc_lo, s2, v49
	v_add_co_ci_u32_e64 v60, null, s3, v50, vcc_lo
	v_fma_f64 v[21:22], -v[21:22], v[63:64], v[13:14]
	v_fma_f64 v[35:36], v[185:186], v[63:64], v[35:36]
	v_fma_f64 v[41:42], -v[17:18], v[63:64], v[41:42]
	v_fma_f64 v[23:24], v[23:24], v[63:64], v[39:40]
	;; [unrolled: 2-line block ×4, first 2 shown]
	global_load_dwordx4 v[17:20], v[59:60], off
	s_waitcnt vmcnt(28)
	v_cvt_f64_f32_e32 v[183:184], v73
	v_cvt_f64_f32_e32 v[73:74], v74
	s_waitcnt vmcnt(27)
	v_cvt_f64_f32_e32 v[185:186], v77
	v_cvt_f64_f32_e32 v[77:78], v78
	global_load_dwordx4 v[13:16], v[55:56], off offset:1536
	v_cvt_f64_f32_e32 v[195:196], v71
	v_cvt_f64_f32_e32 v[71:72], v72
	s_waitcnt vmcnt(25)
	v_cvt_f64_f32_e32 v[203:204], v91
	v_cvt_f64_f32_e32 v[201:202], v89
	;; [unrolled: 1-line block ×3, first 2 shown]
	v_fma_f64 v[47:48], v[187:188], v[65:66], v[21:22]
	v_fma_f64 v[49:50], v[189:190], v[65:66], v[35:36]
	;; [unrolled: 1-line block ×8, first 2 shown]
	v_cvt_f64_f32_e32 v[65:66], v69
	v_cvt_f64_f32_e32 v[69:70], v70
	s_clause 0x1
	global_load_dwordx4 v[21:24], v[55:56], off offset:1632
	global_load_dwordx4 v[35:38], v[55:56], off offset:1616
	v_fma_f64 v[47:48], -v[189:190], v[67:68], v[47:48]
	v_fma_f64 v[49:50], v[187:188], v[67:68], v[49:50]
	v_fma_f64 v[187:188], -v[193:194], v[67:68], v[41:42]
	v_fma_f64 v[61:62], v[191:192], v[67:68], v[61:62]
	v_cvt_f64_f32_e32 v[189:190], v81
	v_fma_f64 v[191:192], -v[199:200], v[67:68], v[39:40]
	v_cvt_f64_f32_e32 v[81:82], v82
	v_fma_f64 v[193:194], v[197:198], v[67:68], v[45:46]
	v_fma_f64 v[63:64], -v[207:208], v[67:68], v[63:64]
	v_fma_f64 v[67:68], v[205:206], v[67:68], v[43:44]
	global_load_dwordx4 v[43:46], v[59:60], off offset:16
	v_cvt_f64_f32_e32 v[197:198], v79
	v_cvt_f64_f32_e32 v[79:80], v80
	;; [unrolled: 1-line block ×4, first 2 shown]
	global_load_dwordx4 v[39:42], v[55:56], off offset:1600
	v_fma_f64 v[47:48], v[65:66], v[85:86], v[47:48]
	v_fma_f64 v[49:50], v[69:70], v[85:86], v[49:50]
	;; [unrolled: 1-line block ×8, first 2 shown]
	v_cvt_f64_f32_e32 v[85:86], v75
	v_cvt_f64_f32_e32 v[75:76], v76
	v_fma_f64 v[69:70], -v[69:70], v[87:88], v[47:48]
	v_fma_f64 v[65:66], v[65:66], v[87:88], v[49:50]
	v_fma_f64 v[73:74], -v[73:74], v[87:88], v[187:188]
	v_fma_f64 v[61:62], v[183:184], v[87:88], v[61:62]
	global_load_dwordx4 v[47:50], v[59:60], off offset:32
	v_fma_f64 v[77:78], -v[77:78], v[87:88], v[191:192]
	s_waitcnt vmcnt(26)
	v_cvt_f64_f32_e32 v[187:188], v105
	v_fma_f64 v[183:184], v[185:186], v[87:88], v[193:194]
	v_fma_f64 v[63:64], -v[81:82], v[87:88], v[63:64]
	v_fma_f64 v[67:68], v[189:190], v[87:88], v[67:68]
	v_cvt_f64_f32_e32 v[81:82], v92
	v_cvt_f64_f32_e32 v[87:88], v97
	;; [unrolled: 1-line block ×4, first 2 shown]
	v_fma_f64 v[69:70], v[195:196], v[93:94], v[69:70]
	v_fma_f64 v[65:66], v[71:72], v[93:94], v[65:66]
	;; [unrolled: 1-line block ×8, first 2 shown]
	v_cvt_f64_f32_e32 v[93:94], v98
	v_cvt_f64_f32_e32 v[183:184], v101
	;; [unrolled: 1-line block ×5, first 2 shown]
	v_fma_f64 v[69:70], -v[71:72], v[95:96], v[69:70]
	v_fma_f64 v[65:66], v[195:196], v[95:96], v[65:66]
	v_fma_f64 v[73:74], -v[75:76], v[95:96], v[73:74]
	v_fma_f64 v[75:76], v[85:86], v[95:96], v[61:62]
	global_load_dwordx4 v[59:62], v[59:60], off offset:48
	v_fma_f64 v[77:78], -v[79:80], v[95:96], v[77:78]
	v_sub_co_u32 v71, vcc_lo, v181, v27
	v_fma_f64 v[79:80], v[197:198], v[95:96], v[91:92]
	v_fma_f64 v[63:64], -v[83:84], v[95:96], v[63:64]
	v_fma_f64 v[67:68], v[199:200], v[95:96], v[67:68]
	v_sub_co_ci_u32_e64 v72, null, v182, v28, vcc_lo
	v_cvt_f64_f32_e32 v[83:84], v104
	v_cvt_f64_f32_e32 v[85:86], v107
	;; [unrolled: 1-line block ×3, first 2 shown]
	v_lshlrev_b64 v[71:72], 6, v[71:72]
	s_waitcnt vmcnt(22)
	v_cvt_f64_f32_e32 v[103:104], v126
	s_waitcnt vmcnt(21)
	v_cvt_f64_f32_e32 v[107:108], v130
	v_add_co_u32 v95, vcc_lo, s2, v71
	v_fma_f64 v[69:70], v[201:202], v[113:114], v[69:70]
	v_fma_f64 v[65:66], v[89:90], v[113:114], v[65:66]
	;; [unrolled: 1-line block ×5, first 2 shown]
	v_add_co_ci_u32_e64 v96, null, s3, v72, vcc_lo
	v_fma_f64 v[79:80], v[101:102], v[113:114], v[79:80]
	v_fma_f64 v[63:64], v[187:188], v[113:114], v[63:64]
	;; [unrolled: 1-line block ×3, first 2 shown]
	v_cvt_f64_f32_e32 v[113:114], v109
	v_cvt_f64_f32_e32 v[109:110], v110
	v_add_co_u32 v53, vcc_lo, v53, 16
	v_add_co_ci_u32_e64 v54, null, 0, v54, vcc_lo
	v_fma_f64 v[69:70], -v[89:90], v[115:116], v[69:70]
	v_fma_f64 v[89:90], v[201:202], v[115:116], v[65:66]
	v_fma_f64 v[73:74], -v[93:94], v[115:116], v[73:74]
	v_fma_f64 v[75:76], v[87:88], v[115:116], v[75:76]
	v_fma_f64 v[77:78], -v[101:102], v[115:116], v[77:78]
	v_cvt_f64_f32_e32 v[93:94], v122
	v_cvt_f64_f32_e32 v[101:102], v125
	v_fma_f64 v[79:80], v[183:184], v[115:116], v[79:80]
	v_fma_f64 v[87:88], -v[105:106], v[115:116], v[63:64]
	v_fma_f64 v[67:68], v[187:188], v[115:116], v[67:68]
	global_load_dwordx4 v[63:66], v[95:96], off
	v_cvt_f64_f32_e32 v[105:106], v129
	v_cvt_f64_f32_e32 v[115:116], v127
	s_waitcnt vmcnt(15)
	v_cvt_f64_f32_e32 v[125:126], v158
	v_fma_f64 v[69:70], v[203:204], v[117:118], v[69:70]
	v_fma_f64 v[71:72], v[81:82], v[117:118], v[89:90]
	;; [unrolled: 1-line block ×5, first 2 shown]
	v_cvt_f64_f32_e32 v[89:90], v121
	v_cvt_f64_f32_e32 v[121:122], v132
	v_fma_f64 v[79:80], v[83:84], v[117:118], v[79:80]
	v_fma_f64 v[87:88], v[85:86], v[117:118], v[87:88]
	;; [unrolled: 1-line block ×3, first 2 shown]
	v_cvt_f64_f32_e32 v[117:118], v128
	v_fma_f64 v[81:82], -v[81:82], v[119:120], v[69:70]
	v_fma_f64 v[71:72], v[203:204], v[119:120], v[71:72]
	v_fma_f64 v[73:74], -v[99:100], v[119:120], v[73:74]
	v_fma_f64 v[75:76], v[97:98], v[119:120], v[75:76]
	v_fma_f64 v[77:78], -v[83:84], v[119:120], v[77:78]
	v_cvt_f64_f32_e32 v[97:98], v123
	v_cvt_f64_f32_e32 v[99:100], v124
	v_fma_f64 v[79:80], v[185:186], v[119:120], v[79:80]
	v_fma_f64 v[83:84], -v[91:92], v[119:120], v[87:88]
	v_fma_f64 v[85:86], v[85:86], v[119:120], v[67:68]
	global_load_dwordx4 v[67:70], v[95:96], off offset:16
	v_cvt_f64_f32_e32 v[119:120], v131
	v_cvt_f64_f32_e32 v[123:124], v111
	;; [unrolled: 1-line block ×3, first 2 shown]
	v_fma_f64 v[81:82], v[89:90], v[133:134], v[81:82]
	v_fma_f64 v[87:88], v[93:94], v[133:134], v[71:72]
	v_fma_f64 v[91:92], v[101:102], v[133:134], v[73:74]
	v_fma_f64 v[75:76], v[103:104], v[133:134], v[75:76]
	v_fma_f64 v[77:78], v[105:106], v[133:134], v[77:78]
	global_load_dwordx4 v[71:74], v[55:56], off offset:1648
	v_add_co_u32 v55, vcc_lo, 0x800, v55
	v_fma_f64 v[79:80], v[107:108], v[133:134], v[79:80]
	v_fma_f64 v[83:84], v[113:114], v[133:134], v[83:84]
	;; [unrolled: 1-line block ×3, first 2 shown]
	v_add_co_ci_u32_e64 v56, null, 0, v56, vcc_lo
	v_cmp_ge_i64_e32 vcc_lo, v[53:54], v[31:32]
	s_or_b32 s8, vcc_lo, s8
	v_fma_f64 v[81:82], -v[93:94], v[135:136], v[81:82]
	v_fma_f64 v[87:88], v[89:90], v[135:136], v[87:88]
	v_fma_f64 v[89:90], -v[103:104], v[135:136], v[91:92]
	v_fma_f64 v[91:92], v[101:102], v[135:136], v[75:76]
	v_fma_f64 v[93:94], -v[107:108], v[135:136], v[77:78]
	global_load_dwordx4 v[75:78], v[95:96], off offset:32
	v_cvt_f64_f32_e32 v[101:102], v150
	v_cvt_f64_f32_e32 v[103:104], v141
	v_fma_f64 v[79:80], v[105:106], v[135:136], v[79:80]
	v_fma_f64 v[83:84], -v[109:110], v[135:136], v[83:84]
	v_fma_f64 v[85:86], v[113:114], v[135:136], v[85:86]
	v_cvt_f64_f32_e32 v[105:106], v142
	s_waitcnt vmcnt(16)
	v_cvt_f64_f32_e32 v[107:108], v165
	v_cvt_f64_f32_e32 v[109:110], v166
	;; [unrolled: 1-line block ×3, first 2 shown]
	s_waitcnt vmcnt(12)
	v_fma_f64 v[81:82], v[97:98], v[9:10], v[81:82]
	v_fma_f64 v[87:88], v[99:100], v[9:10], v[87:88]
	;; [unrolled: 1-line block ×8, first 2 shown]
	v_cvt_f64_f32_e32 v[85:86], v149
	v_fma_f64 v[81:82], -v[99:100], v[11:12], v[81:82]
	v_fma_f64 v[87:88], v[97:98], v[11:12], v[87:88]
	v_fma_f64 v[89:90], -v[117:118], v[11:12], v[89:90]
	v_fma_f64 v[91:92], v[115:116], v[11:12], v[91:92]
	v_fma_f64 v[93:94], -v[121:122], v[11:12], v[93:94]
	v_cvt_f64_f32_e32 v[99:100], v143
	v_cvt_f64_f32_e32 v[115:116], v167
	;; [unrolled: 1-line block ×3, first 2 shown]
	v_fma_f64 v[79:80], v[119:120], v[11:12], v[79:80]
	v_fma_f64 v[83:84], -v[111:112], v[11:12], v[83:84]
	v_fma_f64 v[97:98], v[123:124], v[11:12], v[9:10]
	global_load_dwordx4 v[9:12], v[95:96], off offset:48
	v_cvt_f64_f32_e32 v[95:96], v151
	v_cvt_f64_f32_e32 v[111:112], v144
	;; [unrolled: 1-line block ×4, first 2 shown]
	s_waitcnt vmcnt(12)
	v_fma_f64 v[81:82], v[85:86], v[17:18], v[81:82]
	v_fma_f64 v[87:88], v[101:102], v[17:18], v[87:88]
	;; [unrolled: 1-line block ×8, first 2 shown]
	v_cvt_f64_f32_e32 v[97:98], v152
	v_fma_f64 v[81:82], -v[101:102], v[19:20], v[81:82]
	v_fma_f64 v[85:86], v[85:86], v[19:20], v[87:88]
	v_fma_f64 v[87:88], -v[105:106], v[19:20], v[89:90]
	v_fma_f64 v[89:90], v[103:104], v[19:20], v[91:92]
	v_fma_f64 v[91:92], -v[109:110], v[19:20], v[93:94]
	v_cvt_f64_f32_e32 v[93:94], v137
	v_cvt_f64_f32_e32 v[101:102], v138
	;; [unrolled: 1-line block ×3, first 2 shown]
	v_fma_f64 v[79:80], v[107:108], v[19:20], v[79:80]
	v_fma_f64 v[83:84], -v[125:126], v[19:20], v[83:84]
	v_fma_f64 v[17:18], v[113:114], v[19:20], v[17:18]
	v_cvt_f64_f32_e32 v[105:106], v162
	v_cvt_f64_f32_e32 v[107:108], v153
	;; [unrolled: 1-line block ×4, first 2 shown]
	s_waitcnt vmcnt(8)
	v_fma_f64 v[19:20], v[95:96], v[43:44], v[81:82]
	v_fma_f64 v[81:82], v[97:98], v[43:44], v[85:86]
	;; [unrolled: 1-line block ×5, first 2 shown]
	v_cvt_f64_f32_e32 v[91:92], v146
	v_fma_f64 v[79:80], v[117:118], v[43:44], v[79:80]
	v_fma_f64 v[83:84], v[119:120], v[43:44], v[83:84]
	;; [unrolled: 1-line block ×3, first 2 shown]
	v_cvt_f64_f32_e32 v[43:44], v145
	v_fma_f64 v[19:20], -v[97:98], v[45:46], v[19:20]
	v_fma_f64 v[81:82], v[95:96], v[45:46], v[81:82]
	v_fma_f64 v[85:86], -v[111:112], v[45:46], v[85:86]
	v_fma_f64 v[87:88], v[99:100], v[45:46], v[87:88]
	v_fma_f64 v[89:90], -v[117:118], v[45:46], v[89:90]
	v_cvt_f64_f32_e32 v[95:96], v139
	v_cvt_f64_f32_e32 v[97:98], v140
	;; [unrolled: 1-line block ×3, first 2 shown]
	v_fma_f64 v[79:80], v[115:116], v[45:46], v[79:80]
	v_fma_f64 v[83:84], -v[121:122], v[45:46], v[83:84]
	v_fma_f64 v[17:18], v[119:120], v[45:46], v[17:18]
	v_cvt_f64_f32_e32 v[111:112], v164
	v_cvt_f64_f32_e32 v[115:116], v156
	s_waitcnt vmcnt(6)
	v_fma_f64 v[19:20], v[43:44], v[47:48], v[19:20]
	v_fma_f64 v[45:46], v[91:92], v[47:48], v[81:82]
	;; [unrolled: 1-line block ×5, first 2 shown]
	v_cvt_f64_f32_e32 v[89:90], v148
	v_fma_f64 v[79:80], v[105:106], v[47:48], v[79:80]
	v_fma_f64 v[83:84], v[107:108], v[47:48], v[83:84]
	;; [unrolled: 1-line block ×3, first 2 shown]
	v_cvt_f64_f32_e32 v[47:48], v147
	v_fma_f64 v[19:20], -v[91:92], v[49:50], v[19:20]
	v_fma_f64 v[43:44], v[43:44], v[49:50], v[45:46]
	v_fma_f64 v[45:46], -v[101:102], v[49:50], v[81:82]
	v_fma_f64 v[81:82], v[93:94], v[49:50], v[85:86]
	v_fma_f64 v[85:86], -v[105:106], v[49:50], v[87:88]
	v_cvt_f64_f32_e32 v[87:88], v174
	v_cvt_f64_f32_e32 v[91:92], v39
	;; [unrolled: 1-line block ×3, first 2 shown]
	v_fma_f64 v[79:80], v[103:104], v[49:50], v[79:80]
	v_fma_f64 v[83:84], -v[109:110], v[49:50], v[83:84]
	v_fma_f64 v[17:18], v[107:108], v[49:50], v[17:18]
	v_cvt_f64_f32_e32 v[93:94], v21
	v_cvt_f64_f32_e32 v[21:22], v22
	s_waitcnt vmcnt(5)
	v_fma_f64 v[19:20], v[47:48], v[59:60], v[19:20]
	v_fma_f64 v[43:44], v[89:90], v[59:60], v[43:44]
	;; [unrolled: 1-line block ×5, first 2 shown]
	v_cvt_f64_f32_e32 v[85:86], v173
	v_fma_f64 v[79:80], v[111:112], v[59:60], v[79:80]
	v_fma_f64 v[83:84], v[113:114], v[59:60], v[83:84]
	;; [unrolled: 1-line block ×3, first 2 shown]
	v_cvt_f64_f32_e32 v[59:60], v13
	v_cvt_f64_f32_e32 v[13:14], v14
	v_fma_f64 v[19:20], -v[89:90], v[61:62], v[19:20]
	v_fma_f64 v[43:44], v[47:48], v[61:62], v[43:44]
	v_fma_f64 v[45:46], -v[97:98], v[61:62], v[45:46]
	v_fma_f64 v[47:48], v[95:96], v[61:62], v[49:50]
	v_fma_f64 v[49:50], -v[111:112], v[61:62], v[81:82]
	v_cvt_f64_f32_e32 v[89:90], v41
	v_cvt_f64_f32_e32 v[41:42], v42
	v_cvt_f64_f32_e32 v[95:96], v23
	v_fma_f64 v[79:80], v[99:100], v[61:62], v[79:80]
	v_fma_f64 v[81:82], -v[115:116], v[61:62], v[83:84]
	v_fma_f64 v[17:18], v[113:114], v[61:62], v[17:18]
	v_cvt_f64_f32_e32 v[83:84], v176
	v_cvt_f64_f32_e32 v[23:24], v24
	s_waitcnt vmcnt(4)
	v_fma_f64 v[19:20], v[59:60], v[63:64], v[19:20]
	v_fma_f64 v[43:44], v[13:14], v[63:64], v[43:44]
	;; [unrolled: 1-line block ×8, first 2 shown]
	v_cvt_f64_f32_e32 v[63:64], v15
	v_cvt_f64_f32_e32 v[15:16], v16
	;; [unrolled: 1-line block ×3, first 2 shown]
	v_fma_f64 v[13:14], -v[13:14], v[65:66], v[19:20]
	v_fma_f64 v[19:20], v[59:60], v[65:66], v[43:44]
	v_fma_f64 v[43:44], -v[87:88], v[65:66], v[45:46]
	v_fma_f64 v[45:46], v[85:86], v[65:66], v[47:48]
	v_fma_f64 v[39:40], -v[39:40], v[65:66], v[49:50]
	v_cvt_f64_f32_e32 v[49:50], v177
	v_cvt_f64_f32_e32 v[59:60], v178
	v_fma_f64 v[47:48], v[91:92], v[65:66], v[61:62]
	v_fma_f64 v[21:22], -v[21:22], v[65:66], v[79:80]
	v_fma_f64 v[17:18], v[93:94], v[65:66], v[17:18]
	v_cvt_f64_f32_e32 v[61:62], v169
	v_cvt_f64_f32_e32 v[65:66], v170
	s_waitcnt vmcnt(3)
	v_fma_f64 v[13:14], v[63:64], v[67:68], v[13:14]
	v_fma_f64 v[19:20], v[15:16], v[67:68], v[19:20]
	;; [unrolled: 1-line block ×8, first 2 shown]
	v_cvt_f64_f32_e32 v[67:68], v35
	v_cvt_f64_f32_e32 v[35:36], v36
	s_waitcnt vmcnt(2)
	v_cvt_f64_f32_e32 v[79:80], v71
	v_cvt_f64_f32_e32 v[71:72], v72
	v_fma_f64 v[13:14], -v[15:16], v[69:70], v[13:14]
	v_fma_f64 v[15:16], v[63:64], v[69:70], v[19:20]
	v_fma_f64 v[19:20], -v[83:84], v[69:70], v[43:44]
	v_fma_f64 v[43:44], v[81:82], v[69:70], v[45:46]
	v_fma_f64 v[39:40], -v[41:42], v[69:70], v[39:40]
	v_cvt_f64_f32_e32 v[45:46], v180
	v_cvt_f64_f32_e32 v[63:64], v172
	v_fma_f64 v[41:42], v[89:90], v[69:70], v[47:48]
	v_fma_f64 v[21:22], -v[23:24], v[69:70], v[21:22]
	v_fma_f64 v[17:18], v[95:96], v[69:70], v[17:18]
	v_cvt_f64_f32_e32 v[47:48], v171
	v_cvt_f64_f32_e32 v[69:70], v37
	;; [unrolled: 1-line block ×3, first 2 shown]
	s_waitcnt vmcnt(1)
	v_fma_f64 v[13:14], v[49:50], v[75:76], v[13:14]
	v_fma_f64 v[15:16], v[59:60], v[75:76], v[15:16]
	;; [unrolled: 1-line block ×5, first 2 shown]
	v_cvt_f64_f32_e32 v[43:44], v179
	v_fma_f64 v[41:42], v[35:36], v[75:76], v[41:42]
	v_fma_f64 v[21:22], v[79:80], v[75:76], v[21:22]
	;; [unrolled: 1-line block ×3, first 2 shown]
	v_cvt_f64_f32_e32 v[75:76], v73
	v_cvt_f64_f32_e32 v[73:74], v74
	v_fma_f64 v[13:14], -v[59:60], v[77:78], v[13:14]
	v_fma_f64 v[15:16], v[49:50], v[77:78], v[15:16]
	v_fma_f64 v[19:20], -v[65:66], v[77:78], v[19:20]
	v_fma_f64 v[23:24], v[61:62], v[77:78], v[23:24]
	;; [unrolled: 2-line block ×4, first 2 shown]
	s_waitcnt vmcnt(0)
	v_fma_f64 v[13:14], v[43:44], v[9:10], v[13:14]
	v_fma_f64 v[15:16], v[45:46], v[9:10], v[15:16]
	;; [unrolled: 1-line block ×8, first 2 shown]
	v_fma_f64 v[41:42], -v[45:46], v[11:12], v[13:14]
	v_fma_f64 v[35:36], v[43:44], v[11:12], v[15:16]
	v_fma_f64 v[49:50], -v[63:64], v[11:12], v[19:20]
	v_fma_f64 v[39:40], v[47:48], v[11:12], v[23:24]
	;; [unrolled: 2-line block ×4, first 2 shown]
	s_andn2_b32 exec_lo, exec_lo, s8
	s_cbranch_execnz .LBB175_21
; %bb.22:
	s_or_b32 exec_lo, exec_lo, s8
.LBB175_23:
	s_or_b32 exec_lo, exec_lo, s7
.LBB175_24:
	s_or_b32 exec_lo, exec_lo, s6
	s_cbranch_execz .LBB175_26
	s_branch .LBB175_37
.LBB175_25:
                                        ; implicit-def: $vgpr35_vgpr36
                                        ; implicit-def: $vgpr41_vgpr42
                                        ; implicit-def: $vgpr39_vgpr40
                                        ; implicit-def: $vgpr49_vgpr50
                                        ; implicit-def: $vgpr45_vgpr46
                                        ; implicit-def: $vgpr47_vgpr48
                                        ; implicit-def: $vgpr43_vgpr44
                                        ; implicit-def: $vgpr37_vgpr38
.LBB175_26:
	v_mov_b32_e32 v35, 0
	v_mov_b32_e32 v41, 0
	v_mov_b32_e32 v39, 0
	v_mov_b32_e32 v49, 0
	v_mov_b32_e32 v45, 0
	v_mov_b32_e32 v47, 0
	v_mov_b32_e32 v43, 0
	v_mov_b32_e32 v37, 0
	v_mov_b32_e32 v36, 0
	v_mov_b32_e32 v42, 0
	v_mov_b32_e32 v40, 0
	v_mov_b32_e32 v50, 0
	v_mov_b32_e32 v46, 0
	v_mov_b32_e32 v48, 0
	v_mov_b32_e32 v44, 0
	v_mov_b32_e32 v38, 0
	s_and_saveexec_b32 s1, s0
	s_cbranch_execz .LBB175_36
; %bb.27:
	v_or_b32_e32 v9, 4, v0
	v_not_b32_e32 v13, v51
	v_sub_co_u32 v14, s0, v27, v0
	v_not_b32_e32 v11, v52
	v_sub_co_u32 v9, vcc_lo, v9, v27
	v_sub_co_ci_u32_e64 v10, null, 0, v28, vcc_lo
	v_subrev_co_ci_u32_e64 v15, null, 0, v28, s0
	v_add_co_u32 v9, vcc_lo, v9, v51
	v_add_co_ci_u32_e64 v10, null, v10, v52, vcc_lo
	v_add_co_u32 v13, s0, v14, v13
	v_add_co_ci_u32_e64 v11, null, v15, v11, s0
	v_cmp_gt_i64_e32 vcc_lo, v[9:10], v[31:32]
	v_mov_b32_e32 v37, 0
	v_mov_b32_e32 v43, 0
	;; [unrolled: 1-line block ×5, first 2 shown]
	v_cndmask_b32_e32 v9, v31, v9, vcc_lo
	v_cndmask_b32_e32 v10, v32, v10, vcc_lo
	v_mov_b32_e32 v39, 0
	v_mov_b32_e32 v41, 0
	;; [unrolled: 1-line block ×3, first 2 shown]
	v_add_co_u32 v9, vcc_lo, v13, v9
	v_mov_b32_e32 v12, 0
	v_mov_b32_e32 v38, 0
	;; [unrolled: 1-line block ×4, first 2 shown]
	v_add_co_ci_u32_e64 v10, null, v11, v10, vcc_lo
	v_and_b32_e32 v11, 12, v9
	v_mov_b32_e32 v46, 0
	v_mov_b32_e32 v50, 0
	;; [unrolled: 1-line block ×5, first 2 shown]
	s_mov_b32 s6, exec_lo
	v_cmpx_ne_u64_e32 12, v[11:12]
	s_cbranch_execz .LBB175_31
; %bb.28:
	v_lshrrev_b32_e32 v13, 2, v9
	v_lshlrev_b64 v[11:12], 3, v[29:30]
	v_mov_b32_e32 v35, 0
	v_mov_b32_e32 v41, 0
	;; [unrolled: 1-line block ×3, first 2 shown]
	v_add_nc_u32_e32 v13, 1, v13
	v_mov_b32_e32 v49, 0
	v_add_co_u32 v11, vcc_lo, s12, v11
	v_mov_b32_e32 v45, 0
	v_and_b32_e32 v13, 3, v13
	v_mov_b32_e32 v47, 0
	v_mov_b32_e32 v43, 0
	;; [unrolled: 1-line block ×4, first 2 shown]
	v_sub_co_u32 v13, s0, 0, v13
	v_mov_b32_e32 v42, 0
	v_mov_b32_e32 v40, 0
	v_add_co_ci_u32_e64 v12, null, s13, v12, vcc_lo
	v_mov_b32_e32 v50, 0
	v_mov_b32_e32 v46, 0
	;; [unrolled: 1-line block ×5, first 2 shown]
	v_sub_co_ci_u32_e64 v14, null, 0, 0, s0
	s_mov_b32 s7, 0
.LBB175_29:                             ; =>This Inner Loop Header: Depth=1
	global_load_dwordx2 v[23:24], v[11:12], off
	s_clause 0x1
	global_load_dwordx4 v[15:18], v[33:34], off offset:16
	global_load_dwordx4 v[19:22], v[33:34], off
	v_add_co_u32 v11, s0, v11, 32
	v_add_co_ci_u32_e64 v12, null, 0, v12, s0
	s_waitcnt vmcnt(2)
	v_sub_co_u32 v23, vcc_lo, v23, v27
	v_sub_co_ci_u32_e64 v24, null, v24, v28, vcc_lo
	s_waitcnt vmcnt(0)
	v_cvt_f64_f32_e32 v[91:92], v21
	v_cvt_f64_f32_e32 v[21:22], v22
	;; [unrolled: 1-line block ×3, first 2 shown]
	v_lshlrev_b64 v[23:24], 6, v[23:24]
	v_cvt_f64_f32_e32 v[15:16], v16
	v_cvt_f64_f32_e32 v[95:96], v17
	;; [unrolled: 1-line block ×3, first 2 shown]
	v_add_co_u32 v23, vcc_lo, s2, v23
	v_add_co_ci_u32_e64 v24, null, s3, v24, vcc_lo
	global_load_dwordx4 v[51:54], v[23:24], off
	s_clause 0x1
	global_load_dwordx4 v[55:58], v[33:34], off offset:32
	global_load_dwordx4 v[59:62], v[33:34], off offset:48
	global_load_dwordx4 v[63:66], v[23:24], off offset:16
	s_clause 0x1
	global_load_dwordx4 v[67:70], v[33:34], off offset:64
	global_load_dwordx4 v[71:74], v[33:34], off offset:80
	global_load_dwordx4 v[75:78], v[23:24], off offset:32
	;; [unrolled: 4-line block ×3, first 2 shown]
	v_cvt_f64_f32_e32 v[23:24], v19
	v_cvt_f64_f32_e32 v[19:20], v20
	v_add_co_u32 v33, vcc_lo, 0x200, v33
	v_add_co_ci_u32_e64 v34, null, 0, v34, vcc_lo
	v_add_co_u32 v13, vcc_lo, v13, 1
	v_add_co_ci_u32_e64 v14, null, 0, v14, vcc_lo
	;; [unrolled: 2-line block ×3, first 2 shown]
	v_cmp_eq_u64_e32 vcc_lo, 0, v[13:14]
	s_or_b32 s7, vcc_lo, s7
	s_waitcnt vmcnt(9)
	v_fma_f64 v[41:42], v[23:24], v[51:52], v[41:42]
	v_fma_f64 v[35:36], v[19:20], v[51:52], v[35:36]
	;; [unrolled: 1-line block ×8, first 2 shown]
	s_waitcnt vmcnt(8)
	v_cvt_f64_f32_e32 v[51:52], v55
	v_cvt_f64_f32_e32 v[55:56], v56
	;; [unrolled: 1-line block ×4, first 2 shown]
	s_waitcnt vmcnt(7)
	v_cvt_f64_f32_e32 v[99:100], v59
	v_cvt_f64_f32_e32 v[59:60], v60
	v_cvt_f64_f32_e32 v[101:102], v61
	v_cvt_f64_f32_e32 v[61:62], v62
	v_fma_f64 v[19:20], -v[19:20], v[53:54], v[41:42]
	v_fma_f64 v[23:24], v[23:24], v[53:54], v[35:36]
	v_fma_f64 v[21:22], -v[21:22], v[53:54], v[49:50]
	v_fma_f64 v[35:36], v[91:92], v[53:54], v[39:40]
	;; [unrolled: 2-line block ×4, first 2 shown]
	s_waitcnt vmcnt(5)
	v_cvt_f64_f32_e32 v[41:42], v67
	v_cvt_f64_f32_e32 v[43:44], v68
	;; [unrolled: 1-line block ×4, first 2 shown]
	s_waitcnt vmcnt(4)
	v_cvt_f64_f32_e32 v[49:50], v71
	v_cvt_f64_f32_e32 v[53:54], v72
	;; [unrolled: 1-line block ×3, first 2 shown]
	s_waitcnt vmcnt(1)
	v_cvt_f64_f32_e32 v[69:70], v85
	v_cvt_f64_f32_e32 v[71:72], v86
	v_fma_f64 v[19:20], v[51:52], v[63:64], v[19:20]
	v_fma_f64 v[23:24], v[55:56], v[63:64], v[23:24]
	v_fma_f64 v[21:22], v[97:98], v[63:64], v[21:22]
	v_fma_f64 v[35:36], v[57:58], v[63:64], v[35:36]
	v_fma_f64 v[15:16], v[99:100], v[63:64], v[15:16]
	v_fma_f64 v[39:40], v[59:60], v[63:64], v[39:40]
	v_fma_f64 v[17:18], v[101:102], v[63:64], v[17:18]
	v_fma_f64 v[37:38], v[61:62], v[63:64], v[37:38]
	v_cvt_f64_f32_e32 v[63:64], v73
	v_fma_f64 v[19:20], -v[55:56], v[65:66], v[19:20]
	v_fma_f64 v[23:24], v[51:52], v[65:66], v[23:24]
	v_fma_f64 v[21:22], -v[57:58], v[65:66], v[21:22]
	v_fma_f64 v[35:36], v[97:98], v[65:66], v[35:36]
	;; [unrolled: 2-line block ×4, first 2 shown]
	v_cvt_f64_f32_e32 v[51:52], v79
	v_cvt_f64_f32_e32 v[55:56], v80
	;; [unrolled: 1-line block ×6, first 2 shown]
	v_fma_f64 v[19:20], v[41:42], v[75:76], v[19:20]
	v_fma_f64 v[23:24], v[43:44], v[75:76], v[23:24]
	v_fma_f64 v[21:22], v[45:46], v[75:76], v[21:22]
	v_fma_f64 v[35:36], v[47:48], v[75:76], v[35:36]
	v_fma_f64 v[15:16], v[49:50], v[75:76], v[15:16]
	v_fma_f64 v[39:40], v[53:54], v[75:76], v[39:40]
	v_fma_f64 v[17:18], v[63:64], v[75:76], v[17:18]
	v_fma_f64 v[37:38], v[67:68], v[75:76], v[37:38]
	v_fma_f64 v[19:20], -v[43:44], v[77:78], v[19:20]
	v_fma_f64 v[23:24], v[41:42], v[77:78], v[23:24]
	v_fma_f64 v[21:22], -v[47:48], v[77:78], v[21:22]
	v_fma_f64 v[35:36], v[45:46], v[77:78], v[35:36]
	;; [unrolled: 2-line block ×4, first 2 shown]
	s_waitcnt vmcnt(0)
	v_fma_f64 v[19:20], v[51:52], v[87:88], v[19:20]
	v_fma_f64 v[23:24], v[55:56], v[87:88], v[23:24]
	;; [unrolled: 1-line block ×8, first 2 shown]
	v_fma_f64 v[41:42], -v[55:56], v[89:90], v[19:20]
	v_fma_f64 v[35:36], v[51:52], v[89:90], v[23:24]
	v_fma_f64 v[49:50], -v[59:60], v[89:90], v[21:22]
	v_fma_f64 v[39:40], v[57:58], v[89:90], v[43:44]
	;; [unrolled: 2-line block ×4, first 2 shown]
	s_andn2_b32 exec_lo, exec_lo, s7
	s_cbranch_execnz .LBB175_29
; %bb.30:
	s_or_b32 exec_lo, exec_lo, s7
.LBB175_31:
	s_or_b32 exec_lo, exec_lo, s6
	s_mov_b32 s6, exec_lo
	v_cmpx_lt_u64_e32 11, v[9:10]
	s_cbranch_execz .LBB175_35
; %bb.32:
	v_lshlrev_b64 v[9:10], 3, v[29:30]
	s_mov_b32 s7, 0
	v_add_co_u32 v9, vcc_lo, s12, v9
	v_add_co_ci_u32_e64 v10, null, s13, v10, vcc_lo
	v_add_co_u32 v17, vcc_lo, v9, 64
	v_add_co_ci_u32_e64 v18, null, 0, v10, vcc_lo
.LBB175_33:                             ; =>This Inner Loop Header: Depth=1
	s_clause 0x1
	global_load_dwordx2 v[23:24], v[17:18], off offset:-64
	global_load_dwordx2 v[95:96], v[17:18], off offset:-32
	s_clause 0x3
	global_load_dwordx4 v[19:22], v[33:34], off
	global_load_dwordx4 v[51:54], v[33:34], off offset:16
	global_load_dwordx4 v[13:16], v[33:34], off offset:32
	;; [unrolled: 1-line block ×3, first 2 shown]
	s_clause 0x1
	global_load_dwordx2 v[139:140], v[17:18], off
	global_load_dwordx2 v[141:142], v[17:18], off offset:32
	v_add_co_u32 v17, s0, 0x80, v17
	v_add_co_ci_u32_e64 v18, null, 0, v18, s0
	s_waitcnt vmcnt(7)
	v_sub_co_u32 v23, vcc_lo, v23, v27
	v_sub_co_ci_u32_e64 v24, null, v24, v28, vcc_lo
	s_waitcnt vmcnt(5)
	v_cvt_f64_f32_e32 v[143:144], v19
	v_cvt_f64_f32_e32 v[19:20], v20
	;; [unrolled: 1-line block ×3, first 2 shown]
	v_lshlrev_b64 v[23:24], 6, v[23:24]
	v_cvt_f64_f32_e32 v[21:22], v22
	s_waitcnt vmcnt(4)
	v_cvt_f64_f32_e32 v[147:148], v51
	v_cvt_f64_f32_e32 v[51:52], v52
	;; [unrolled: 1-line block ×4, first 2 shown]
	v_add_co_u32 v23, vcc_lo, s2, v23
	v_add_co_ci_u32_e64 v24, null, s3, v24, vcc_lo
	v_sub_co_u32 v99, vcc_lo, v95, v27
	v_sub_co_ci_u32_e64 v100, null, v96, v28, vcc_lo
	global_load_dwordx4 v[55:58], v[23:24], off
	global_load_dwordx4 v[59:62], v[33:34], off offset:64
	global_load_dwordx4 v[63:66], v[23:24], off offset:16
	s_clause 0x1
	global_load_dwordx4 v[67:70], v[33:34], off offset:80
	global_load_dwordx4 v[71:74], v[33:34], off offset:96
	;; [unrolled: 1-line block ×3, first 2 shown]
	s_clause 0x3
	global_load_dwordx4 v[79:82], v[33:34], off offset:112
	global_load_dwordx4 v[83:86], v[33:34], off offset:512
	;; [unrolled: 1-line block ×5, first 2 shown]
	s_waitcnt vmcnt(13)
	v_cvt_f64_f32_e32 v[159:160], v9
	v_lshlrev_b64 v[23:24], 6, v[99:100]
	v_cvt_f64_f32_e32 v[161:162], v10
	v_cvt_f64_f32_e32 v[163:164], v11
	;; [unrolled: 1-line block ×5, first 2 shown]
	v_add_co_u32 v23, vcc_lo, s2, v23
	v_add_co_ci_u32_e64 v24, null, s3, v24, vcc_lo
	s_waitcnt vmcnt(12)
	v_sub_co_u32 v139, vcc_lo, v139, v27
	global_load_dwordx4 v[99:102], v[23:24], off
	global_load_dwordx4 v[103:106], v[33:34], off offset:560
	global_load_dwordx4 v[107:110], v[23:24], off offset:16
	s_clause 0x1
	global_load_dwordx4 v[111:114], v[33:34], off offset:576
	global_load_dwordx4 v[115:118], v[33:34], off offset:592
	;; [unrolled: 1-line block ×3, first 2 shown]
	s_clause 0x3
	global_load_dwordx4 v[123:126], v[33:34], off offset:608
	global_load_dwordx4 v[127:130], v[33:34], off offset:624
	;; [unrolled: 1-line block ×5, first 2 shown]
	v_sub_co_ci_u32_e64 v140, null, v140, v28, vcc_lo
	v_cvt_f64_f32_e32 v[155:156], v15
	v_cvt_f64_f32_e32 v[157:158], v16
	s_waitcnt vmcnt(21)
	v_fma_f64 v[23:24], v[19:20], v[55:56], v[35:36]
	v_fma_f64 v[35:36], v[145:146], v[55:56], v[49:50]
	;; [unrolled: 1-line block ×8, first 2 shown]
	s_waitcnt vmcnt(20)
	v_cvt_f64_f32_e32 v[167:168], v59
	v_cvt_f64_f32_e32 v[59:60], v60
	;; [unrolled: 1-line block ×4, first 2 shown]
	v_fma_f64 v[23:24], v[143:144], v[57:58], v[23:24]
	v_fma_f64 v[49:50], -v[21:22], v[57:58], v[35:36]
	v_lshlrev_b64 v[35:36], 6, v[139:140]
	v_fma_f64 v[47:48], -v[19:20], v[57:58], v[13:14]
	v_fma_f64 v[39:40], v[145:146], v[57:58], v[39:40]
	v_fma_f64 v[41:42], -v[51:52], v[57:58], v[41:42]
	v_fma_f64 v[45:46], v[147:148], v[57:58], v[45:46]
	v_fma_f64 v[51:52], -v[53:54], v[57:58], v[37:38]
	v_fma_f64 v[43:44], v[149:150], v[57:58], v[43:44]
	v_add_co_u32 v139, vcc_lo, s2, v35
	v_add_co_ci_u32_e64 v140, null, s3, v36, vcc_lo
	s_clause 0x1
	global_load_dwordx4 v[13:16], v[33:34], off offset:1056
	global_load_dwordx4 v[19:22], v[33:34], off offset:1072
	s_waitcnt vmcnt(20)
	v_cvt_f64_f32_e32 v[143:144], v67
	global_load_dwordx4 v[35:38], v[139:140], off
	v_cvt_f64_f32_e32 v[67:68], v68
	v_cvt_f64_f32_e32 v[145:146], v69
	;; [unrolled: 1-line block ×3, first 2 shown]
	s_waitcnt vmcnt(20)
	v_cvt_f64_f32_e32 v[147:148], v71
	v_cvt_f64_f32_e32 v[71:72], v72
	v_fma_f64 v[23:24], v[153:154], v[63:64], v[23:24]
	v_fma_f64 v[49:50], v[155:156], v[63:64], v[49:50]
	v_cvt_f64_f32_e32 v[149:150], v73
	v_fma_f64 v[47:48], v[151:152], v[63:64], v[47:48]
	v_fma_f64 v[53:54], v[157:158], v[63:64], v[39:40]
	;; [unrolled: 1-line block ×6, first 2 shown]
	s_clause 0x1
	global_load_dwordx4 v[39:42], v[33:34], off offset:1088
	global_load_dwordx4 v[43:46], v[33:34], off offset:1104
	v_cvt_f64_f32_e32 v[73:74], v74
	v_sub_co_u32 v141, vcc_lo, v141, v27
	v_sub_co_ci_u32_e64 v142, null, v142, v28, vcc_lo
	v_lshlrev_b64 v[141:142], 6, v[141:142]
	v_fma_f64 v[23:24], v[151:152], v[65:66], v[23:24]
	v_fma_f64 v[151:152], -v[157:158], v[65:66], v[49:50]
	s_waitcnt vmcnt(20)
	v_cvt_f64_f32_e32 v[157:158], v81
	v_fma_f64 v[153:154], -v[153:154], v[65:66], v[47:48]
	v_fma_f64 v[53:54], v[155:156], v[65:66], v[53:54]
	v_fma_f64 v[55:56], -v[161:162], v[65:66], v[55:56]
	v_fma_f64 v[57:58], v[159:160], v[65:66], v[57:58]
	;; [unrolled: 2-line block ×3, first 2 shown]
	global_load_dwordx4 v[47:50], v[139:140], off offset:16
	v_cvt_f64_f32_e32 v[155:156], v79
	v_cvt_f64_f32_e32 v[79:80], v80
	s_waitcnt vmcnt(20)
	v_cvt_f64_f32_e32 v[165:166], v85
	v_cvt_f64_f32_e32 v[85:86], v86
	v_add_co_u32 v141, vcc_lo, s2, v141
	v_add_co_ci_u32_e64 v142, null, s3, v142, vcc_lo
	v_add_co_u32 v29, vcc_lo, v29, 16
	v_add_co_ci_u32_e64 v30, null, 0, v30, vcc_lo
	v_fma_f64 v[23:24], v[59:60], v[75:76], v[23:24]
	v_fma_f64 v[151:152], v[169:170], v[75:76], v[151:152]
	;; [unrolled: 1-line block ×8, first 2 shown]
	v_cvt_f64_f32_e32 v[75:76], v82
	s_clause 0x1
	global_load_dwordx4 v[51:54], v[33:34], off offset:1136
	global_load_dwordx4 v[55:58], v[33:34], off offset:1120
	v_cvt_f64_f32_e32 v[81:82], v83
	v_cvt_f64_f32_e32 v[83:84], v84
	v_fma_f64 v[23:24], v[167:168], v[77:78], v[23:24]
	v_fma_f64 v[151:152], -v[61:62], v[77:78], v[151:152]
	s_waitcnt vmcnt(21)
	v_cvt_f64_f32_e32 v[167:168], v87
	v_fma_f64 v[65:66], -v[59:60], v[77:78], v[65:66]
	v_fma_f64 v[153:154], v[169:170], v[77:78], v[153:154]
	v_fma_f64 v[67:68], -v[67:68], v[77:78], v[159:160]
	v_fma_f64 v[143:144], v[143:144], v[77:78], v[161:162]
	;; [unrolled: 2-line block ×3, first 2 shown]
	global_load_dwordx4 v[59:62], v[139:140], off offset:32
	v_cvt_f64_f32_e32 v[77:78], v88
	v_cvt_f64_f32_e32 v[87:88], v89
	;; [unrolled: 1-line block ×3, first 2 shown]
	s_waitcnt vmcnt(21)
	v_cvt_f64_f32_e32 v[161:162], v91
	v_cvt_f64_f32_e32 v[91:92], v92
	;; [unrolled: 1-line block ×4, first 2 shown]
	s_waitcnt vmcnt(20)
	v_fma_f64 v[23:24], v[71:72], v[95:96], v[23:24]
	v_fma_f64 v[145:146], v[149:150], v[95:96], v[151:152]
	;; [unrolled: 1-line block ×8, first 2 shown]
	global_load_dwordx4 v[67:70], v[33:34], off offset:1536
	v_fma_f64 v[23:24], v[147:148], v[97:98], v[23:24]
	v_fma_f64 v[145:146], -v[73:74], v[97:98], v[145:146]
	v_fma_f64 v[169:170], -v[71:72], v[97:98], v[65:66]
	v_fma_f64 v[147:148], v[149:150], v[97:98], v[151:152]
	v_fma_f64 v[79:80], -v[79:80], v[97:98], v[153:154]
	v_fma_f64 v[143:144], v[155:156], v[97:98], v[143:144]
	;; [unrolled: 2-line block ×3, first 2 shown]
	global_load_dwordx4 v[71:74], v[139:140], off offset:48
	global_load_dwordx4 v[63:66], v[33:34], off offset:1552
	s_waitcnt vmcnt(21)
	v_cvt_f64_f32_e32 v[149:150], v103
	s_waitcnt vmcnt(18)
	v_cvt_f64_f32_e32 v[151:152], v117
	v_cvt_f64_f32_e32 v[117:118], v118
	s_waitcnt vmcnt(15)
	v_cvt_f64_f32_e32 v[153:154], v127
	v_cvt_f64_f32_e32 v[127:128], v128
	;; [unrolled: 1-line block ×4, first 2 shown]
	s_waitcnt vmcnt(13)
	v_cvt_f64_f32_e32 v[157:158], v137
	v_cvt_f64_f32_e32 v[137:138], v138
	v_fma_f64 v[23:24], v[83:84], v[99:100], v[23:24]
	v_fma_f64 v[139:140], v[165:166], v[99:100], v[145:146]
	;; [unrolled: 1-line block ×8, first 2 shown]
	v_cvt_f64_f32_e32 v[99:100], v104
	v_cvt_f64_f32_e32 v[103:104], v105
	;; [unrolled: 1-line block ×5, first 2 shown]
	v_fma_f64 v[23:24], v[81:82], v[101:102], v[23:24]
	v_fma_f64 v[85:86], -v[85:86], v[101:102], v[139:140]
	v_fma_f64 v[83:84], -v[83:84], v[101:102], v[97:98]
	v_fma_f64 v[97:98], v[165:166], v[101:102], v[145:146]
	v_fma_f64 v[139:140], -v[77:78], v[101:102], v[79:80]
	v_fma_f64 v[143:144], v[167:168], v[101:102], v[143:144]
	;; [unrolled: 2-line block ×3, first 2 shown]
	global_load_dwordx4 v[75:78], v[141:142], off
	global_load_dwordx4 v[79:82], v[33:34], off offset:1568
	v_cvt_f64_f32_e32 v[145:146], v113
	v_cvt_f64_f32_e32 v[113:114], v114
	v_fma_f64 v[23:24], v[91:92], v[107:108], v[23:24]
	v_fma_f64 v[101:102], v[163:164], v[107:108], v[85:86]
	;; [unrolled: 1-line block ×8, first 2 shown]
	global_load_dwordx4 v[83:86], v[33:34], off offset:1584
	v_cvt_f64_f32_e32 v[107:108], v111
	v_cvt_f64_f32_e32 v[111:112], v112
	v_fma_f64 v[23:24], v[161:162], v[109:110], v[23:24]
	v_fma_f64 v[101:102], -v[93:94], v[109:110], v[101:102]
	v_fma_f64 v[95:96], -v[91:92], v[109:110], v[95:96]
	v_fma_f64 v[97:98], v[163:164], v[109:110], v[97:98]
	v_fma_f64 v[99:100], -v[99:100], v[109:110], v[139:140]
	v_fma_f64 v[139:140], v[149:150], v[109:110], v[143:144]
	;; [unrolled: 2-line block ×3, first 2 shown]
	global_load_dwordx4 v[87:90], v[141:142], off offset:16
	global_load_dwordx4 v[91:94], v[33:34], off offset:1600
	v_cvt_f64_f32_e32 v[149:150], v125
	v_cvt_f64_f32_e32 v[125:126], v126
	v_fma_f64 v[23:24], v[111:112], v[119:120], v[23:24]
	v_fma_f64 v[101:102], v[145:146], v[119:120], v[101:102]
	;; [unrolled: 1-line block ×8, first 2 shown]
	global_load_dwordx4 v[95:98], v[33:34], off offset:1616
	v_cvt_f64_f32_e32 v[119:120], v123
	v_cvt_f64_f32_e32 v[123:124], v124
	v_fma_f64 v[23:24], v[107:108], v[121:122], v[23:24]
	v_fma_f64 v[113:114], -v[113:114], v[121:122], v[101:102]
	v_fma_f64 v[111:112], -v[111:112], v[121:122], v[109:110]
	v_fma_f64 v[143:144], v[145:146], v[121:122], v[143:144]
	v_fma_f64 v[115:116], -v[115:116], v[121:122], v[99:100]
	v_fma_f64 v[139:140], v[147:148], v[121:122], v[139:140]
	v_fma_f64 v[117:118], -v[117:118], v[121:122], v[105:106]
	v_fma_f64 v[121:122], v[151:152], v[121:122], v[103:104]
	s_clause 0x1
	global_load_dwordx4 v[99:102], v[141:142], off offset:32
	global_load_dwordx4 v[103:106], v[141:142], off offset:48
	global_load_dwordx4 v[107:110], v[33:34], off offset:1632
	v_cvt_f64_f32_e32 v[147:148], v133
	v_cvt_f64_f32_e32 v[133:134], v134
	;; [unrolled: 1-line block ×4, first 2 shown]
	s_waitcnt vmcnt(21)
	v_fma_f64 v[23:24], v[123:124], v[9:10], v[23:24]
	v_fma_f64 v[145:146], v[149:150], v[9:10], v[113:114]
	;; [unrolled: 1-line block ×8, first 2 shown]
	global_load_dwordx4 v[111:114], v[33:34], off offset:1648
	v_cvt_f64_f32_e32 v[121:122], v131
	v_cvt_f64_f32_e32 v[131:132], v132
	v_add_co_u32 v33, vcc_lo, 0x800, v33
	v_add_co_ci_u32_e64 v34, null, 0, v34, vcc_lo
	v_cmp_ge_i64_e32 vcc_lo, v[29:30], v[31:32]
	s_or_b32 s7, vcc_lo, s7
	v_fma_f64 v[23:24], v[119:120], v[11:12], v[23:24]
	v_fma_f64 v[119:120], -v[125:126], v[11:12], v[145:146]
	v_fma_f64 v[123:124], -v[123:124], v[11:12], v[141:142]
	v_fma_f64 v[125:126], v[149:150], v[11:12], v[143:144]
	v_fma_f64 v[115:116], -v[127:128], v[11:12], v[115:116]
	v_fma_f64 v[127:128], v[153:154], v[11:12], v[139:140]
	;; [unrolled: 2-line block ×3, first 2 shown]
	s_waitcnt vmcnt(20)
	v_cvt_f64_f32_e32 v[129:130], v19
	v_cvt_f64_f32_e32 v[19:20], v20
	s_waitcnt vmcnt(19)
	v_fma_f64 v[11:12], v[121:122], v[35:36], v[123:124]
	v_fma_f64 v[23:24], v[131:132], v[35:36], v[23:24]
	;; [unrolled: 1-line block ×8, first 2 shown]
	v_cvt_f64_f32_e32 v[35:36], v13
	v_cvt_f64_f32_e32 v[13:14], v14
	;; [unrolled: 1-line block ×6, first 2 shown]
	v_fma_f64 v[11:12], -v[131:132], v[37:38], v[11:12]
	v_fma_f64 v[23:24], v[121:122], v[37:38], v[23:24]
	v_fma_f64 v[119:120], -v[133:134], v[37:38], v[119:120]
	v_fma_f64 v[121:122], v[147:148], v[37:38], v[123:124]
	;; [unrolled: 2-line block ×4, first 2 shown]
	s_waitcnt vmcnt(17)
	v_cvt_f64_f32_e32 v[125:126], v43
	v_cvt_f64_f32_e32 v[43:44], v44
	;; [unrolled: 1-line block ×4, first 2 shown]
	s_waitcnt vmcnt(16)
	v_fma_f64 v[11:12], v[35:36], v[47:48], v[11:12]
	v_fma_f64 v[23:24], v[13:14], v[47:48], v[23:24]
	;; [unrolled: 1-line block ×8, first 2 shown]
	v_cvt_f64_f32_e32 v[47:48], v39
	v_cvt_f64_f32_e32 v[39:40], v40
	;; [unrolled: 1-line block ×4, first 2 shown]
	v_fma_f64 v[11:12], -v[13:14], v[49:50], v[11:12]
	v_fma_f64 v[13:14], v[35:36], v[49:50], v[23:24]
	v_fma_f64 v[15:16], -v[15:16], v[49:50], v[37:38]
	v_fma_f64 v[23:24], v[127:128], v[49:50], v[119:120]
	;; [unrolled: 2-line block ×4, first 2 shown]
	s_waitcnt vmcnt(14)
	v_cvt_f64_f32_e32 v[37:38], v55
	v_cvt_f64_f32_e32 v[49:50], v56
	;; [unrolled: 1-line block ×6, first 2 shown]
	s_waitcnt vmcnt(13)
	v_fma_f64 v[11:12], v[47:48], v[59:60], v[11:12]
	v_fma_f64 v[13:14], v[39:40], v[59:60], v[13:14]
	;; [unrolled: 1-line block ×8, first 2 shown]
	v_cvt_f64_f32_e32 v[59:60], v51
	v_cvt_f64_f32_e32 v[51:52], v52
	v_fma_f64 v[11:12], -v[39:40], v[61:62], v[11:12]
	v_fma_f64 v[13:14], v[47:48], v[61:62], v[13:14]
	v_fma_f64 v[15:16], -v[41:42], v[61:62], v[15:16]
	v_fma_f64 v[23:24], v[123:124], v[61:62], v[23:24]
	;; [unrolled: 2-line block ×4, first 2 shown]
	s_waitcnt vmcnt(12)
	v_cvt_f64_f32_e32 v[39:40], v67
	v_cvt_f64_f32_e32 v[41:42], v68
	;; [unrolled: 1-line block ×4, first 2 shown]
	s_waitcnt vmcnt(10)
	v_cvt_f64_f32_e32 v[47:48], v63
	v_cvt_f64_f32_e32 v[61:62], v64
	;; [unrolled: 1-line block ×4, first 2 shown]
	v_fma_f64 v[11:12], v[37:38], v[71:72], v[11:12]
	v_fma_f64 v[13:14], v[49:50], v[71:72], v[13:14]
	;; [unrolled: 1-line block ×8, first 2 shown]
	v_fma_f64 v[11:12], -v[49:50], v[73:74], v[11:12]
	v_fma_f64 v[13:14], v[37:38], v[73:74], v[13:14]
	v_fma_f64 v[15:16], -v[57:58], v[73:74], v[15:16]
	v_fma_f64 v[23:24], v[55:56], v[73:74], v[23:24]
	v_fma_f64 v[19:20], -v[51:52], v[73:74], v[19:20]
	v_fma_f64 v[35:36], v[59:60], v[73:74], v[35:36]
	v_fma_f64 v[21:22], -v[53:54], v[73:74], v[21:22]
	v_fma_f64 v[9:10], v[115:116], v[73:74], v[9:10]
	s_waitcnt vmcnt(8)
	v_cvt_f64_f32_e32 v[37:38], v79
	v_cvt_f64_f32_e32 v[49:50], v80
	v_cvt_f64_f32_e32 v[51:52], v81
	v_cvt_f64_f32_e32 v[53:54], v82
	v_fma_f64 v[11:12], v[39:40], v[75:76], v[11:12]
	v_fma_f64 v[13:14], v[41:42], v[75:76], v[13:14]
	v_fma_f64 v[15:16], v[43:44], v[75:76], v[15:16]
	v_fma_f64 v[23:24], v[45:46], v[75:76], v[23:24]
	v_fma_f64 v[19:20], v[47:48], v[75:76], v[19:20]
	v_fma_f64 v[35:36], v[61:62], v[75:76], v[35:36]
	v_fma_f64 v[21:22], v[63:64], v[75:76], v[21:22]
	v_fma_f64 v[9:10], v[65:66], v[75:76], v[9:10]
	s_waitcnt vmcnt(7)
	v_cvt_f64_f32_e32 v[55:56], v83
	v_cvt_f64_f32_e32 v[57:58], v84
	v_cvt_f64_f32_e32 v[59:60], v85
	v_cvt_f64_f32_e32 v[67:68], v86
	v_fma_f64 v[11:12], -v[41:42], v[77:78], v[11:12]
	v_fma_f64 v[13:14], v[39:40], v[77:78], v[13:14]
	v_fma_f64 v[15:16], -v[45:46], v[77:78], v[15:16]
	v_fma_f64 v[23:24], v[43:44], v[77:78], v[23:24]
	v_fma_f64 v[19:20], -v[61:62], v[77:78], v[19:20]
	v_fma_f64 v[35:36], v[47:48], v[77:78], v[35:36]
	v_fma_f64 v[21:22], -v[65:66], v[77:78], v[21:22]
	v_fma_f64 v[9:10], v[63:64], v[77:78], v[9:10]
	s_waitcnt vmcnt(5)
	v_cvt_f64_f32_e32 v[39:40], v91
	v_cvt_f64_f32_e32 v[41:42], v92
	v_cvt_f64_f32_e32 v[43:44], v93
	v_cvt_f64_f32_e32 v[45:46], v94
	v_fma_f64 v[11:12], v[37:38], v[87:88], v[11:12]
	v_fma_f64 v[13:14], v[49:50], v[87:88], v[13:14]
	v_fma_f64 v[15:16], v[51:52], v[87:88], v[15:16]
	v_fma_f64 v[23:24], v[53:54], v[87:88], v[23:24]
	v_fma_f64 v[19:20], v[55:56], v[87:88], v[19:20]
	v_fma_f64 v[35:36], v[57:58], v[87:88], v[35:36]
	v_fma_f64 v[21:22], v[59:60], v[87:88], v[21:22]
	v_fma_f64 v[9:10], v[67:68], v[87:88], v[9:10]
	s_waitcnt vmcnt(4)
	v_cvt_f64_f32_e32 v[47:48], v95
	v_cvt_f64_f32_e32 v[61:62], v96
	v_cvt_f64_f32_e32 v[63:64], v97
	v_cvt_f64_f32_e32 v[65:66], v98
	;; [unrolled: 26-line block ×3, first 2 shown]
	v_fma_f64 v[11:12], -v[41:42], v[101:102], v[11:12]
	v_fma_f64 v[13:14], v[39:40], v[101:102], v[13:14]
	v_fma_f64 v[15:16], -v[45:46], v[101:102], v[15:16]
	v_fma_f64 v[23:24], v[43:44], v[101:102], v[23:24]
	v_fma_f64 v[19:20], -v[61:62], v[101:102], v[19:20]
	v_fma_f64 v[35:36], v[47:48], v[101:102], v[35:36]
	v_fma_f64 v[21:22], -v[65:66], v[101:102], v[21:22]
	v_fma_f64 v[9:10], v[63:64], v[101:102], v[9:10]
	v_fma_f64 v[11:12], v[37:38], v[103:104], v[11:12]
	v_fma_f64 v[13:14], v[49:50], v[103:104], v[13:14]
	;; [unrolled: 1-line block ×8, first 2 shown]
	v_fma_f64 v[41:42], -v[49:50], v[105:106], v[11:12]
	v_fma_f64 v[35:36], v[37:38], v[105:106], v[13:14]
	v_fma_f64 v[49:50], -v[53:54], v[105:106], v[15:16]
	v_fma_f64 v[39:40], v[51:52], v[105:106], v[23:24]
	;; [unrolled: 2-line block ×4, first 2 shown]
	s_andn2_b32 exec_lo, exec_lo, s7
	s_cbranch_execnz .LBB175_33
; %bb.34:
	s_or_b32 exec_lo, exec_lo, s7
.LBB175_35:
	s_or_b32 exec_lo, exec_lo, s6
.LBB175_36:
	s_or_b32 exec_lo, exec_lo, s1
.LBB175_37:
	v_mbcnt_lo_u32_b32 v31, -1, 0
	v_xor_b32_e32 v9, 2, v31
	v_xor_b32_e32 v32, 1, v31
	v_cmp_gt_i32_e32 vcc_lo, 32, v9
	v_cndmask_b32_e32 v9, v31, v9, vcc_lo
	v_cmp_gt_i32_e32 vcc_lo, 32, v32
	v_lshlrev_b32_e32 v23, 2, v9
	v_cndmask_b32_e32 v31, v31, v32, vcc_lo
	v_cmp_eq_u32_e32 vcc_lo, 3, v0
	ds_bpermute_b32 v9, v23, v41
	ds_bpermute_b32 v10, v23, v42
	;; [unrolled: 1-line block ×16, first 2 shown]
	s_waitcnt lgkmcnt(14)
	v_add_f64 v[9:10], v[41:42], v[9:10]
	s_waitcnt lgkmcnt(12)
	v_add_f64 v[29:30], v[35:36], v[11:12]
	v_lshlrev_b32_e32 v36, 2, v31
	s_waitcnt lgkmcnt(10)
	v_add_f64 v[11:12], v[49:50], v[13:14]
	s_waitcnt lgkmcnt(8)
	v_add_f64 v[23:24], v[39:40], v[15:16]
	;; [unrolled: 2-line block ×6, first 2 shown]
	ds_bpermute_b32 v21, v36, v9
	ds_bpermute_b32 v22, v36, v10
	ds_bpermute_b32 v41, v36, v29
	ds_bpermute_b32 v42, v36, v30
	ds_bpermute_b32 v27, v36, v11
	ds_bpermute_b32 v28, v36, v12
	ds_bpermute_b32 v39, v36, v23
	ds_bpermute_b32 v40, v36, v24
	ds_bpermute_b32 v31, v36, v13
	ds_bpermute_b32 v32, v36, v14
	ds_bpermute_b32 v37, v36, v17
	ds_bpermute_b32 v38, v36, v18
	ds_bpermute_b32 v33, v36, v15
	ds_bpermute_b32 v34, v36, v16
	ds_bpermute_b32 v35, v36, v19
	ds_bpermute_b32 v36, v36, v20
	s_and_b32 exec_lo, exec_lo, vcc_lo
	s_cbranch_execz .LBB175_8
; %bb.38:
	s_waitcnt lgkmcnt(12)
	v_add_f64 v[29:30], v[29:30], v[41:42]
	s_waitcnt lgkmcnt(8)
	v_add_f64 v[23:24], v[23:24], v[39:40]
	s_waitcnt lgkmcnt(4)
	v_add_f64 v[17:18], v[17:18], v[37:38]
	s_waitcnt lgkmcnt(0)
	v_add_f64 v[19:20], v[19:20], v[35:36]
	v_add_f64 v[9:10], v[9:10], v[21:22]
	v_add_f64 v[11:12], v[11:12], v[27:28]
	v_add_f64 v[21:22], v[13:14], v[31:32]
	v_add_f64 v[27:28], v[15:16], v[33:34]
	v_cmp_eq_f64_e32 vcc_lo, 0, v[1:2]
	v_cmp_eq_f64_e64 s0, 0, v[3:4]
	s_load_dwordx2 s[2:3], s[4:5], 0x68
	v_mul_f64 v[13:14], v[29:30], -v[7:8]
	v_mul_f64 v[15:16], v[5:6], v[29:30]
	v_mul_f64 v[29:30], v[23:24], -v[7:8]
	v_mul_f64 v[23:24], v[5:6], v[23:24]
	;; [unrolled: 2-line block ×4, first 2 shown]
	s_and_b32 s0, vcc_lo, s0
	v_fma_f64 v[17:18], v[5:6], v[9:10], v[13:14]
	v_fma_f64 v[19:20], v[7:8], v[9:10], v[15:16]
	;; [unrolled: 1-line block ×8, first 2 shown]
	v_lshlrev_b64 v[21:22], 6, v[25:26]
	s_and_saveexec_b32 s1, s0
	s_xor_b32 s0, exec_lo, s1
	s_cbranch_execz .LBB175_40
; %bb.39:
	s_waitcnt lgkmcnt(0)
	v_add_co_u32 v0, vcc_lo, s2, v21
	v_add_co_ci_u32_e64 v1, null, s3, v22, vcc_lo
                                        ; implicit-def: $vgpr21_vgpr22
	global_store_dwordx4 v[0:1], v[17:20], off
	global_store_dwordx4 v[0:1], v[13:16], off offset:16
	global_store_dwordx4 v[0:1], v[9:12], off offset:32
	;; [unrolled: 1-line block ×3, first 2 shown]
                                        ; implicit-def: $vgpr3_vgpr4
                                        ; implicit-def: $vgpr17_vgpr18
                                        ; implicit-def: $vgpr13_vgpr14
                                        ; implicit-def: $vgpr9_vgpr10
                                        ; implicit-def: $vgpr5_vgpr6
.LBB175_40:
	s_andn2_saveexec_b32 s0, s0
	s_cbranch_execz .LBB175_8
; %bb.41:
	s_waitcnt lgkmcnt(0)
	v_add_co_u32 v37, vcc_lo, s2, v21
	v_add_co_ci_u32_e64 v38, null, s3, v22, vcc_lo
	s_clause 0x3
	global_load_dwordx4 v[21:24], v[37:38], off
	global_load_dwordx4 v[25:28], v[37:38], off offset:16
	global_load_dwordx4 v[29:32], v[37:38], off offset:32
	;; [unrolled: 1-line block ×3, first 2 shown]
	s_waitcnt vmcnt(3)
	v_fma_f64 v[17:18], v[1:2], v[21:22], v[17:18]
	v_fma_f64 v[19:20], v[3:4], v[21:22], v[19:20]
	s_waitcnt vmcnt(2)
	v_fma_f64 v[13:14], v[1:2], v[25:26], v[13:14]
	v_fma_f64 v[15:16], v[3:4], v[25:26], v[15:16]
	;; [unrolled: 3-line block ×4, first 2 shown]
	v_fma_f64 v[5:6], -v[3:4], v[23:24], v[17:18]
	v_fma_f64 v[7:8], v[1:2], v[23:24], v[19:20]
	v_fma_f64 v[9:10], -v[3:4], v[27:28], v[13:14]
	v_fma_f64 v[11:12], v[1:2], v[27:28], v[15:16]
	;; [unrolled: 2-line block ×4, first 2 shown]
	global_store_dwordx4 v[37:38], v[5:8], off
	global_store_dwordx4 v[37:38], v[9:12], off offset:16
	global_store_dwordx4 v[37:38], v[13:16], off offset:32
	;; [unrolled: 1-line block ×3, first 2 shown]
	s_endpgm
	.section	.rodata,"a",@progbits
	.p2align	6, 0x0
	.amdhsa_kernel _ZN9rocsparseL18bsrxmvn_4x4_kernelILj128ELj4E21rocsparse_complex_numIdEllS1_IfES2_S2_EEvT3_20rocsparse_direction_NS_24const_host_device_scalarIT1_EES4_PKS4_PKT2_SD_SA_PKT4_PKT5_S8_PT6_21rocsparse_index_base_b
		.amdhsa_group_segment_fixed_size 0
		.amdhsa_private_segment_fixed_size 0
		.amdhsa_kernarg_size 120
		.amdhsa_user_sgpr_count 6
		.amdhsa_user_sgpr_private_segment_buffer 1
		.amdhsa_user_sgpr_dispatch_ptr 0
		.amdhsa_user_sgpr_queue_ptr 0
		.amdhsa_user_sgpr_kernarg_segment_ptr 1
		.amdhsa_user_sgpr_dispatch_id 0
		.amdhsa_user_sgpr_flat_scratch_init 0
		.amdhsa_user_sgpr_private_segment_size 0
		.amdhsa_wavefront_size32 1
		.amdhsa_uses_dynamic_stack 0
		.amdhsa_system_sgpr_private_segment_wavefront_offset 0
		.amdhsa_system_sgpr_workgroup_id_x 1
		.amdhsa_system_sgpr_workgroup_id_y 0
		.amdhsa_system_sgpr_workgroup_id_z 0
		.amdhsa_system_sgpr_workgroup_info 0
		.amdhsa_system_vgpr_workitem_id 0
		.amdhsa_next_free_vgpr 209
		.amdhsa_next_free_sgpr 16
		.amdhsa_reserve_vcc 1
		.amdhsa_reserve_flat_scratch 0
		.amdhsa_float_round_mode_32 0
		.amdhsa_float_round_mode_16_64 0
		.amdhsa_float_denorm_mode_32 3
		.amdhsa_float_denorm_mode_16_64 3
		.amdhsa_dx10_clamp 1
		.amdhsa_ieee_mode 1
		.amdhsa_fp16_overflow 0
		.amdhsa_workgroup_processor_mode 1
		.amdhsa_memory_ordered 1
		.amdhsa_forward_progress 1
		.amdhsa_shared_vgpr_count 0
		.amdhsa_exception_fp_ieee_invalid_op 0
		.amdhsa_exception_fp_denorm_src 0
		.amdhsa_exception_fp_ieee_div_zero 0
		.amdhsa_exception_fp_ieee_overflow 0
		.amdhsa_exception_fp_ieee_underflow 0
		.amdhsa_exception_fp_ieee_inexact 0
		.amdhsa_exception_int_div_zero 0
	.end_amdhsa_kernel
	.section	.text._ZN9rocsparseL18bsrxmvn_4x4_kernelILj128ELj4E21rocsparse_complex_numIdEllS1_IfES2_S2_EEvT3_20rocsparse_direction_NS_24const_host_device_scalarIT1_EES4_PKS4_PKT2_SD_SA_PKT4_PKT5_S8_PT6_21rocsparse_index_base_b,"axG",@progbits,_ZN9rocsparseL18bsrxmvn_4x4_kernelILj128ELj4E21rocsparse_complex_numIdEllS1_IfES2_S2_EEvT3_20rocsparse_direction_NS_24const_host_device_scalarIT1_EES4_PKS4_PKT2_SD_SA_PKT4_PKT5_S8_PT6_21rocsparse_index_base_b,comdat
.Lfunc_end175:
	.size	_ZN9rocsparseL18bsrxmvn_4x4_kernelILj128ELj4E21rocsparse_complex_numIdEllS1_IfES2_S2_EEvT3_20rocsparse_direction_NS_24const_host_device_scalarIT1_EES4_PKS4_PKT2_SD_SA_PKT4_PKT5_S8_PT6_21rocsparse_index_base_b, .Lfunc_end175-_ZN9rocsparseL18bsrxmvn_4x4_kernelILj128ELj4E21rocsparse_complex_numIdEllS1_IfES2_S2_EEvT3_20rocsparse_direction_NS_24const_host_device_scalarIT1_EES4_PKS4_PKT2_SD_SA_PKT4_PKT5_S8_PT6_21rocsparse_index_base_b
                                        ; -- End function
	.set _ZN9rocsparseL18bsrxmvn_4x4_kernelILj128ELj4E21rocsparse_complex_numIdEllS1_IfES2_S2_EEvT3_20rocsparse_direction_NS_24const_host_device_scalarIT1_EES4_PKS4_PKT2_SD_SA_PKT4_PKT5_S8_PT6_21rocsparse_index_base_b.num_vgpr, 209
	.set _ZN9rocsparseL18bsrxmvn_4x4_kernelILj128ELj4E21rocsparse_complex_numIdEllS1_IfES2_S2_EEvT3_20rocsparse_direction_NS_24const_host_device_scalarIT1_EES4_PKS4_PKT2_SD_SA_PKT4_PKT5_S8_PT6_21rocsparse_index_base_b.num_agpr, 0
	.set _ZN9rocsparseL18bsrxmvn_4x4_kernelILj128ELj4E21rocsparse_complex_numIdEllS1_IfES2_S2_EEvT3_20rocsparse_direction_NS_24const_host_device_scalarIT1_EES4_PKS4_PKT2_SD_SA_PKT4_PKT5_S8_PT6_21rocsparse_index_base_b.numbered_sgpr, 16
	.set _ZN9rocsparseL18bsrxmvn_4x4_kernelILj128ELj4E21rocsparse_complex_numIdEllS1_IfES2_S2_EEvT3_20rocsparse_direction_NS_24const_host_device_scalarIT1_EES4_PKS4_PKT2_SD_SA_PKT4_PKT5_S8_PT6_21rocsparse_index_base_b.num_named_barrier, 0
	.set _ZN9rocsparseL18bsrxmvn_4x4_kernelILj128ELj4E21rocsparse_complex_numIdEllS1_IfES2_S2_EEvT3_20rocsparse_direction_NS_24const_host_device_scalarIT1_EES4_PKS4_PKT2_SD_SA_PKT4_PKT5_S8_PT6_21rocsparse_index_base_b.private_seg_size, 0
	.set _ZN9rocsparseL18bsrxmvn_4x4_kernelILj128ELj4E21rocsparse_complex_numIdEllS1_IfES2_S2_EEvT3_20rocsparse_direction_NS_24const_host_device_scalarIT1_EES4_PKS4_PKT2_SD_SA_PKT4_PKT5_S8_PT6_21rocsparse_index_base_b.uses_vcc, 1
	.set _ZN9rocsparseL18bsrxmvn_4x4_kernelILj128ELj4E21rocsparse_complex_numIdEllS1_IfES2_S2_EEvT3_20rocsparse_direction_NS_24const_host_device_scalarIT1_EES4_PKS4_PKT2_SD_SA_PKT4_PKT5_S8_PT6_21rocsparse_index_base_b.uses_flat_scratch, 0
	.set _ZN9rocsparseL18bsrxmvn_4x4_kernelILj128ELj4E21rocsparse_complex_numIdEllS1_IfES2_S2_EEvT3_20rocsparse_direction_NS_24const_host_device_scalarIT1_EES4_PKS4_PKT2_SD_SA_PKT4_PKT5_S8_PT6_21rocsparse_index_base_b.has_dyn_sized_stack, 0
	.set _ZN9rocsparseL18bsrxmvn_4x4_kernelILj128ELj4E21rocsparse_complex_numIdEllS1_IfES2_S2_EEvT3_20rocsparse_direction_NS_24const_host_device_scalarIT1_EES4_PKS4_PKT2_SD_SA_PKT4_PKT5_S8_PT6_21rocsparse_index_base_b.has_recursion, 0
	.set _ZN9rocsparseL18bsrxmvn_4x4_kernelILj128ELj4E21rocsparse_complex_numIdEllS1_IfES2_S2_EEvT3_20rocsparse_direction_NS_24const_host_device_scalarIT1_EES4_PKS4_PKT2_SD_SA_PKT4_PKT5_S8_PT6_21rocsparse_index_base_b.has_indirect_call, 0
	.section	.AMDGPU.csdata,"",@progbits
; Kernel info:
; codeLenInByte = 11096
; TotalNumSgprs: 18
; NumVgprs: 209
; ScratchSize: 0
; MemoryBound: 0
; FloatMode: 240
; IeeeMode: 1
; LDSByteSize: 0 bytes/workgroup (compile time only)
; SGPRBlocks: 0
; VGPRBlocks: 26
; NumSGPRsForWavesPerEU: 18
; NumVGPRsForWavesPerEU: 209
; Occupancy: 4
; WaveLimiterHint : 1
; COMPUTE_PGM_RSRC2:SCRATCH_EN: 0
; COMPUTE_PGM_RSRC2:USER_SGPR: 6
; COMPUTE_PGM_RSRC2:TRAP_HANDLER: 0
; COMPUTE_PGM_RSRC2:TGID_X_EN: 1
; COMPUTE_PGM_RSRC2:TGID_Y_EN: 0
; COMPUTE_PGM_RSRC2:TGID_Z_EN: 0
; COMPUTE_PGM_RSRC2:TIDIG_COMP_CNT: 0
	.section	.text._ZN9rocsparseL18bsrxmvn_4x4_kernelILj128ELj8E21rocsparse_complex_numIdEllS1_IfES2_S2_EEvT3_20rocsparse_direction_NS_24const_host_device_scalarIT1_EES4_PKS4_PKT2_SD_SA_PKT4_PKT5_S8_PT6_21rocsparse_index_base_b,"axG",@progbits,_ZN9rocsparseL18bsrxmvn_4x4_kernelILj128ELj8E21rocsparse_complex_numIdEllS1_IfES2_S2_EEvT3_20rocsparse_direction_NS_24const_host_device_scalarIT1_EES4_PKS4_PKT2_SD_SA_PKT4_PKT5_S8_PT6_21rocsparse_index_base_b,comdat
	.globl	_ZN9rocsparseL18bsrxmvn_4x4_kernelILj128ELj8E21rocsparse_complex_numIdEllS1_IfES2_S2_EEvT3_20rocsparse_direction_NS_24const_host_device_scalarIT1_EES4_PKS4_PKT2_SD_SA_PKT4_PKT5_S8_PT6_21rocsparse_index_base_b ; -- Begin function _ZN9rocsparseL18bsrxmvn_4x4_kernelILj128ELj8E21rocsparse_complex_numIdEllS1_IfES2_S2_EEvT3_20rocsparse_direction_NS_24const_host_device_scalarIT1_EES4_PKS4_PKT2_SD_SA_PKT4_PKT5_S8_PT6_21rocsparse_index_base_b
	.p2align	8
	.type	_ZN9rocsparseL18bsrxmvn_4x4_kernelILj128ELj8E21rocsparse_complex_numIdEllS1_IfES2_S2_EEvT3_20rocsparse_direction_NS_24const_host_device_scalarIT1_EES4_PKS4_PKT2_SD_SA_PKT4_PKT5_S8_PT6_21rocsparse_index_base_b,@function
_ZN9rocsparseL18bsrxmvn_4x4_kernelILj128ELj8E21rocsparse_complex_numIdEllS1_IfES2_S2_EEvT3_20rocsparse_direction_NS_24const_host_device_scalarIT1_EES4_PKS4_PKT2_SD_SA_PKT4_PKT5_S8_PT6_21rocsparse_index_base_b: ; @_ZN9rocsparseL18bsrxmvn_4x4_kernelILj128ELj8E21rocsparse_complex_numIdEllS1_IfES2_S2_EEvT3_20rocsparse_direction_NS_24const_host_device_scalarIT1_EES4_PKS4_PKT2_SD_SA_PKT4_PKT5_S8_PT6_21rocsparse_index_base_b
; %bb.0:
	s_clause 0x1
	s_load_dwordx2 s[2:3], s[4:5], 0x70
	s_load_dwordx2 s[0:1], s[4:5], 0x10
	s_add_u32 s7, s4, 16
	s_addc_u32 s10, s5, 0
	s_add_u32 s11, s4, 0x58
	s_addc_u32 s12, s5, 0
	s_load_dwordx2 s[8:9], s[4:5], 0x58
	s_waitcnt lgkmcnt(0)
	s_bitcmp1_b32 s3, 0
	s_cselect_b32 s0, s7, s0
	s_cselect_b32 s1, s10, s1
	v_mov_b32_e32 v1, s0
	v_mov_b32_e32 v2, s1
	s_cselect_b32 s0, s11, s8
	s_cselect_b32 s1, s12, s9
	flat_load_dwordx4 v[5:8], v[1:2]
	v_mov_b32_e32 v1, s0
	v_mov_b32_e32 v2, s1
	flat_load_dwordx4 v[1:4], v[1:2]
	s_waitcnt vmcnt(1) lgkmcnt(1)
	v_cmp_eq_f64_e32 vcc_lo, 0, v[5:6]
	v_cmp_eq_f64_e64 s0, 0, v[7:8]
	s_and_b32 s3, vcc_lo, s0
	s_mov_b32 s0, -1
	s_and_saveexec_b32 s1, s3
	s_cbranch_execz .LBB176_2
; %bb.1:
	s_waitcnt vmcnt(0) lgkmcnt(0)
	v_cmp_neq_f64_e32 vcc_lo, 1.0, v[1:2]
	v_cmp_neq_f64_e64 s0, 0, v[3:4]
	s_or_b32 s0, vcc_lo, s0
	s_orn2_b32 s0, s0, exec_lo
.LBB176_2:
	s_or_b32 exec_lo, exec_lo, s1
	s_and_saveexec_b32 s1, s0
	s_cbranch_execz .LBB176_8
; %bb.3:
	s_load_dwordx2 s[0:1], s[4:5], 0x28
	v_lshrrev_b32_e32 v9, 3, v0
	v_mov_b32_e32 v10, 0
	v_lshl_or_b32 v9, s6, 4, v9
	s_waitcnt lgkmcnt(0)
	s_cmp_lg_u64 s[0:1], 0
	s_cbranch_scc0 .LBB176_9
; %bb.4:
	s_load_dwordx2 s[6:7], s[4:5], 0x20
                                        ; implicit-def: $vgpr25_vgpr26
                                        ; implicit-def: $vgpr27_vgpr28
	s_waitcnt lgkmcnt(0)
	v_cmp_gt_i64_e32 vcc_lo, s[6:7], v[9:10]
	s_mov_b32 s7, 0
	s_mov_b32 s6, 0
	s_and_saveexec_b32 s3, vcc_lo
	s_xor_b32 s8, exec_lo, s3
	s_cbranch_execz .LBB176_6
; %bb.5:
	v_lshlrev_b64 v[11:12], 3, v[9:10]
	s_mov_b32 s3, 0
	s_mov_b32 s6, exec_lo
	v_mov_b32_e32 v28, s3
	v_mov_b32_e32 v27, s2
	v_add_co_u32 v11, vcc_lo, s0, v11
	v_add_co_ci_u32_e64 v12, null, s1, v12, vcc_lo
	global_load_dwordx2 v[11:12], v[11:12], off
	s_waitcnt vmcnt(0)
	v_sub_co_u32 v25, vcc_lo, v11, s2
	v_subrev_co_ci_u32_e64 v26, null, 0, v12, vcc_lo
.LBB176_6:
	s_or_b32 exec_lo, exec_lo, s8
	s_and_b32 vcc_lo, exec_lo, s7
	s_cbranch_vccnz .LBB176_10
.LBB176_7:
	s_and_b32 exec_lo, exec_lo, s6
	s_cbranch_execnz .LBB176_13
.LBB176_8:
	s_endpgm
.LBB176_9:
	s_mov_b32 s6, 0
                                        ; implicit-def: $vgpr25_vgpr26
                                        ; implicit-def: $vgpr27_vgpr28
	s_cbranch_execz .LBB176_7
.LBB176_10:
	s_load_dwordx2 s[0:1], s[4:5], 0x0
	s_waitcnt lgkmcnt(0)
	v_cmp_gt_i64_e32 vcc_lo, s[0:1], v[9:10]
	s_and_saveexec_b32 s0, vcc_lo
; %bb.11:
	s_mov_b32 s3, 0
	s_or_b32 s6, s6, exec_lo
; %bb.12:
	s_or_b32 exec_lo, exec_lo, s0
	v_mov_b32_e32 v28, s3
	v_mov_b32_e32 v26, v10
	;; [unrolled: 1-line block ×4, first 2 shown]
	s_and_b32 exec_lo, exec_lo, s6
	s_cbranch_execz .LBB176_8
.LBB176_13:
	s_load_dwordx8 s[8:15], s[4:5], 0x30
	v_lshlrev_b64 v[9:10], 3, v[25:26]
	v_and_b32_e32 v0, 7, v0
	s_clause 0x1
	s_load_dword s1, s[4:5], 0x8
	s_load_dwordx2 s[2:3], s[4:5], 0x50
	s_waitcnt lgkmcnt(0)
	v_add_co_u32 v11, vcc_lo, s8, v9
	v_add_co_ci_u32_e64 v12, null, s9, v10, vcc_lo
	v_add_co_u32 v9, vcc_lo, s10, v9
	v_add_co_ci_u32_e64 v10, null, s11, v10, vcc_lo
	;; [unrolled: 2-line block ×3, first 2 shown]
	global_load_dwordx2 v[51:52], v[11:12], off
	s_cmp_eq_u64 s[10:11], 0
	s_cselect_b32 vcc_lo, -1, 0
	s_cmp_eq_u32 s1, 1
	v_cndmask_b32_e32 v10, v10, v14, vcc_lo
	v_cndmask_b32_e32 v9, v9, v13, vcc_lo
	global_load_dwordx2 v[9:10], v[9:10], off
	s_waitcnt vmcnt(1)
	v_sub_co_u32 v11, vcc_lo, v51, v27
	v_sub_co_ci_u32_e64 v12, null, v52, v28, vcc_lo
	v_add_co_u32 v29, vcc_lo, v11, v0
	v_add_co_ci_u32_e64 v30, null, 0, v12, vcc_lo
	s_waitcnt vmcnt(0)
	v_sub_co_u32 v31, vcc_lo, v9, v27
	v_sub_co_ci_u32_e64 v32, null, v10, v28, vcc_lo
	v_lshlrev_b64 v[9:10], 7, v[29:30]
	v_cmp_lt_i64_e64 s0, v[29:30], v[31:32]
	v_add_co_u32 v33, vcc_lo, s14, v9
	v_add_co_ci_u32_e64 v34, null, s15, v10, vcc_lo
	s_cbranch_scc1 .LBB176_25
; %bb.14:
	v_mov_b32_e32 v39, 0
	v_mov_b32_e32 v47, 0
	v_mov_b32_e32 v45, 0
	v_mov_b32_e32 v49, 0
	v_mov_b32_e32 v41, 0
	v_mov_b32_e32 v43, 0
	v_mov_b32_e32 v37, 0
	v_mov_b32_e32 v35, 0
	v_mov_b32_e32 v40, 0
	v_mov_b32_e32 v48, 0
	v_mov_b32_e32 v46, 0
	v_mov_b32_e32 v50, 0
	v_mov_b32_e32 v42, 0
	v_mov_b32_e32 v44, 0
	v_mov_b32_e32 v38, 0
	v_mov_b32_e32 v36, 0
	s_and_saveexec_b32 s6, s0
	s_cbranch_execz .LBB176_24
; %bb.15:
	v_or_b32_e32 v9, 8, v0
	v_not_b32_e32 v13, v51
	v_not_b32_e32 v11, v52
	v_mov_b32_e32 v35, 0
	v_mov_b32_e32 v37, 0
	v_sub_co_u32 v9, vcc_lo, v9, v27
	v_sub_co_ci_u32_e64 v10, null, 0, v28, vcc_lo
	v_mov_b32_e32 v43, 0
	v_add_co_u32 v9, vcc_lo, v9, v51
	v_add_co_ci_u32_e64 v10, null, v10, v52, vcc_lo
	v_sub_co_u32 v14, vcc_lo, v27, v0
	v_subrev_co_ci_u32_e64 v15, null, 0, v28, vcc_lo
	v_cmp_gt_i64_e32 vcc_lo, v[9:10], v[31:32]
	v_add_co_u32 v13, s1, v14, v13
	v_add_co_ci_u32_e64 v11, null, v15, v11, s1
	v_mov_b32_e32 v41, 0
	v_cndmask_b32_e32 v9, v31, v9, vcc_lo
	v_cndmask_b32_e32 v10, v32, v10, vcc_lo
	v_mov_b32_e32 v49, 0
	v_mov_b32_e32 v45, 0
	v_mov_b32_e32 v47, 0
	v_add_co_u32 v9, vcc_lo, v13, v9
	v_mov_b32_e32 v39, 0
	v_mov_b32_e32 v56, v34
	;; [unrolled: 1-line block ×8, first 2 shown]
	v_add_co_ci_u32_e64 v10, null, v11, v10, vcc_lo
	v_and_b32_e32 v11, 24, v9
	v_mov_b32_e32 v50, 0
	v_mov_b32_e32 v46, 0
	;; [unrolled: 1-line block ×6, first 2 shown]
	s_mov_b32 s7, exec_lo
	v_cmpx_ne_u64_e32 24, v[11:12]
	s_cbranch_execz .LBB176_19
; %bb.16:
	v_lshrrev_b32_e32 v13, 3, v9
	v_lshlrev_b64 v[11:12], 3, v[29:30]
	v_mov_b32_e32 v39, 0
	v_mov_b32_e32 v54, v30
	;; [unrolled: 1-line block ×3, first 2 shown]
	v_add_nc_u32_e32 v13, 1, v13
	v_mov_b32_e32 v45, 0
	v_add_co_u32 v11, vcc_lo, s12, v11
	v_mov_b32_e32 v49, 0
	v_and_b32_e32 v13, 3, v13
	v_mov_b32_e32 v41, 0
	v_mov_b32_e32 v43, 0
	;; [unrolled: 1-line block ×4, first 2 shown]
	v_sub_co_u32 v13, s1, 0, v13
	v_mov_b32_e32 v56, v34
	v_mov_b32_e32 v40, 0
	;; [unrolled: 1-line block ×5, first 2 shown]
	v_add_co_ci_u32_e64 v12, null, s13, v12, vcc_lo
	v_sub_co_ci_u32_e64 v14, null, 0, 0, s1
	v_mov_b32_e32 v50, 0
	v_mov_b32_e32 v42, 0
	;; [unrolled: 1-line block ×6, first 2 shown]
	s_mov_b32 s8, 0
.LBB176_17:                             ; =>This Inner Loop Header: Depth=1
	global_load_dwordx2 v[23:24], v[11:12], off
	s_clause 0x4
	global_load_dwordx4 v[15:18], v[55:56], off
	global_load_dwordx4 v[19:22], v[55:56], off offset:48
	global_load_dwordx4 v[57:60], v[55:56], off offset:32
	;; [unrolled: 1-line block ×4, first 2 shown]
	v_add_co_u32 v11, s1, v11, 64
	v_add_co_ci_u32_e64 v12, null, 0, v12, s1
	s_waitcnt vmcnt(5)
	v_sub_co_u32 v23, vcc_lo, v23, v27
	v_sub_co_ci_u32_e64 v24, null, v24, v28, vcc_lo
	s_waitcnt vmcnt(2)
	v_cvt_f64_f32_e32 v[97:98], v57
	v_cvt_f64_f32_e32 v[57:58], v58
	s_waitcnt vmcnt(0)
	v_cvt_f64_f32_e32 v[99:100], v65
	v_lshlrev_b64 v[23:24], 6, v[23:24]
	v_cvt_f64_f32_e32 v[65:66], v66
	v_cvt_f64_f32_e32 v[101:102], v61
	;; [unrolled: 1-line block ×5, first 2 shown]
	v_add_co_u32 v23, vcc_lo, s2, v23
	v_add_co_ci_u32_e64 v24, null, s3, v24, vcc_lo
	v_cvt_f64_f32_e32 v[105:106], v67
	v_cvt_f64_f32_e32 v[67:68], v68
	;; [unrolled: 1-line block ×3, first 2 shown]
	s_clause 0x1
	global_load_dwordx4 v[69:72], v[23:24], off
	global_load_dwordx4 v[73:76], v[23:24], off offset:16
	s_clause 0x2
	global_load_dwordx4 v[77:80], v[55:56], off offset:16
	global_load_dwordx4 v[81:84], v[55:56], off offset:80
	;; [unrolled: 1-line block ×3, first 2 shown]
	s_clause 0x1
	global_load_dwordx4 v[89:92], v[23:24], off offset:32
	global_load_dwordx4 v[93:96], v[23:24], off offset:48
	v_cvt_f64_f32_e32 v[23:24], v15
	v_cvt_f64_f32_e32 v[15:16], v16
	;; [unrolled: 1-line block ×3, first 2 shown]
	v_add_co_u32 v55, vcc_lo, 0x400, v55
	v_add_co_ci_u32_e64 v56, null, 0, v56, vcc_lo
	v_add_co_u32 v13, vcc_lo, v13, 1
	v_add_co_ci_u32_e64 v14, null, 0, v14, vcc_lo
	;; [unrolled: 2-line block ×3, first 2 shown]
	v_cmp_eq_u64_e32 vcc_lo, 0, v[13:14]
	s_or_b32 s8, vcc_lo, s8
	s_waitcnt vmcnt(6)
	v_fma_f64 v[47:48], v[23:24], v[69:70], v[47:48]
	v_fma_f64 v[39:40], v[15:16], v[69:70], v[39:40]
	;; [unrolled: 1-line block ×8, first 2 shown]
	v_cvt_f64_f32_e32 v[69:70], v17
	v_cvt_f64_f32_e32 v[17:18], v18
	v_fma_f64 v[15:16], -v[15:16], v[71:72], v[47:48]
	v_fma_f64 v[23:24], v[23:24], v[71:72], v[39:40]
	v_fma_f64 v[39:40], -v[57:58], v[71:72], v[49:50]
	v_fma_f64 v[45:46], v[97:98], v[71:72], v[45:46]
	;; [unrolled: 2-line block ×4, first 2 shown]
	s_waitcnt vmcnt(4)
	v_cvt_f64_f32_e32 v[47:48], v77
	v_cvt_f64_f32_e32 v[49:50], v78
	;; [unrolled: 1-line block ×4, first 2 shown]
	s_waitcnt vmcnt(3)
	v_cvt_f64_f32_e32 v[61:62], v81
	v_cvt_f64_f32_e32 v[65:66], v82
	s_waitcnt vmcnt(2)
	v_cvt_f64_f32_e32 v[71:72], v85
	v_cvt_f64_f32_e32 v[77:78], v88
	v_fma_f64 v[15:16], v[69:70], v[73:74], v[15:16]
	v_fma_f64 v[23:24], v[17:18], v[73:74], v[23:24]
	;; [unrolled: 1-line block ×8, first 2 shown]
	v_cvt_f64_f32_e32 v[73:74], v86
	v_fma_f64 v[15:16], -v[17:18], v[75:76], v[15:16]
	v_fma_f64 v[17:18], v[69:70], v[75:76], v[23:24]
	v_fma_f64 v[23:24], -v[59:60], v[75:76], v[39:40]
	v_fma_f64 v[39:40], v[103:104], v[75:76], v[45:46]
	;; [unrolled: 2-line block ×4, first 2 shown]
	v_cvt_f64_f32_e32 v[45:46], v79
	v_cvt_f64_f32_e32 v[59:60], v80
	;; [unrolled: 1-line block ×7, first 2 shown]
	s_waitcnt vmcnt(1)
	v_fma_f64 v[15:16], v[47:48], v[89:90], v[15:16]
	v_fma_f64 v[17:18], v[49:50], v[89:90], v[17:18]
	v_fma_f64 v[23:24], v[57:58], v[89:90], v[23:24]
	v_fma_f64 v[39:40], v[19:20], v[89:90], v[39:40]
	v_fma_f64 v[43:44], v[61:62], v[89:90], v[43:44]
	v_fma_f64 v[41:42], v[65:66], v[89:90], v[41:42]
	v_fma_f64 v[35:36], v[71:72], v[89:90], v[35:36]
	v_fma_f64 v[37:38], v[73:74], v[89:90], v[37:38]
	v_fma_f64 v[15:16], -v[49:50], v[91:92], v[15:16]
	v_fma_f64 v[17:18], v[47:48], v[91:92], v[17:18]
	v_fma_f64 v[19:20], -v[19:20], v[91:92], v[23:24]
	v_fma_f64 v[23:24], v[57:58], v[91:92], v[39:40]
	;; [unrolled: 2-line block ×4, first 2 shown]
	s_waitcnt vmcnt(0)
	v_fma_f64 v[15:16], v[45:46], v[93:94], v[15:16]
	v_fma_f64 v[17:18], v[59:60], v[93:94], v[17:18]
	;; [unrolled: 1-line block ×8, first 2 shown]
	v_fma_f64 v[47:48], -v[59:60], v[95:96], v[15:16]
	v_fma_f64 v[39:40], v[45:46], v[95:96], v[17:18]
	v_fma_f64 v[49:50], -v[21:22], v[95:96], v[19:20]
	v_fma_f64 v[45:46], v[63:64], v[95:96], v[23:24]
	;; [unrolled: 2-line block ×4, first 2 shown]
	s_andn2_b32 exec_lo, exec_lo, s8
	s_cbranch_execnz .LBB176_17
; %bb.18:
	s_or_b32 exec_lo, exec_lo, s8
.LBB176_19:
	s_or_b32 exec_lo, exec_lo, s7
	s_mov_b32 s7, exec_lo
	v_cmpx_lt_u64_e32 23, v[9:10]
	s_cbranch_execz .LBB176_23
; %bb.20:
	v_lshlrev_b64 v[9:10], 3, v[53:54]
	s_mov_b32 s8, 0
	v_add_co_u32 v9, vcc_lo, s12, v9
	v_add_co_ci_u32_e64 v10, null, s13, v10, vcc_lo
	v_add_co_u32 v57, vcc_lo, 0x80, v9
	v_add_co_ci_u32_e64 v58, null, 0, v10, vcc_lo
.LBB176_21:                             ; =>This Inner Loop Header: Depth=1
	s_clause 0x1
	global_load_dwordx2 v[63:64], v[57:58], off offset:-128
	global_load_dwordx2 v[59:60], v[57:58], off offset:-64
	s_clause 0x3
	global_load_dwordx4 v[21:24], v[55:56], off
	global_load_dwordx4 v[17:20], v[55:56], off offset:32
	global_load_dwordx4 v[13:16], v[55:56], off offset:64
	;; [unrolled: 1-line block ×3, first 2 shown]
	s_clause 0x1
	global_load_dwordx2 v[183:184], v[57:58], off
	global_load_dwordx2 v[61:62], v[57:58], off offset:64
	s_waitcnt vmcnt(7)
	v_sub_co_u32 v63, vcc_lo, v63, v27
	v_sub_co_ci_u32_e64 v64, null, v64, v28, vcc_lo
	s_waitcnt vmcnt(5)
	v_cvt_f64_f32_e32 v[187:188], v21
	v_cvt_f64_f32_e32 v[21:22], v22
	v_cvt_f64_f32_e32 v[189:190], v23
	v_lshlrev_b64 v[63:64], 6, v[63:64]
	v_cvt_f64_f32_e32 v[191:192], v24
	s_waitcnt vmcnt(4)
	v_cvt_f64_f32_e32 v[23:24], v17
	v_cvt_f64_f32_e32 v[17:18], v18
	v_cvt_f64_f32_e32 v[193:194], v19
	v_cvt_f64_f32_e32 v[195:196], v20
	v_add_co_u32 v95, vcc_lo, s2, v63
	v_add_co_ci_u32_e64 v96, null, s3, v64, vcc_lo
	v_sub_co_u32 v59, vcc_lo, v59, v27
	v_sub_co_ci_u32_e64 v60, null, v60, v28, vcc_lo
	s_clause 0x1
	global_load_dwordx4 v[63:66], v[95:96], off
	global_load_dwordx4 v[67:70], v[95:96], off offset:16
	s_clause 0x3
	global_load_dwordx4 v[71:74], v[55:56], off offset:16
	global_load_dwordx4 v[75:78], v[55:56], off offset:48
	;; [unrolled: 1-line block ×7, first 2 shown]
	s_clause 0x3
	global_load_dwordx4 v[99:102], v[55:56], off offset:1056
	global_load_dwordx4 v[103:106], v[55:56], off offset:1088
	;; [unrolled: 1-line block ×4, first 2 shown]
	s_waitcnt vmcnt(16)
	v_cvt_f64_f32_e32 v[19:20], v13
	v_cvt_f64_f32_e32 v[197:198], v14
	v_lshlrev_b64 v[59:60], 6, v[59:60]
	s_waitcnt vmcnt(15)
	v_cvt_f64_f32_e32 v[203:204], v9
	v_cvt_f64_f32_e32 v[205:206], v10
	;; [unrolled: 1-line block ×5, first 2 shown]
	v_add_co_u32 v59, vcc_lo, s2, v59
	v_add_co_ci_u32_e64 v60, null, s3, v60, vcc_lo
	v_add_co_u32 v185, vcc_lo, 0x800, v55
	s_clause 0x1
	global_load_dwordx4 v[115:118], v[59:60], off
	global_load_dwordx4 v[119:122], v[59:60], off offset:16
	s_clause 0x2
	global_load_dwordx4 v[123:126], v[55:56], off offset:1040
	global_load_dwordx4 v[127:130], v[55:56], off offset:1072
	;; [unrolled: 1-line block ×4, first 2 shown]
	v_add_co_ci_u32_e64 v186, null, 0, v56, vcc_lo
	s_clause 0xa
	global_load_dwordx4 v[139:142], v[185:186], off offset:48
	global_load_dwordx4 v[143:146], v[185:186], off offset:32
	global_load_dwordx4 v[147:150], v[185:186], off
	global_load_dwordx4 v[151:154], v[185:186], off offset:16
	global_load_dwordx4 v[155:158], v[185:186], off offset:112
	;; [unrolled: 1-line block ×9, first 2 shown]
	v_cvt_f64_f32_e32 v[201:202], v16
	s_waitcnt vmcnt(32)
	v_sub_co_u32 v183, vcc_lo, v183, v27
	v_sub_co_ci_u32_e64 v184, null, v184, v28, vcc_lo
	v_add_co_u32 v55, s1, 0x1000, v55
	v_add_co_ci_u32_e64 v56, null, 0, v56, s1
	s_waitcnt vmcnt(30)
	v_fma_f64 v[13:14], v[187:188], v[63:64], v[47:48]
	v_fma_f64 v[15:16], v[21:22], v[63:64], v[39:40]
	;; [unrolled: 1-line block ×8, first 2 shown]
	v_lshlrev_b64 v[49:50], 6, v[183:184]
	s_waitcnt vmcnt(27)
	v_cvt_f64_f32_e32 v[183:184], v75
	v_cvt_f64_f32_e32 v[75:76], v76
	v_add_co_u32 v59, vcc_lo, s2, v49
	v_add_co_ci_u32_e64 v60, null, s3, v50, vcc_lo
	v_fma_f64 v[21:22], -v[21:22], v[65:66], v[13:14]
	v_fma_f64 v[47:48], v[187:188], v[65:66], v[15:16]
	v_fma_f64 v[39:40], -v[17:18], v[65:66], v[39:40]
	v_fma_f64 v[23:24], v[23:24], v[65:66], v[45:46]
	;; [unrolled: 2-line block ×4, first 2 shown]
	global_load_dwordx4 v[17:20], v[59:60], off
	global_load_dwordx4 v[13:16], v[185:186], off offset:1024
	v_fma_f64 v[45:46], v[189:190], v[67:68], v[21:22]
	v_fma_f64 v[47:48], v[191:192], v[67:68], v[47:48]
	;; [unrolled: 1-line block ×8, first 2 shown]
	v_cvt_f64_f32_e32 v[67:68], v71
	v_cvt_f64_f32_e32 v[71:72], v72
	s_clause 0x1
	global_load_dwordx4 v[21:24], v[185:186], off offset:1120
	global_load_dwordx4 v[35:38], v[185:186], off offset:1104
	v_fma_f64 v[45:46], -v[191:192], v[69:70], v[45:46]
	v_fma_f64 v[47:48], v[189:190], v[69:70], v[47:48]
	v_fma_f64 v[187:188], -v[195:196], v[69:70], v[39:40]
	s_waitcnt vmcnt(30)
	v_cvt_f64_f32_e32 v[189:190], v79
	v_fma_f64 v[49:50], v[193:194], v[69:70], v[49:50]
	v_cvt_f64_f32_e32 v[79:80], v80
	v_fma_f64 v[43:44], -v[201:202], v[69:70], v[43:44]
	s_waitcnt vmcnt(29)
	v_cvt_f64_f32_e32 v[191:192], v83
	v_fma_f64 v[193:194], v[199:200], v[69:70], v[41:42]
	v_cvt_f64_f32_e32 v[83:84], v84
	v_fma_f64 v[63:64], -v[209:210], v[69:70], v[63:64]
	v_fma_f64 v[65:66], v[207:208], v[69:70], v[65:66]
	global_load_dwordx4 v[39:42], v[59:60], off offset:16
	v_cvt_f64_f32_e32 v[69:70], v73
	v_cvt_f64_f32_e32 v[73:74], v74
	;; [unrolled: 1-line block ×6, first 2 shown]
	s_waitcnt vmcnt(29)
	v_fma_f64 v[195:196], v[67:68], v[87:88], v[45:46]
	v_fma_f64 v[47:48], v[71:72], v[87:88], v[47:48]
	;; [unrolled: 1-line block ×5, first 2 shown]
	global_load_dwordx4 v[43:46], v[185:186], off offset:1088
	v_fma_f64 v[193:194], v[79:80], v[87:88], v[193:194]
	v_fma_f64 v[63:64], v[191:192], v[87:88], v[63:64]
	;; [unrolled: 1-line block ×3, first 2 shown]
	v_cvt_f64_f32_e32 v[87:88], v77
	v_cvt_f64_f32_e32 v[77:78], v78
	v_fma_f64 v[71:72], -v[71:72], v[89:90], v[195:196]
	v_fma_f64 v[67:68], v[67:68], v[89:90], v[47:48]
	v_fma_f64 v[75:76], -v[75:76], v[89:90], v[187:188]
	s_waitcnt vmcnt(29)
	v_cvt_f64_f32_e32 v[187:188], v93
	v_fma_f64 v[183:184], v[183:184], v[89:90], v[49:50]
	global_load_dwordx4 v[47:50], v[59:60], off offset:32
	v_fma_f64 v[79:80], -v[79:80], v[89:90], v[197:198]
	v_cvt_f64_f32_e32 v[195:196], v91
	v_fma_f64 v[189:190], v[189:190], v[89:90], v[193:194]
	v_cvt_f64_f32_e32 v[91:92], v92
	v_fma_f64 v[63:64], -v[83:84], v[89:90], v[63:64]
	v_fma_f64 v[65:66], v[191:192], v[89:90], v[65:66]
	v_cvt_f64_f32_e32 v[83:84], v94
	s_waitcnt vmcnt(28)
	v_cvt_f64_f32_e32 v[89:90], v99
	s_waitcnt vmcnt(26)
	v_cvt_f64_f32_e32 v[193:194], v107
	v_cvt_f64_f32_e32 v[191:192], v105
	v_fma_f64 v[71:72], v[69:70], v[95:96], v[71:72]
	v_fma_f64 v[67:68], v[73:74], v[95:96], v[67:68]
	;; [unrolled: 1-line block ×6, first 2 shown]
	v_cvt_f64_f32_e32 v[189:190], v103
	v_fma_f64 v[63:64], v[201:202], v[95:96], v[63:64]
	v_fma_f64 v[65:66], v[85:86], v[95:96], v[65:66]
	v_cvt_f64_f32_e32 v[95:96], v100
	v_cvt_f64_f32_e32 v[103:104], v104
	;; [unrolled: 1-line block ×4, first 2 shown]
	v_fma_f64 v[71:72], -v[73:74], v[97:98], v[71:72]
	v_cvt_f64_f32_e32 v[73:74], v108
	v_fma_f64 v[67:68], v[69:70], v[97:98], v[67:68]
	v_fma_f64 v[75:76], -v[77:78], v[97:98], v[75:76]
	v_fma_f64 v[77:78], v[87:88], v[97:98], v[93:94]
	v_sub_co_u32 v69, vcc_lo, v61, v27
	v_fma_f64 v[79:80], -v[81:82], v[97:98], v[79:80]
	v_fma_f64 v[81:82], v[199:200], v[97:98], v[183:184]
	v_sub_co_ci_u32_e64 v70, null, v62, v28, vcc_lo
	v_fma_f64 v[63:64], -v[85:86], v[97:98], v[63:64]
	v_fma_f64 v[65:66], v[201:202], v[97:98], v[65:66]
	global_load_dwordx4 v[59:62], v[59:60], off offset:48
	v_lshlrev_b64 v[69:70], 6, v[69:70]
	v_cvt_f64_f32_e32 v[85:86], v106
	v_cvt_f64_f32_e32 v[87:88], v109
	;; [unrolled: 1-line block ×3, first 2 shown]
	s_waitcnt vmcnt(21)
	v_cvt_f64_f32_e32 v[105:106], v131
	v_cvt_f64_f32_e32 v[107:108], v132
	v_add_co_u32 v97, vcc_lo, s2, v69
	v_fma_f64 v[71:72], v[195:196], v[115:116], v[71:72]
	v_add_co_ci_u32_e64 v98, null, s3, v70, vcc_lo
	v_fma_f64 v[67:68], v[91:92], v[115:116], v[67:68]
	v_fma_f64 v[75:76], v[89:90], v[115:116], v[75:76]
	;; [unrolled: 1-line block ×3, first 2 shown]
	v_cvt_f64_f32_e32 v[109:110], v111
	v_fma_f64 v[79:80], v[189:190], v[115:116], v[79:80]
	v_fma_f64 v[81:82], v[103:104], v[115:116], v[81:82]
	v_cvt_f64_f32_e32 v[111:112], v112
	v_add_co_u32 v53, vcc_lo, v53, 32
	v_fma_f64 v[63:64], v[193:194], v[115:116], v[63:64]
	v_fma_f64 v[65:66], v[73:74], v[115:116], v[65:66]
	v_add_co_ci_u32_e64 v54, null, 0, v54, vcc_lo
	v_add_co_u32 v57, vcc_lo, 0x100, v57
	v_add_co_ci_u32_e64 v58, null, 0, v58, vcc_lo
	v_cmp_ge_i64_e32 vcc_lo, v[53:54], v[31:32]
	v_fma_f64 v[71:72], -v[91:92], v[117:118], v[71:72]
	v_cvt_f64_f32_e32 v[91:92], v124
	v_fma_f64 v[67:68], v[195:196], v[117:118], v[67:68]
	v_fma_f64 v[75:76], -v[95:96], v[117:118], v[75:76]
	v_fma_f64 v[77:78], v[89:90], v[117:118], v[77:78]
	v_cvt_f64_f32_e32 v[95:96], v127
	v_fma_f64 v[79:80], -v[103:104], v[117:118], v[79:80]
	v_fma_f64 v[81:82], v[189:190], v[117:118], v[81:82]
	v_cvt_f64_f32_e32 v[103:104], v128
	s_or_b32 s8, vcc_lo, s8
	v_fma_f64 v[73:74], -v[73:74], v[117:118], v[63:64]
	v_fma_f64 v[89:90], v[193:194], v[117:118], v[65:66]
	global_load_dwordx4 v[63:66], v[97:98], off
	v_cvt_f64_f32_e32 v[117:118], v130
	v_fma_f64 v[69:70], v[187:188], v[119:120], v[71:72]
	v_fma_f64 v[67:68], v[83:84], v[119:120], v[67:68]
	;; [unrolled: 1-line block ×8, first 2 shown]
	v_cvt_f64_f32_e32 v[89:90], v123
	v_cvt_f64_f32_e32 v[119:120], v133
	;; [unrolled: 1-line block ×4, first 2 shown]
	v_fma_f64 v[83:84], -v[83:84], v[121:122], v[69:70]
	v_fma_f64 v[115:116], v[187:188], v[121:122], v[67:68]
	v_fma_f64 v[71:72], -v[101:102], v[121:122], v[71:72]
	v_fma_f64 v[75:76], v[99:100], v[121:122], v[75:76]
	global_load_dwordx4 v[67:70], v[97:98], off offset:16
	v_fma_f64 v[77:78], -v[85:86], v[121:122], v[77:78]
	v_fma_f64 v[79:80], v[191:192], v[121:122], v[79:80]
	v_cvt_f64_f32_e32 v[99:100], v125
	v_cvt_f64_f32_e32 v[101:102], v126
	s_waitcnt vmcnt(16)
	v_cvt_f64_f32_e32 v[125:126], v160
	v_fma_f64 v[73:74], -v[93:94], v[121:122], v[73:74]
	v_fma_f64 v[81:82], v[87:88], v[121:122], v[81:82]
	v_cvt_f64_f32_e32 v[121:122], v134
	v_fma_f64 v[83:84], v[89:90], v[135:136], v[83:84]
	v_fma_f64 v[85:86], v[91:92], v[135:136], v[115:116]
	;; [unrolled: 1-line block ×4, first 2 shown]
	v_cvt_f64_f32_e32 v[115:116], v129
	v_fma_f64 v[77:78], v[105:106], v[135:136], v[77:78]
	v_fma_f64 v[79:80], v[107:108], v[135:136], v[79:80]
	;; [unrolled: 1-line block ×4, first 2 shown]
	global_load_dwordx4 v[71:74], v[185:186], off offset:1136
	v_fma_f64 v[83:84], -v[91:92], v[137:138], v[83:84]
	v_fma_f64 v[85:86], v[89:90], v[137:138], v[85:86]
	v_fma_f64 v[87:88], -v[103:104], v[137:138], v[87:88]
	v_fma_f64 v[89:90], v[95:96], v[137:138], v[75:76]
	v_cvt_f64_f32_e32 v[95:96], v148
	v_fma_f64 v[91:92], -v[107:108], v[137:138], v[77:78]
	v_fma_f64 v[79:80], v[105:106], v[137:138], v[79:80]
	global_load_dwordx4 v[75:78], v[97:98], off offset:32
	v_cvt_f64_f32_e32 v[103:104], v143
	v_cvt_f64_f32_e32 v[105:106], v144
	v_fma_f64 v[93:94], -v[111:112], v[137:138], v[93:94]
	v_fma_f64 v[81:82], v[109:110], v[137:138], v[81:82]
	s_waitcnt vmcnt(16)
	v_cvt_f64_f32_e32 v[107:108], v167
	v_cvt_f64_f32_e32 v[109:110], v168
	;; [unrolled: 1-line block ×3, first 2 shown]
	s_waitcnt vmcnt(12)
	v_fma_f64 v[83:84], v[99:100], v[9:10], v[83:84]
	v_fma_f64 v[85:86], v[101:102], v[9:10], v[85:86]
	;; [unrolled: 1-line block ×8, first 2 shown]
	v_cvt_f64_f32_e32 v[81:82], v147
	v_fma_f64 v[83:84], -v[101:102], v[11:12], v[83:84]
	v_cvt_f64_f32_e32 v[101:102], v145
	v_fma_f64 v[85:86], v[99:100], v[11:12], v[85:86]
	v_fma_f64 v[87:88], -v[117:118], v[11:12], v[87:88]
	v_fma_f64 v[89:90], v[115:116], v[11:12], v[89:90]
	v_cvt_f64_f32_e32 v[115:116], v169
	v_fma_f64 v[91:92], -v[121:122], v[11:12], v[91:92]
	v_fma_f64 v[79:80], v[119:120], v[11:12], v[79:80]
	v_cvt_f64_f32_e32 v[117:118], v170
	v_cvt_f64_f32_e32 v[119:120], v161
	;; [unrolled: 1-line block ×3, first 2 shown]
	v_fma_f64 v[93:94], -v[113:114], v[11:12], v[93:94]
	v_fma_f64 v[99:100], v[123:124], v[11:12], v[9:10]
	global_load_dwordx4 v[9:12], v[97:98], off offset:48
	v_cvt_f64_f32_e32 v[97:98], v149
	v_cvt_f64_f32_e32 v[113:114], v146
	s_waitcnt vmcnt(12)
	v_fma_f64 v[83:84], v[81:82], v[17:18], v[83:84]
	v_fma_f64 v[85:86], v[95:96], v[17:18], v[85:86]
	;; [unrolled: 1-line block ×8, first 2 shown]
	v_cvt_f64_f32_e32 v[99:100], v150
	v_fma_f64 v[83:84], -v[95:96], v[19:20], v[83:84]
	v_cvt_f64_f32_e32 v[95:96], v140
	v_fma_f64 v[81:82], v[81:82], v[19:20], v[85:86]
	v_fma_f64 v[85:86], -v[105:106], v[19:20], v[87:88]
	v_fma_f64 v[87:88], v[103:104], v[19:20], v[89:90]
	v_cvt_f64_f32_e32 v[103:104], v163
	v_fma_f64 v[89:90], -v[109:110], v[19:20], v[91:92]
	v_fma_f64 v[79:80], v[107:108], v[19:20], v[79:80]
	v_cvt_f64_f32_e32 v[105:106], v164
	v_cvt_f64_f32_e32 v[107:108], v155
	;; [unrolled: 1-line block ×3, first 2 shown]
	v_fma_f64 v[91:92], -v[125:126], v[19:20], v[93:94]
	v_fma_f64 v[17:18], v[111:112], v[19:20], v[17:18]
	v_cvt_f64_f32_e32 v[93:94], v139
	v_cvt_f64_f32_e32 v[111:112], v166
	s_waitcnt vmcnt(8)
	v_fma_f64 v[19:20], v[97:98], v[39:40], v[83:84]
	v_fma_f64 v[81:82], v[99:100], v[39:40], v[81:82]
	;; [unrolled: 1-line block ×8, first 2 shown]
	v_cvt_f64_f32_e32 v[39:40], v151
	v_cvt_f64_f32_e32 v[91:92], v152
	v_fma_f64 v[19:20], -v[99:100], v[41:42], v[19:20]
	v_fma_f64 v[81:82], v[97:98], v[41:42], v[81:82]
	v_fma_f64 v[83:84], -v[113:114], v[41:42], v[83:84]
	v_fma_f64 v[85:86], v[101:102], v[41:42], v[85:86]
	v_cvt_f64_f32_e32 v[97:98], v141
	v_fma_f64 v[87:88], -v[117:118], v[41:42], v[87:88]
	v_fma_f64 v[79:80], v[115:116], v[41:42], v[79:80]
	v_cvt_f64_f32_e32 v[99:100], v142
	v_cvt_f64_f32_e32 v[101:102], v165
	;; [unrolled: 1-line block ×3, first 2 shown]
	v_fma_f64 v[89:90], -v[121:122], v[41:42], v[89:90]
	v_fma_f64 v[17:18], v[119:120], v[41:42], v[17:18]
	v_cvt_f64_f32_e32 v[115:116], v158
	s_waitcnt vmcnt(6)
	v_fma_f64 v[19:20], v[39:40], v[47:48], v[19:20]
	v_fma_f64 v[41:42], v[91:92], v[47:48], v[81:82]
	;; [unrolled: 1-line block ×8, first 2 shown]
	v_cvt_f64_f32_e32 v[47:48], v153
	v_cvt_f64_f32_e32 v[89:90], v154
	v_fma_f64 v[19:20], -v[91:92], v[49:50], v[19:20]
	v_fma_f64 v[39:40], v[39:40], v[49:50], v[41:42]
	v_fma_f64 v[41:42], -v[95:96], v[49:50], v[81:82]
	v_fma_f64 v[81:82], v[93:94], v[49:50], v[83:84]
	v_cvt_f64_f32_e32 v[91:92], v43
	v_fma_f64 v[83:84], -v[105:106], v[49:50], v[85:86]
	v_fma_f64 v[79:80], v[103:104], v[49:50], v[79:80]
	v_cvt_f64_f32_e32 v[43:44], v44
	v_cvt_f64_f32_e32 v[93:94], v21
	;; [unrolled: 1-line block ×3, first 2 shown]
	v_fma_f64 v[85:86], -v[109:110], v[49:50], v[87:88]
	v_fma_f64 v[17:18], v[107:108], v[49:50], v[17:18]
	v_cvt_f64_f32_e32 v[87:88], v176
	v_cvt_f64_f32_e32 v[95:96], v23
	;; [unrolled: 1-line block ×3, first 2 shown]
	s_waitcnt vmcnt(5)
	v_fma_f64 v[19:20], v[47:48], v[59:60], v[19:20]
	v_fma_f64 v[39:40], v[89:90], v[59:60], v[39:40]
	;; [unrolled: 1-line block ×8, first 2 shown]
	v_cvt_f64_f32_e32 v[59:60], v13
	v_cvt_f64_f32_e32 v[13:14], v14
	;; [unrolled: 1-line block ×3, first 2 shown]
	v_fma_f64 v[19:20], -v[89:90], v[61:62], v[19:20]
	v_fma_f64 v[39:40], v[47:48], v[61:62], v[39:40]
	v_fma_f64 v[41:42], -v[99:100], v[61:62], v[41:42]
	v_fma_f64 v[47:48], v[97:98], v[61:62], v[49:50]
	;; [unrolled: 2-line block ×3, first 2 shown]
	v_cvt_f64_f32_e32 v[89:90], v45
	v_cvt_f64_f32_e32 v[45:46], v46
	v_fma_f64 v[81:82], -v[115:116], v[61:62], v[83:84]
	v_fma_f64 v[17:18], v[113:114], v[61:62], v[17:18]
	v_cvt_f64_f32_e32 v[83:84], v178
	s_waitcnt vmcnt(4)
	v_fma_f64 v[19:20], v[59:60], v[63:64], v[19:20]
	v_fma_f64 v[39:40], v[13:14], v[63:64], v[39:40]
	;; [unrolled: 1-line block ×8, first 2 shown]
	v_cvt_f64_f32_e32 v[63:64], v15
	v_cvt_f64_f32_e32 v[15:16], v16
	;; [unrolled: 1-line block ×3, first 2 shown]
	v_fma_f64 v[13:14], -v[13:14], v[65:66], v[19:20]
	v_fma_f64 v[19:20], v[59:60], v[65:66], v[39:40]
	v_fma_f64 v[39:40], -v[87:88], v[65:66], v[41:42]
	v_fma_f64 v[41:42], v[85:86], v[65:66], v[47:48]
	;; [unrolled: 2-line block ×3, first 2 shown]
	v_cvt_f64_f32_e32 v[49:50], v179
	v_cvt_f64_f32_e32 v[59:60], v180
	v_fma_f64 v[21:22], -v[21:22], v[65:66], v[79:80]
	v_fma_f64 v[17:18], v[93:94], v[65:66], v[17:18]
	v_cvt_f64_f32_e32 v[61:62], v171
	v_cvt_f64_f32_e32 v[65:66], v172
	s_waitcnt vmcnt(3)
	v_fma_f64 v[13:14], v[63:64], v[67:68], v[13:14]
	v_fma_f64 v[19:20], v[15:16], v[67:68], v[19:20]
	;; [unrolled: 1-line block ×8, first 2 shown]
	v_cvt_f64_f32_e32 v[67:68], v35
	v_cvt_f64_f32_e32 v[35:36], v36
	s_waitcnt vmcnt(2)
	v_cvt_f64_f32_e32 v[79:80], v71
	v_cvt_f64_f32_e32 v[71:72], v72
	v_fma_f64 v[13:14], -v[15:16], v[69:70], v[13:14]
	v_fma_f64 v[15:16], v[63:64], v[69:70], v[19:20]
	v_fma_f64 v[19:20], -v[83:84], v[69:70], v[39:40]
	v_fma_f64 v[39:40], v[81:82], v[69:70], v[41:42]
	;; [unrolled: 2-line block ×4, first 2 shown]
	v_cvt_f64_f32_e32 v[45:46], v182
	v_cvt_f64_f32_e32 v[63:64], v173
	;; [unrolled: 1-line block ×5, first 2 shown]
	s_waitcnt vmcnt(1)
	v_fma_f64 v[13:14], v[49:50], v[75:76], v[13:14]
	v_fma_f64 v[15:16], v[59:60], v[75:76], v[15:16]
	;; [unrolled: 1-line block ×8, first 2 shown]
	v_cvt_f64_f32_e32 v[43:44], v181
	v_cvt_f64_f32_e32 v[75:76], v37
	;; [unrolled: 1-line block ×3, first 2 shown]
	v_fma_f64 v[13:14], -v[59:60], v[77:78], v[13:14]
	v_fma_f64 v[15:16], v[49:50], v[77:78], v[15:16]
	v_fma_f64 v[19:20], -v[65:66], v[77:78], v[19:20]
	v_fma_f64 v[23:24], v[61:62], v[77:78], v[23:24]
	;; [unrolled: 2-line block ×4, first 2 shown]
	s_waitcnt vmcnt(0)
	v_fma_f64 v[13:14], v[43:44], v[9:10], v[13:14]
	v_fma_f64 v[15:16], v[45:46], v[9:10], v[15:16]
	;; [unrolled: 1-line block ×8, first 2 shown]
	v_fma_f64 v[47:48], -v[45:46], v[11:12], v[13:14]
	v_fma_f64 v[39:40], v[43:44], v[11:12], v[15:16]
	v_fma_f64 v[49:50], -v[69:70], v[11:12], v[19:20]
	v_fma_f64 v[45:46], v[63:64], v[11:12], v[23:24]
	;; [unrolled: 2-line block ×4, first 2 shown]
	s_andn2_b32 exec_lo, exec_lo, s8
	s_cbranch_execnz .LBB176_21
; %bb.22:
	s_or_b32 exec_lo, exec_lo, s8
.LBB176_23:
	s_or_b32 exec_lo, exec_lo, s7
.LBB176_24:
	s_or_b32 exec_lo, exec_lo, s6
	s_cbranch_execz .LBB176_26
	s_branch .LBB176_37
.LBB176_25:
                                        ; implicit-def: $vgpr39_vgpr40
                                        ; implicit-def: $vgpr47_vgpr48
                                        ; implicit-def: $vgpr45_vgpr46
                                        ; implicit-def: $vgpr49_vgpr50
                                        ; implicit-def: $vgpr41_vgpr42
                                        ; implicit-def: $vgpr43_vgpr44
                                        ; implicit-def: $vgpr37_vgpr38
                                        ; implicit-def: $vgpr35_vgpr36
.LBB176_26:
	v_mov_b32_e32 v39, 0
	v_mov_b32_e32 v47, 0
	;; [unrolled: 1-line block ×16, first 2 shown]
	s_and_saveexec_b32 s1, s0
	s_cbranch_execz .LBB176_36
; %bb.27:
	v_or_b32_e32 v9, 8, v0
	v_not_b32_e32 v13, v51
	v_sub_co_u32 v14, s0, v27, v0
	v_not_b32_e32 v11, v52
	v_sub_co_u32 v9, vcc_lo, v9, v27
	v_sub_co_ci_u32_e64 v10, null, 0, v28, vcc_lo
	v_subrev_co_ci_u32_e64 v15, null, 0, v28, s0
	v_add_co_u32 v9, vcc_lo, v9, v51
	v_add_co_ci_u32_e64 v10, null, v10, v52, vcc_lo
	v_add_co_u32 v13, s0, v14, v13
	v_add_co_ci_u32_e64 v11, null, v15, v11, s0
	v_cmp_gt_i64_e32 vcc_lo, v[9:10], v[31:32]
	v_mov_b32_e32 v35, 0
	v_mov_b32_e32 v37, 0
	;; [unrolled: 1-line block ×5, first 2 shown]
	v_cndmask_b32_e32 v9, v31, v9, vcc_lo
	v_cndmask_b32_e32 v10, v32, v10, vcc_lo
	v_mov_b32_e32 v45, 0
	v_mov_b32_e32 v47, 0
	;; [unrolled: 1-line block ×3, first 2 shown]
	v_add_co_u32 v9, vcc_lo, v13, v9
	v_mov_b32_e32 v12, 0
	v_mov_b32_e32 v36, 0
	;; [unrolled: 1-line block ×4, first 2 shown]
	v_add_co_ci_u32_e64 v10, null, v11, v10, vcc_lo
	v_and_b32_e32 v11, 24, v9
	v_mov_b32_e32 v42, 0
	v_mov_b32_e32 v50, 0
	;; [unrolled: 1-line block ×5, first 2 shown]
	s_mov_b32 s6, exec_lo
	v_cmpx_ne_u64_e32 24, v[11:12]
	s_cbranch_execz .LBB176_31
; %bb.28:
	v_lshrrev_b32_e32 v13, 3, v9
	v_lshlrev_b64 v[11:12], 3, v[29:30]
	v_mov_b32_e32 v39, 0
	v_mov_b32_e32 v47, 0
	;; [unrolled: 1-line block ×3, first 2 shown]
	v_add_nc_u32_e32 v13, 1, v13
	v_mov_b32_e32 v49, 0
	v_add_co_u32 v11, vcc_lo, s12, v11
	v_mov_b32_e32 v41, 0
	v_and_b32_e32 v13, 3, v13
	v_mov_b32_e32 v43, 0
	v_mov_b32_e32 v37, 0
	;; [unrolled: 1-line block ×4, first 2 shown]
	v_sub_co_u32 v13, s0, 0, v13
	v_mov_b32_e32 v48, 0
	v_mov_b32_e32 v46, 0
	v_add_co_ci_u32_e64 v12, null, s13, v12, vcc_lo
	v_mov_b32_e32 v50, 0
	v_mov_b32_e32 v42, 0
	;; [unrolled: 1-line block ×5, first 2 shown]
	v_sub_co_ci_u32_e64 v14, null, 0, 0, s0
	s_mov_b32 s7, 0
.LBB176_29:                             ; =>This Inner Loop Header: Depth=1
	global_load_dwordx2 v[23:24], v[11:12], off
	s_clause 0x1
	global_load_dwordx4 v[15:18], v[33:34], off offset:16
	global_load_dwordx4 v[19:22], v[33:34], off
	v_add_co_u32 v11, s0, v11, 64
	v_add_co_ci_u32_e64 v12, null, 0, v12, s0
	s_waitcnt vmcnt(2)
	v_sub_co_u32 v23, vcc_lo, v23, v27
	v_sub_co_ci_u32_e64 v24, null, v24, v28, vcc_lo
	s_waitcnt vmcnt(0)
	v_cvt_f64_f32_e32 v[91:92], v21
	v_cvt_f64_f32_e32 v[21:22], v22
	v_cvt_f64_f32_e32 v[93:94], v15
	v_lshlrev_b64 v[23:24], 6, v[23:24]
	v_cvt_f64_f32_e32 v[15:16], v16
	v_cvt_f64_f32_e32 v[95:96], v17
	;; [unrolled: 1-line block ×3, first 2 shown]
	v_add_co_u32 v23, vcc_lo, s2, v23
	v_add_co_ci_u32_e64 v24, null, s3, v24, vcc_lo
	global_load_dwordx4 v[51:54], v[23:24], off
	s_clause 0x1
	global_load_dwordx4 v[55:58], v[33:34], off offset:32
	global_load_dwordx4 v[59:62], v[33:34], off offset:48
	global_load_dwordx4 v[63:66], v[23:24], off offset:16
	s_clause 0x1
	global_load_dwordx4 v[67:70], v[33:34], off offset:64
	global_load_dwordx4 v[71:74], v[33:34], off offset:80
	global_load_dwordx4 v[75:78], v[23:24], off offset:32
	;; [unrolled: 4-line block ×3, first 2 shown]
	v_cvt_f64_f32_e32 v[23:24], v19
	v_cvt_f64_f32_e32 v[19:20], v20
	v_add_co_u32 v33, vcc_lo, 0x400, v33
	v_add_co_ci_u32_e64 v34, null, 0, v34, vcc_lo
	v_add_co_u32 v13, vcc_lo, v13, 1
	v_add_co_ci_u32_e64 v14, null, 0, v14, vcc_lo
	;; [unrolled: 2-line block ×3, first 2 shown]
	v_cmp_eq_u64_e32 vcc_lo, 0, v[13:14]
	s_or_b32 s7, vcc_lo, s7
	s_waitcnt vmcnt(9)
	v_fma_f64 v[47:48], v[23:24], v[51:52], v[47:48]
	v_fma_f64 v[39:40], v[19:20], v[51:52], v[39:40]
	;; [unrolled: 1-line block ×8, first 2 shown]
	s_waitcnt vmcnt(8)
	v_cvt_f64_f32_e32 v[51:52], v55
	v_cvt_f64_f32_e32 v[55:56], v56
	;; [unrolled: 1-line block ×4, first 2 shown]
	s_waitcnt vmcnt(7)
	v_cvt_f64_f32_e32 v[99:100], v59
	v_cvt_f64_f32_e32 v[59:60], v60
	;; [unrolled: 1-line block ×4, first 2 shown]
	v_fma_f64 v[19:20], -v[19:20], v[53:54], v[47:48]
	v_fma_f64 v[23:24], v[23:24], v[53:54], v[39:40]
	v_fma_f64 v[21:22], -v[21:22], v[53:54], v[49:50]
	v_fma_f64 v[39:40], v[91:92], v[53:54], v[45:46]
	;; [unrolled: 2-line block ×4, first 2 shown]
	s_waitcnt vmcnt(5)
	v_cvt_f64_f32_e32 v[43:44], v68
	v_cvt_f64_f32_e32 v[45:46], v69
	;; [unrolled: 1-line block ×3, first 2 shown]
	s_waitcnt vmcnt(4)
	v_cvt_f64_f32_e32 v[49:50], v71
	v_cvt_f64_f32_e32 v[53:54], v72
	s_waitcnt vmcnt(1)
	v_cvt_f64_f32_e32 v[69:70], v85
	v_cvt_f64_f32_e32 v[71:72], v86
	v_fma_f64 v[19:20], v[51:52], v[63:64], v[19:20]
	v_fma_f64 v[23:24], v[55:56], v[63:64], v[23:24]
	;; [unrolled: 1-line block ×8, first 2 shown]
	v_cvt_f64_f32_e32 v[41:42], v67
	v_cvt_f64_f32_e32 v[63:64], v73
	;; [unrolled: 1-line block ×3, first 2 shown]
	v_fma_f64 v[19:20], -v[55:56], v[65:66], v[19:20]
	v_fma_f64 v[23:24], v[51:52], v[65:66], v[23:24]
	v_fma_f64 v[21:22], -v[57:58], v[65:66], v[21:22]
	v_fma_f64 v[37:38], v[97:98], v[65:66], v[37:38]
	;; [unrolled: 2-line block ×4, first 2 shown]
	v_cvt_f64_f32_e32 v[51:52], v79
	v_cvt_f64_f32_e32 v[55:56], v80
	;; [unrolled: 1-line block ×6, first 2 shown]
	v_fma_f64 v[19:20], v[41:42], v[75:76], v[19:20]
	v_fma_f64 v[23:24], v[43:44], v[75:76], v[23:24]
	;; [unrolled: 1-line block ×8, first 2 shown]
	v_fma_f64 v[19:20], -v[43:44], v[77:78], v[19:20]
	v_fma_f64 v[23:24], v[41:42], v[77:78], v[23:24]
	v_fma_f64 v[21:22], -v[47:48], v[77:78], v[21:22]
	v_fma_f64 v[37:38], v[45:46], v[77:78], v[37:38]
	;; [unrolled: 2-line block ×4, first 2 shown]
	s_waitcnt vmcnt(0)
	v_fma_f64 v[19:20], v[51:52], v[87:88], v[19:20]
	v_fma_f64 v[23:24], v[55:56], v[87:88], v[23:24]
	;; [unrolled: 1-line block ×8, first 2 shown]
	v_fma_f64 v[47:48], -v[55:56], v[89:90], v[19:20]
	v_fma_f64 v[39:40], v[51:52], v[89:90], v[23:24]
	v_fma_f64 v[49:50], -v[59:60], v[89:90], v[21:22]
	v_fma_f64 v[45:46], v[57:58], v[89:90], v[37:38]
	;; [unrolled: 2-line block ×4, first 2 shown]
	s_andn2_b32 exec_lo, exec_lo, s7
	s_cbranch_execnz .LBB176_29
; %bb.30:
	s_or_b32 exec_lo, exec_lo, s7
.LBB176_31:
	s_or_b32 exec_lo, exec_lo, s6
	s_mov_b32 s6, exec_lo
	v_cmpx_lt_u64_e32 23, v[9:10]
	s_cbranch_execz .LBB176_35
; %bb.32:
	v_lshlrev_b64 v[9:10], 3, v[29:30]
	s_mov_b32 s7, 0
	v_add_co_u32 v9, vcc_lo, s12, v9
	v_add_co_ci_u32_e64 v10, null, s13, v10, vcc_lo
	v_add_co_u32 v51, vcc_lo, 0x80, v9
	v_add_co_ci_u32_e64 v52, null, 0, v10, vcc_lo
.LBB176_33:                             ; =>This Inner Loop Header: Depth=1
	global_load_dwordx2 v[69:70], v[51:52], off offset:-128
	s_clause 0x3
	global_load_dwordx4 v[21:24], v[33:34], off
	global_load_dwordx4 v[17:20], v[33:34], off offset:16
	global_load_dwordx4 v[13:16], v[33:34], off offset:32
	;; [unrolled: 1-line block ×3, first 2 shown]
	global_load_dwordx2 v[113:114], v[51:52], off offset:-64
	s_clause 0x3
	global_load_dwordx4 v[53:56], v[33:34], off offset:64
	global_load_dwordx4 v[57:60], v[33:34], off offset:80
	;; [unrolled: 1-line block ×4, first 2 shown]
	s_clause 0x1
	global_load_dwordx2 v[115:116], v[51:52], off
	global_load_dwordx2 v[117:118], v[51:52], off offset:64
	s_waitcnt vmcnt(11)
	v_sub_co_u32 v69, vcc_lo, v69, v27
	v_sub_co_ci_u32_e64 v70, null, v70, v28, vcc_lo
	s_waitcnt vmcnt(10)
	v_cvt_f64_f32_e32 v[121:122], v21
	v_cvt_f64_f32_e32 v[123:124], v22
	;; [unrolled: 1-line block ×3, first 2 shown]
	v_lshlrev_b64 v[69:70], 6, v[69:70]
	v_cvt_f64_f32_e32 v[127:128], v24
	s_waitcnt vmcnt(7)
	v_cvt_f64_f32_e32 v[143:144], v9
	v_cvt_f64_f32_e32 v[145:146], v10
	s_waitcnt vmcnt(5)
	v_cvt_f64_f32_e32 v[151:152], v54
	v_cvt_f64_f32_e32 v[147:148], v11
	v_add_co_u32 v119, vcc_lo, s2, v69
	v_add_co_ci_u32_e64 v120, null, s3, v70, vcc_lo
	v_sub_co_u32 v9, vcc_lo, v113, v27
	v_sub_co_ci_u32_e64 v10, null, v114, v28, vcc_lo
	s_clause 0x1
	global_load_dwordx4 v[69:72], v[119:120], off
	global_load_dwordx4 v[73:76], v[119:120], off offset:16
	global_load_dwordx4 v[77:80], v[33:34], off offset:1024
	;; [unrolled: 1-line block ×3, first 2 shown]
	s_clause 0x6
	global_load_dwordx4 v[85:88], v[33:34], off offset:1040
	global_load_dwordx4 v[89:92], v[33:34], off offset:1056
	;; [unrolled: 1-line block ×8, first 2 shown]
	v_cvt_f64_f32_e32 v[113:114], v53
	v_lshlrev_b64 v[9:10], 6, v[9:10]
	v_cvt_f64_f32_e32 v[149:150], v12
	v_cvt_f64_f32_e32 v[129:130], v17
	;; [unrolled: 1-line block ×5, first 2 shown]
	v_add_co_u32 v53, vcc_lo, s2, v9
	v_add_co_ci_u32_e64 v54, null, s3, v10, vcc_lo
	v_cvt_f64_f32_e32 v[139:140], v15
	v_cvt_f64_f32_e32 v[141:142], v16
	;; [unrolled: 1-line block ×3, first 2 shown]
	s_clause 0x1
	global_load_dwordx4 v[9:12], v[53:54], off
	global_load_dwordx4 v[13:16], v[53:54], off offset:16
	v_cvt_f64_f32_e32 v[133:134], v20
	s_waitcnt vmcnt(18)
	v_cvt_f64_f32_e32 v[157:158], v57
	v_cvt_f64_f32_e32 v[159:160], v58
	;; [unrolled: 1-line block ×4, first 2 shown]
	s_waitcnt vmcnt(17)
	v_cvt_f64_f32_e32 v[165:166], v61
	v_cvt_f64_f32_e32 v[167:168], v62
	s_waitcnt vmcnt(16)
	v_cvt_f64_f32_e32 v[173:174], v65
	v_cvt_f64_f32_e32 v[175:176], v66
	;; [unrolled: 1-line block ×7, first 2 shown]
	s_waitcnt vmcnt(15)
	v_sub_co_u32 v55, vcc_lo, v115, v27
	v_cvt_f64_f32_e32 v[155:156], v56
	v_sub_co_ci_u32_e64 v56, null, v116, v28, vcc_lo
	s_waitcnt vmcnt(13)
	v_fma_f64 v[17:18], v[121:122], v[69:70], v[47:48]
	v_fma_f64 v[19:20], v[123:124], v[69:70], v[39:40]
	;; [unrolled: 1-line block ×6, first 2 shown]
	v_lshlrev_b64 v[47:48], 6, v[55:56]
	s_waitcnt vmcnt(11)
	v_cvt_f64_f32_e32 v[181:182], v77
	v_cvt_f64_f32_e32 v[183:184], v78
	;; [unrolled: 1-line block ×4, first 2 shown]
	v_fma_f64 v[57:58], -v[123:124], v[71:72], v[17:18]
	v_fma_f64 v[17:18], v[125:126], v[69:70], v[49:50]
	v_fma_f64 v[59:60], v[121:122], v[71:72], v[19:20]
	v_fma_f64 v[65:66], -v[119:120], v[71:72], v[43:44]
	v_fma_f64 v[43:44], v[133:134], v[69:70], v[37:38]
	v_fma_f64 v[63:64], v[125:126], v[71:72], v[39:40]
	;; [unrolled: 1-line block ×3, first 2 shown]
	v_fma_f64 v[69:70], -v[133:134], v[71:72], v[35:36]
	v_add_co_u32 v123, vcc_lo, 0x800, v33
	v_add_co_ci_u32_e64 v124, null, 0, v34, vcc_lo
	v_add_co_u32 v115, vcc_lo, s2, v47
	v_add_co_ci_u32_e64 v116, null, s3, v48, vcc_lo
	s_clause 0x2
	global_load_dwordx4 v[39:42], v[123:124], off
	global_load_dwordx4 v[35:38], v[123:124], off offset:16
	global_load_dwordx4 v[47:50], v[123:124], off offset:32
	s_waitcnt vmcnt(12)
	v_cvt_f64_f32_e32 v[125:126], v85
	v_cvt_f64_f32_e32 v[129:130], v87
	v_sub_co_u32 v117, vcc_lo, v117, v27
	v_fma_f64 v[61:62], -v[127:128], v[71:72], v[17:18]
	global_load_dwordx4 v[17:20], v[53:54], off offset:32
	v_fma_f64 v[55:56], v[137:138], v[73:74], v[59:60]
	v_fma_f64 v[71:72], v[131:132], v[71:72], v[43:44]
	global_load_dwordx4 v[43:46], v[53:54], off offset:48
	v_fma_f64 v[53:54], v[135:136], v[73:74], v[57:58]
	v_fma_f64 v[59:60], v[141:142], v[73:74], v[63:64]
	;; [unrolled: 1-line block ×3, first 2 shown]
	v_cvt_f64_f32_e32 v[127:128], v86
	v_cvt_f64_f32_e32 v[131:132], v88
	v_sub_co_ci_u32_e64 v118, null, v118, v28, vcc_lo
	v_add_co_u32 v33, s0, 0x1000, v33
	v_add_co_ci_u32_e64 v34, null, 0, v34, s0
	v_fma_f64 v[57:58], v[139:140], v[73:74], v[61:62]
	v_fma_f64 v[61:62], v[143:144], v[73:74], v[65:66]
	;; [unrolled: 1-line block ×5, first 2 shown]
	v_fma_f64 v[77:78], -v[137:138], v[75:76], v[53:54]
	global_load_dwordx4 v[53:56], v[115:116], off
	v_fma_f64 v[71:72], v[139:140], v[75:76], v[59:60]
	v_fma_f64 v[119:120], v[143:144], v[75:76], v[63:64]
	s_waitcnt vmcnt(14)
	v_cvt_f64_f32_e32 v[137:138], v89
	v_cvt_f64_f32_e32 v[139:140], v90
	v_fma_f64 v[69:70], -v[141:142], v[75:76], v[57:58]
	global_load_dwordx4 v[57:60], v[123:124], off offset:48
	v_fma_f64 v[73:74], -v[145:146], v[75:76], v[61:62]
	v_fma_f64 v[121:122], -v[149:150], v[75:76], v[65:66]
	v_fma_f64 v[75:76], v[147:148], v[75:76], v[67:68]
	global_load_dwordx4 v[65:68], v[115:116], off offset:16
	v_fma_f64 v[77:78], v[113:114], v[81:82], v[77:78]
	v_fma_f64 v[79:80], v[151:152], v[81:82], v[79:80]
	;; [unrolled: 1-line block ×4, first 2 shown]
	global_load_dwordx4 v[61:64], v[123:124], off offset:64
	v_cvt_f64_f32_e32 v[141:142], v92
	s_waitcnt vmcnt(16)
	v_cvt_f64_f32_e32 v[149:150], v93
	v_fma_f64 v[85:86], v[153:154], v[81:82], v[69:70]
	global_load_dwordx4 v[69:72], v[123:124], off offset:80
	v_fma_f64 v[133:134], v[157:158], v[81:82], v[73:74]
	v_fma_f64 v[121:122], v[161:162], v[81:82], v[121:122]
	;; [unrolled: 1-line block ×3, first 2 shown]
	global_load_dwordx4 v[73:76], v[123:124], off offset:96
	v_fma_f64 v[135:136], -v[151:152], v[83:84], v[77:78]
	v_fma_f64 v[113:114], v[113:114], v[83:84], v[79:80]
	v_fma_f64 v[87:88], v[153:154], v[83:84], v[87:88]
	;; [unrolled: 1-line block ×3, first 2 shown]
	global_load_dwordx4 v[77:80], v[115:116], off offset:32
	v_cvt_f64_f32_e32 v[153:154], v96
	s_waitcnt vmcnt(18)
	v_cvt_f64_f32_e32 v[157:158], v100
	v_fma_f64 v[85:86], -v[155:156], v[83:84], v[85:86]
	v_cvt_f64_f32_e32 v[155:156], v99
	v_fma_f64 v[133:134], -v[159:160], v[83:84], v[133:134]
	v_fma_f64 v[89:90], -v[163:164], v[83:84], v[121:122]
	v_fma_f64 v[81:82], v[161:162], v[83:84], v[81:82]
	v_cvt_f64_f32_e32 v[121:122], v91
	s_waitcnt vmcnt(14)
	v_fma_f64 v[91:92], v[165:166], v[21:22], v[135:136]
	v_fma_f64 v[113:114], v[167:168], v[21:22], v[113:114]
	;; [unrolled: 1-line block ×4, first 2 shown]
	v_cvt_f64_f32_e32 v[159:160], v101
	v_cvt_f64_f32_e32 v[161:162], v102
	;; [unrolled: 1-line block ×3, first 2 shown]
	v_fma_f64 v[135:136], v[169:170], v[21:22], v[85:86]
	global_load_dwordx4 v[85:88], v[123:124], off offset:1040
	v_fma_f64 v[133:134], v[173:174], v[21:22], v[133:134]
	v_fma_f64 v[145:146], v[177:178], v[21:22], v[89:90]
	;; [unrolled: 1-line block ×3, first 2 shown]
	global_load_dwordx4 v[81:84], v[123:124], off offset:112
	v_fma_f64 v[147:148], -v[167:168], v[23:24], v[91:92]
	v_fma_f64 v[113:114], v[165:166], v[23:24], v[113:114]
	v_fma_f64 v[143:144], v[169:170], v[23:24], v[143:144]
	;; [unrolled: 1-line block ×3, first 2 shown]
	global_load_dwordx4 v[89:92], v[123:124], off offset:1024
	v_cvt_f64_f32_e32 v[165:166], v104
	v_fma_f64 v[135:136], -v[171:172], v[23:24], v[135:136]
	v_fma_f64 v[133:134], -v[175:176], v[23:24], v[133:134]
	;; [unrolled: 1-line block ×3, first 2 shown]
	v_fma_f64 v[151:152], v[177:178], v[23:24], v[21:22]
	global_load_dwordx4 v[21:24], v[115:116], off offset:48
	s_waitcnt vmcnt(17)
	v_fma_f64 v[115:116], v[181:182], v[9:10], v[147:148]
	v_fma_f64 v[113:114], v[183:184], v[9:10], v[113:114]
	;; [unrolled: 1-line block ×4, first 2 shown]
	v_cvt_f64_f32_e32 v[147:148], v94
	v_lshlrev_b64 v[93:94], 6, v[117:118]
	v_add_co_u32 v117, vcc_lo, s2, v93
	v_add_co_ci_u32_e64 v118, null, s3, v94, vcc_lo
	v_add_co_u32 v29, vcc_lo, v29, 32
	v_fma_f64 v[135:136], v[185:186], v[9:10], v[135:136]
	v_fma_f64 v[133:134], v[125:126], v[9:10], v[133:134]
	;; [unrolled: 1-line block ×4, first 2 shown]
	v_cvt_f64_f32_e32 v[151:152], v95
	v_fma_f64 v[115:116], -v[183:184], v[11:12], v[115:116]
	v_fma_f64 v[113:114], v[181:182], v[11:12], v[113:114]
	v_fma_f64 v[143:144], v[185:186], v[11:12], v[143:144]
	;; [unrolled: 1-line block ×3, first 2 shown]
	v_add_co_ci_u32_e64 v30, null, 0, v30, vcc_lo
	v_add_co_u32 v51, vcc_lo, 0x100, v51
	v_add_co_ci_u32_e64 v52, null, 0, v52, vcc_lo
	v_cmp_ge_i64_e32 vcc_lo, v[29:30], v[31:32]
	s_or_b32 s7, vcc_lo, s7
	v_fma_f64 v[135:136], -v[187:188], v[11:12], v[135:136]
	v_fma_f64 v[127:128], -v[127:128], v[11:12], v[133:134]
	;; [unrolled: 1-line block ×3, first 2 shown]
	v_fma_f64 v[129:130], v[129:130], v[11:12], v[9:10]
	global_load_dwordx4 v[9:12], v[117:118], off
	global_load_dwordx4 v[93:96], v[123:124], off offset:1056
	s_waitcnt vmcnt(18)
	v_fma_f64 v[131:132], v[137:138], v[13:14], v[115:116]
	v_fma_f64 v[133:134], v[139:140], v[13:14], v[113:114]
	;; [unrolled: 1-line block ×4, first 2 shown]
	global_load_dwordx4 v[113:116], v[123:124], off offset:1072
	v_cvt_f64_f32_e32 v[145:146], v98
	v_fma_f64 v[135:136], v[121:122], v[13:14], v[135:136]
	v_fma_f64 v[127:128], v[149:150], v[13:14], v[127:128]
	;; [unrolled: 1-line block ×4, first 2 shown]
	v_cvt_f64_f32_e32 v[129:130], v97
	v_fma_f64 v[101:102], -v[139:140], v[15:16], v[131:132]
	v_fma_f64 v[103:104], v[137:138], v[15:16], v[133:134]
	v_fma_f64 v[121:122], v[121:122], v[15:16], v[143:144]
	;; [unrolled: 1-line block ×3, first 2 shown]
	v_cvt_f64_f32_e32 v[139:140], v106
	v_cvt_f64_f32_e32 v[143:144], v108
	;; [unrolled: 1-line block ×3, first 2 shown]
	v_fma_f64 v[131:132], -v[141:142], v[15:16], v[135:136]
	v_fma_f64 v[127:128], -v[147:148], v[15:16], v[127:128]
	;; [unrolled: 1-line block ×3, first 2 shown]
	v_fma_f64 v[133:134], v[151:152], v[15:16], v[13:14]
	global_load_dwordx4 v[13:16], v[117:118], off offset:16
	global_load_dwordx4 v[97:100], v[123:124], off offset:1088
	v_cvt_f64_f32_e32 v[141:142], v107
	v_cvt_f64_f32_e32 v[147:148], v109
	;; [unrolled: 1-line block ×4, first 2 shown]
	s_waitcnt vmcnt(17)
	v_fma_f64 v[135:136], v[129:130], v[17:18], v[101:102]
	v_fma_f64 v[137:138], v[145:146], v[17:18], v[103:104]
	;; [unrolled: 1-line block ×8, first 2 shown]
	global_load_dwordx4 v[101:104], v[123:124], off offset:1104
	v_cvt_f64_f32_e32 v[133:134], v105
	v_fma_f64 v[135:136], -v[145:146], v[19:20], v[135:136]
	v_fma_f64 v[129:130], v[129:130], v[19:20], v[137:138]
	v_fma_f64 v[131:132], -v[157:158], v[19:20], v[131:132]
	v_fma_f64 v[121:122], v[155:156], v[19:20], v[121:122]
	;; [unrolled: 2-line block ×4, first 2 shown]
	s_clause 0x1
	global_load_dwordx4 v[17:20], v[117:118], off offset:32
	global_load_dwordx4 v[105:108], v[117:118], off offset:48
	global_load_dwordx4 v[109:112], v[123:124], off offset:1120
	v_cvt_f64_f32_e32 v[155:156], v35
	v_cvt_f64_f32_e32 v[35:36], v36
	;; [unrolled: 1-line block ×4, first 2 shown]
	s_waitcnt vmcnt(20)
	v_fma_f64 v[135:136], v[133:134], v[43:44], v[135:136]
	v_fma_f64 v[129:130], v[139:140], v[43:44], v[129:130]
	;; [unrolled: 1-line block ×8, first 2 shown]
	global_load_dwordx4 v[117:120], v[123:124], off offset:1136
	v_cvt_f64_f32_e32 v[123:124], v39
	v_cvt_f64_f32_e32 v[39:40], v40
	;; [unrolled: 1-line block ×4, first 2 shown]
	v_fma_f64 v[135:136], -v[139:140], v[45:46], v[135:136]
	v_fma_f64 v[129:130], v[133:134], v[45:46], v[129:130]
	v_fma_f64 v[131:132], -v[143:144], v[45:46], v[131:132]
	v_fma_f64 v[121:122], v[141:142], v[45:46], v[121:122]
	;; [unrolled: 2-line block ×4, first 2 shown]
	s_waitcnt vmcnt(19)
	v_cvt_f64_f32_e32 v[139:140], v57
	v_cvt_f64_f32_e32 v[57:58], v58
	;; [unrolled: 1-line block ×4, first 2 shown]
	v_fma_f64 v[45:46], v[123:124], v[53:54], v[135:136]
	v_fma_f64 v[129:130], v[39:40], v[53:54], v[129:130]
	;; [unrolled: 1-line block ×8, first 2 shown]
	v_cvt_f64_f32_e32 v[53:54], v47
	v_cvt_f64_f32_e32 v[47:48], v48
	;; [unrolled: 1-line block ×4, first 2 shown]
	v_fma_f64 v[39:40], -v[39:40], v[55:56], v[45:46]
	v_fma_f64 v[45:46], v[123:124], v[55:56], v[129:130]
	v_fma_f64 v[41:42], -v[41:42], v[55:56], v[131:132]
	v_fma_f64 v[121:122], v[137:138], v[55:56], v[121:122]
	;; [unrolled: 2-line block ×4, first 2 shown]
	s_waitcnt vmcnt(16)
	v_cvt_f64_f32_e32 v[125:126], v69
	v_cvt_f64_f32_e32 v[69:70], v70
	;; [unrolled: 1-line block ×4, first 2 shown]
	v_fma_f64 v[39:40], v[53:54], v[65:66], v[39:40]
	v_fma_f64 v[45:46], v[47:48], v[65:66], v[45:46]
	;; [unrolled: 1-line block ×8, first 2 shown]
	v_cvt_f64_f32_e32 v[65:66], v61
	v_cvt_f64_f32_e32 v[61:62], v62
	;; [unrolled: 1-line block ×4, first 2 shown]
	v_fma_f64 v[39:40], -v[47:48], v[67:68], v[39:40]
	v_fma_f64 v[45:46], v[53:54], v[67:68], v[45:46]
	v_fma_f64 v[41:42], -v[49:50], v[67:68], v[41:42]
	v_fma_f64 v[47:48], v[135:136], v[67:68], v[55:56]
	;; [unrolled: 2-line block ×4, first 2 shown]
	s_waitcnt vmcnt(15)
	v_cvt_f64_f32_e32 v[53:54], v73
	v_cvt_f64_f32_e32 v[55:56], v74
	;; [unrolled: 1-line block ×4, first 2 shown]
	s_waitcnt vmcnt(12)
	v_cvt_f64_f32_e32 v[67:68], v81
	v_cvt_f64_f32_e32 v[73:74], v82
	;; [unrolled: 1-line block ×4, first 2 shown]
	v_fma_f64 v[39:40], v[65:66], v[77:78], v[39:40]
	v_fma_f64 v[45:46], v[61:62], v[77:78], v[45:46]
	;; [unrolled: 1-line block ×8, first 2 shown]
	v_cvt_f64_f32_e32 v[77:78], v84
	v_fma_f64 v[39:40], -v[61:62], v[79:80], v[39:40]
	v_fma_f64 v[45:46], v[65:66], v[79:80], v[45:46]
	v_fma_f64 v[41:42], -v[63:64], v[79:80], v[41:42]
	v_fma_f64 v[47:48], v[123:124], v[79:80], v[47:48]
	;; [unrolled: 2-line block ×4, first 2 shown]
	s_waitcnt vmcnt(11)
	v_cvt_f64_f32_e32 v[61:62], v90
	v_cvt_f64_f32_e32 v[63:64], v91
	;; [unrolled: 1-line block ×6, first 2 shown]
	s_waitcnt vmcnt(10)
	v_fma_f64 v[39:40], v[53:54], v[21:22], v[39:40]
	v_fma_f64 v[45:46], v[55:56], v[21:22], v[45:46]
	v_fma_f64 v[41:42], v[57:58], v[21:22], v[41:42]
	v_fma_f64 v[47:48], v[59:60], v[21:22], v[47:48]
	v_fma_f64 v[35:36], v[67:68], v[21:22], v[35:36]
	v_fma_f64 v[49:50], v[73:74], v[21:22], v[49:50]
	v_fma_f64 v[37:38], v[75:76], v[21:22], v[37:38]
	v_fma_f64 v[21:22], v[77:78], v[21:22], v[43:44]
	v_cvt_f64_f32_e32 v[43:44], v89
	v_fma_f64 v[39:40], -v[55:56], v[23:24], v[39:40]
	v_fma_f64 v[45:46], v[53:54], v[23:24], v[45:46]
	v_fma_f64 v[41:42], -v[59:60], v[23:24], v[41:42]
	v_fma_f64 v[47:48], v[57:58], v[23:24], v[47:48]
	;; [unrolled: 2-line block ×4, first 2 shown]
	s_waitcnt vmcnt(8)
	v_cvt_f64_f32_e32 v[53:54], v95
	v_cvt_f64_f32_e32 v[55:56], v96
	s_waitcnt vmcnt(7)
	v_cvt_f64_f32_e32 v[57:58], v113
	v_cvt_f64_f32_e32 v[59:60], v114
	;; [unrolled: 1-line block ×4, first 2 shown]
	v_fma_f64 v[23:24], v[43:44], v[9:10], v[39:40]
	v_fma_f64 v[39:40], v[61:62], v[9:10], v[45:46]
	;; [unrolled: 1-line block ×8, first 2 shown]
	v_cvt_f64_f32_e32 v[21:22], v93
	v_cvt_f64_f32_e32 v[49:50], v94
	v_fma_f64 v[23:24], -v[61:62], v[11:12], v[23:24]
	v_fma_f64 v[39:40], v[43:44], v[11:12], v[39:40]
	v_fma_f64 v[41:42], -v[65:66], v[11:12], v[41:42]
	v_fma_f64 v[43:44], v[63:64], v[11:12], v[45:46]
	;; [unrolled: 2-line block ×4, first 2 shown]
	s_waitcnt vmcnt(5)
	v_cvt_f64_f32_e32 v[47:48], v99
	v_cvt_f64_f32_e32 v[61:62], v100
	v_fma_f64 v[11:12], v[21:22], v[13:14], v[23:24]
	v_fma_f64 v[23:24], v[49:50], v[13:14], v[39:40]
	;; [unrolled: 1-line block ×8, first 2 shown]
	v_cvt_f64_f32_e32 v[13:14], v97
	v_cvt_f64_f32_e32 v[45:46], v98
	s_waitcnt vmcnt(4)
	v_cvt_f64_f32_e32 v[63:64], v101
	v_cvt_f64_f32_e32 v[65:66], v102
	;; [unrolled: 1-line block ×4, first 2 shown]
	v_fma_f64 v[11:12], -v[49:50], v[15:16], v[11:12]
	v_fma_f64 v[21:22], v[21:22], v[15:16], v[23:24]
	v_fma_f64 v[23:24], -v[55:56], v[15:16], v[39:40]
	v_fma_f64 v[39:40], v[53:54], v[15:16], v[41:42]
	;; [unrolled: 2-line block ×4, first 2 shown]
	s_waitcnt vmcnt(1)
	v_cvt_f64_f32_e32 v[43:44], v111
	v_cvt_f64_f32_e32 v[49:50], v112
	v_fma_f64 v[11:12], v[13:14], v[17:18], v[11:12]
	v_fma_f64 v[15:16], v[45:46], v[17:18], v[21:22]
	;; [unrolled: 1-line block ×8, first 2 shown]
	v_cvt_f64_f32_e32 v[17:18], v109
	v_cvt_f64_f32_e32 v[41:42], v110
	s_waitcnt vmcnt(0)
	v_cvt_f64_f32_e32 v[53:54], v117
	v_cvt_f64_f32_e32 v[55:56], v118
	;; [unrolled: 1-line block ×4, first 2 shown]
	v_fma_f64 v[11:12], -v[45:46], v[19:20], v[11:12]
	v_fma_f64 v[13:14], v[13:14], v[19:20], v[15:16]
	v_fma_f64 v[15:16], -v[61:62], v[19:20], v[21:22]
	v_fma_f64 v[21:22], v[47:48], v[19:20], v[23:24]
	;; [unrolled: 2-line block ×4, first 2 shown]
	v_fma_f64 v[11:12], v[17:18], v[105:106], v[11:12]
	v_fma_f64 v[13:14], v[41:42], v[105:106], v[13:14]
	;; [unrolled: 1-line block ×8, first 2 shown]
	v_fma_f64 v[47:48], -v[41:42], v[107:108], v[11:12]
	v_fma_f64 v[39:40], v[17:18], v[107:108], v[13:14]
	v_fma_f64 v[49:50], -v[49:50], v[107:108], v[15:16]
	v_fma_f64 v[45:46], v[43:44], v[107:108], v[19:20]
	v_fma_f64 v[43:44], -v[55:56], v[107:108], v[21:22]
	v_fma_f64 v[41:42], v[53:54], v[107:108], v[23:24]
	v_fma_f64 v[35:36], -v[59:60], v[107:108], v[35:36]
	v_fma_f64 v[37:38], v[57:58], v[107:108], v[9:10]
	s_andn2_b32 exec_lo, exec_lo, s7
	s_cbranch_execnz .LBB176_33
; %bb.34:
	s_or_b32 exec_lo, exec_lo, s7
.LBB176_35:
	s_or_b32 exec_lo, exec_lo, s6
.LBB176_36:
	s_or_b32 exec_lo, exec_lo, s1
.LBB176_37:
	v_mbcnt_lo_u32_b32 v51, -1, 0
	v_xor_b32_e32 v9, 4, v51
	v_xor_b32_e32 v27, 2, v51
	v_cmp_gt_i32_e32 vcc_lo, 32, v9
	v_cndmask_b32_e32 v9, v51, v9, vcc_lo
	v_cmp_gt_i32_e32 vcc_lo, 32, v27
	v_lshlrev_b32_e32 v24, 2, v9
	v_cndmask_b32_e32 v29, v51, v27, vcc_lo
	ds_bpermute_b32 v9, v24, v47
	ds_bpermute_b32 v10, v24, v48
	;; [unrolled: 1-line block ×16, first 2 shown]
	s_waitcnt lgkmcnt(14)
	v_add_f64 v[9:10], v[47:48], v[9:10]
	s_waitcnt lgkmcnt(12)
	v_add_f64 v[11:12], v[39:40], v[11:12]
	;; [unrolled: 2-line block ×6, first 2 shown]
	v_lshlrev_b32_e32 v42, 2, v29
	s_waitcnt lgkmcnt(2)
	v_add_f64 v[21:22], v[35:36], v[21:22]
	s_waitcnt lgkmcnt(0)
	v_add_f64 v[27:28], v[37:38], v[23:24]
	ds_bpermute_b32 v23, v42, v9
	ds_bpermute_b32 v24, v42, v10
	;; [unrolled: 1-line block ×16, first 2 shown]
	s_waitcnt lgkmcnt(14)
	v_add_f64 v[9:10], v[9:10], v[23:24]
	s_waitcnt lgkmcnt(12)
	v_add_f64 v[29:30], v[11:12], v[29:30]
	;; [unrolled: 2-line block ×3, first 2 shown]
	v_xor_b32_e32 v31, 1, v51
	s_waitcnt lgkmcnt(8)
	v_add_f64 v[23:24], v[15:16], v[33:34]
	s_waitcnt lgkmcnt(6)
	v_add_f64 v[13:14], v[17:18], v[35:36]
	;; [unrolled: 2-line block ×3, first 2 shown]
	v_cmp_gt_i32_e32 vcc_lo, 32, v31
	s_waitcnt lgkmcnt(2)
	v_add_f64 v[15:16], v[21:22], v[39:40]
	s_waitcnt lgkmcnt(0)
	v_add_f64 v[19:20], v[27:28], v[41:42]
	v_cndmask_b32_e32 v31, v51, v31, vcc_lo
	v_cmp_eq_u32_e32 vcc_lo, 7, v0
	v_lshlrev_b32_e32 v36, 2, v31
	ds_bpermute_b32 v21, v36, v9
	ds_bpermute_b32 v22, v36, v10
	;; [unrolled: 1-line block ×16, first 2 shown]
	s_and_b32 exec_lo, exec_lo, vcc_lo
	s_cbranch_execz .LBB176_8
; %bb.38:
	s_waitcnt lgkmcnt(12)
	v_add_f64 v[29:30], v[29:30], v[41:42]
	s_waitcnt lgkmcnt(8)
	v_add_f64 v[23:24], v[23:24], v[39:40]
	;; [unrolled: 2-line block ×4, first 2 shown]
	v_add_f64 v[9:10], v[9:10], v[21:22]
	v_add_f64 v[11:12], v[11:12], v[27:28]
	;; [unrolled: 1-line block ×4, first 2 shown]
	v_cmp_eq_f64_e32 vcc_lo, 0, v[1:2]
	v_cmp_eq_f64_e64 s0, 0, v[3:4]
	s_load_dwordx2 s[2:3], s[4:5], 0x68
	v_mul_f64 v[13:14], v[29:30], -v[7:8]
	v_mul_f64 v[15:16], v[5:6], v[29:30]
	v_mul_f64 v[29:30], v[23:24], -v[7:8]
	v_mul_f64 v[23:24], v[5:6], v[23:24]
	;; [unrolled: 2-line block ×4, first 2 shown]
	s_and_b32 s0, vcc_lo, s0
	v_fma_f64 v[17:18], v[5:6], v[9:10], v[13:14]
	v_fma_f64 v[19:20], v[7:8], v[9:10], v[15:16]
	v_fma_f64 v[13:14], v[5:6], v[11:12], v[29:30]
	v_fma_f64 v[15:16], v[7:8], v[11:12], v[23:24]
	v_fma_f64 v[9:10], v[5:6], v[21:22], v[31:32]
	v_fma_f64 v[11:12], v[7:8], v[21:22], v[33:34]
	v_fma_f64 v[5:6], v[5:6], v[27:28], v[35:36]
	v_fma_f64 v[7:8], v[7:8], v[27:28], v[37:38]
	v_lshlrev_b64 v[21:22], 6, v[25:26]
	s_and_saveexec_b32 s1, s0
	s_xor_b32 s0, exec_lo, s1
	s_cbranch_execz .LBB176_40
; %bb.39:
	s_waitcnt lgkmcnt(0)
	v_add_co_u32 v0, vcc_lo, s2, v21
	v_add_co_ci_u32_e64 v1, null, s3, v22, vcc_lo
                                        ; implicit-def: $vgpr21_vgpr22
	global_store_dwordx4 v[0:1], v[17:20], off
	global_store_dwordx4 v[0:1], v[13:16], off offset:16
	global_store_dwordx4 v[0:1], v[9:12], off offset:32
	;; [unrolled: 1-line block ×3, first 2 shown]
                                        ; implicit-def: $vgpr3_vgpr4
                                        ; implicit-def: $vgpr17_vgpr18
                                        ; implicit-def: $vgpr13_vgpr14
                                        ; implicit-def: $vgpr9_vgpr10
                                        ; implicit-def: $vgpr5_vgpr6
.LBB176_40:
	s_andn2_saveexec_b32 s0, s0
	s_cbranch_execz .LBB176_8
; %bb.41:
	s_waitcnt lgkmcnt(0)
	v_add_co_u32 v37, vcc_lo, s2, v21
	v_add_co_ci_u32_e64 v38, null, s3, v22, vcc_lo
	s_clause 0x3
	global_load_dwordx4 v[21:24], v[37:38], off
	global_load_dwordx4 v[25:28], v[37:38], off offset:16
	global_load_dwordx4 v[29:32], v[37:38], off offset:32
	;; [unrolled: 1-line block ×3, first 2 shown]
	s_waitcnt vmcnt(3)
	v_fma_f64 v[17:18], v[1:2], v[21:22], v[17:18]
	v_fma_f64 v[19:20], v[3:4], v[21:22], v[19:20]
	s_waitcnt vmcnt(2)
	v_fma_f64 v[13:14], v[1:2], v[25:26], v[13:14]
	v_fma_f64 v[15:16], v[3:4], v[25:26], v[15:16]
	;; [unrolled: 3-line block ×4, first 2 shown]
	v_fma_f64 v[5:6], -v[3:4], v[23:24], v[17:18]
	v_fma_f64 v[7:8], v[1:2], v[23:24], v[19:20]
	v_fma_f64 v[9:10], -v[3:4], v[27:28], v[13:14]
	v_fma_f64 v[11:12], v[1:2], v[27:28], v[15:16]
	;; [unrolled: 2-line block ×4, first 2 shown]
	global_store_dwordx4 v[37:38], v[5:8], off
	global_store_dwordx4 v[37:38], v[9:12], off offset:16
	global_store_dwordx4 v[37:38], v[13:16], off offset:32
	;; [unrolled: 1-line block ×3, first 2 shown]
	s_endpgm
	.section	.rodata,"a",@progbits
	.p2align	6, 0x0
	.amdhsa_kernel _ZN9rocsparseL18bsrxmvn_4x4_kernelILj128ELj8E21rocsparse_complex_numIdEllS1_IfES2_S2_EEvT3_20rocsparse_direction_NS_24const_host_device_scalarIT1_EES4_PKS4_PKT2_SD_SA_PKT4_PKT5_S8_PT6_21rocsparse_index_base_b
		.amdhsa_group_segment_fixed_size 0
		.amdhsa_private_segment_fixed_size 0
		.amdhsa_kernarg_size 120
		.amdhsa_user_sgpr_count 6
		.amdhsa_user_sgpr_private_segment_buffer 1
		.amdhsa_user_sgpr_dispatch_ptr 0
		.amdhsa_user_sgpr_queue_ptr 0
		.amdhsa_user_sgpr_kernarg_segment_ptr 1
		.amdhsa_user_sgpr_dispatch_id 0
		.amdhsa_user_sgpr_flat_scratch_init 0
		.amdhsa_user_sgpr_private_segment_size 0
		.amdhsa_wavefront_size32 1
		.amdhsa_uses_dynamic_stack 0
		.amdhsa_system_sgpr_private_segment_wavefront_offset 0
		.amdhsa_system_sgpr_workgroup_id_x 1
		.amdhsa_system_sgpr_workgroup_id_y 0
		.amdhsa_system_sgpr_workgroup_id_z 0
		.amdhsa_system_sgpr_workgroup_info 0
		.amdhsa_system_vgpr_workitem_id 0
		.amdhsa_next_free_vgpr 211
		.amdhsa_next_free_sgpr 16
		.amdhsa_reserve_vcc 1
		.amdhsa_reserve_flat_scratch 0
		.amdhsa_float_round_mode_32 0
		.amdhsa_float_round_mode_16_64 0
		.amdhsa_float_denorm_mode_32 3
		.amdhsa_float_denorm_mode_16_64 3
		.amdhsa_dx10_clamp 1
		.amdhsa_ieee_mode 1
		.amdhsa_fp16_overflow 0
		.amdhsa_workgroup_processor_mode 1
		.amdhsa_memory_ordered 1
		.amdhsa_forward_progress 1
		.amdhsa_shared_vgpr_count 0
		.amdhsa_exception_fp_ieee_invalid_op 0
		.amdhsa_exception_fp_denorm_src 0
		.amdhsa_exception_fp_ieee_div_zero 0
		.amdhsa_exception_fp_ieee_overflow 0
		.amdhsa_exception_fp_ieee_underflow 0
		.amdhsa_exception_fp_ieee_inexact 0
		.amdhsa_exception_int_div_zero 0
	.end_amdhsa_kernel
	.section	.text._ZN9rocsparseL18bsrxmvn_4x4_kernelILj128ELj8E21rocsparse_complex_numIdEllS1_IfES2_S2_EEvT3_20rocsparse_direction_NS_24const_host_device_scalarIT1_EES4_PKS4_PKT2_SD_SA_PKT4_PKT5_S8_PT6_21rocsparse_index_base_b,"axG",@progbits,_ZN9rocsparseL18bsrxmvn_4x4_kernelILj128ELj8E21rocsparse_complex_numIdEllS1_IfES2_S2_EEvT3_20rocsparse_direction_NS_24const_host_device_scalarIT1_EES4_PKS4_PKT2_SD_SA_PKT4_PKT5_S8_PT6_21rocsparse_index_base_b,comdat
.Lfunc_end176:
	.size	_ZN9rocsparseL18bsrxmvn_4x4_kernelILj128ELj8E21rocsparse_complex_numIdEllS1_IfES2_S2_EEvT3_20rocsparse_direction_NS_24const_host_device_scalarIT1_EES4_PKS4_PKT2_SD_SA_PKT4_PKT5_S8_PT6_21rocsparse_index_base_b, .Lfunc_end176-_ZN9rocsparseL18bsrxmvn_4x4_kernelILj128ELj8E21rocsparse_complex_numIdEllS1_IfES2_S2_EEvT3_20rocsparse_direction_NS_24const_host_device_scalarIT1_EES4_PKS4_PKT2_SD_SA_PKT4_PKT5_S8_PT6_21rocsparse_index_base_b
                                        ; -- End function
	.set _ZN9rocsparseL18bsrxmvn_4x4_kernelILj128ELj8E21rocsparse_complex_numIdEllS1_IfES2_S2_EEvT3_20rocsparse_direction_NS_24const_host_device_scalarIT1_EES4_PKS4_PKT2_SD_SA_PKT4_PKT5_S8_PT6_21rocsparse_index_base_b.num_vgpr, 211
	.set _ZN9rocsparseL18bsrxmvn_4x4_kernelILj128ELj8E21rocsparse_complex_numIdEllS1_IfES2_S2_EEvT3_20rocsparse_direction_NS_24const_host_device_scalarIT1_EES4_PKS4_PKT2_SD_SA_PKT4_PKT5_S8_PT6_21rocsparse_index_base_b.num_agpr, 0
	.set _ZN9rocsparseL18bsrxmvn_4x4_kernelILj128ELj8E21rocsparse_complex_numIdEllS1_IfES2_S2_EEvT3_20rocsparse_direction_NS_24const_host_device_scalarIT1_EES4_PKS4_PKT2_SD_SA_PKT4_PKT5_S8_PT6_21rocsparse_index_base_b.numbered_sgpr, 16
	.set _ZN9rocsparseL18bsrxmvn_4x4_kernelILj128ELj8E21rocsparse_complex_numIdEllS1_IfES2_S2_EEvT3_20rocsparse_direction_NS_24const_host_device_scalarIT1_EES4_PKS4_PKT2_SD_SA_PKT4_PKT5_S8_PT6_21rocsparse_index_base_b.num_named_barrier, 0
	.set _ZN9rocsparseL18bsrxmvn_4x4_kernelILj128ELj8E21rocsparse_complex_numIdEllS1_IfES2_S2_EEvT3_20rocsparse_direction_NS_24const_host_device_scalarIT1_EES4_PKS4_PKT2_SD_SA_PKT4_PKT5_S8_PT6_21rocsparse_index_base_b.private_seg_size, 0
	.set _ZN9rocsparseL18bsrxmvn_4x4_kernelILj128ELj8E21rocsparse_complex_numIdEllS1_IfES2_S2_EEvT3_20rocsparse_direction_NS_24const_host_device_scalarIT1_EES4_PKS4_PKT2_SD_SA_PKT4_PKT5_S8_PT6_21rocsparse_index_base_b.uses_vcc, 1
	.set _ZN9rocsparseL18bsrxmvn_4x4_kernelILj128ELj8E21rocsparse_complex_numIdEllS1_IfES2_S2_EEvT3_20rocsparse_direction_NS_24const_host_device_scalarIT1_EES4_PKS4_PKT2_SD_SA_PKT4_PKT5_S8_PT6_21rocsparse_index_base_b.uses_flat_scratch, 0
	.set _ZN9rocsparseL18bsrxmvn_4x4_kernelILj128ELj8E21rocsparse_complex_numIdEllS1_IfES2_S2_EEvT3_20rocsparse_direction_NS_24const_host_device_scalarIT1_EES4_PKS4_PKT2_SD_SA_PKT4_PKT5_S8_PT6_21rocsparse_index_base_b.has_dyn_sized_stack, 0
	.set _ZN9rocsparseL18bsrxmvn_4x4_kernelILj128ELj8E21rocsparse_complex_numIdEllS1_IfES2_S2_EEvT3_20rocsparse_direction_NS_24const_host_device_scalarIT1_EES4_PKS4_PKT2_SD_SA_PKT4_PKT5_S8_PT6_21rocsparse_index_base_b.has_recursion, 0
	.set _ZN9rocsparseL18bsrxmvn_4x4_kernelILj128ELj8E21rocsparse_complex_numIdEllS1_IfES2_S2_EEvT3_20rocsparse_direction_NS_24const_host_device_scalarIT1_EES4_PKS4_PKT2_SD_SA_PKT4_PKT5_S8_PT6_21rocsparse_index_base_b.has_indirect_call, 0
	.section	.AMDGPU.csdata,"",@progbits
; Kernel info:
; codeLenInByte = 11372
; TotalNumSgprs: 18
; NumVgprs: 211
; ScratchSize: 0
; MemoryBound: 0
; FloatMode: 240
; IeeeMode: 1
; LDSByteSize: 0 bytes/workgroup (compile time only)
; SGPRBlocks: 0
; VGPRBlocks: 26
; NumSGPRsForWavesPerEU: 18
; NumVGPRsForWavesPerEU: 211
; Occupancy: 4
; WaveLimiterHint : 1
; COMPUTE_PGM_RSRC2:SCRATCH_EN: 0
; COMPUTE_PGM_RSRC2:USER_SGPR: 6
; COMPUTE_PGM_RSRC2:TRAP_HANDLER: 0
; COMPUTE_PGM_RSRC2:TGID_X_EN: 1
; COMPUTE_PGM_RSRC2:TGID_Y_EN: 0
; COMPUTE_PGM_RSRC2:TGID_Z_EN: 0
; COMPUTE_PGM_RSRC2:TIDIG_COMP_CNT: 0
	.section	.text._ZN9rocsparseL18bsrxmvn_4x4_kernelILj128ELj16E21rocsparse_complex_numIdEllS1_IfES2_S2_EEvT3_20rocsparse_direction_NS_24const_host_device_scalarIT1_EES4_PKS4_PKT2_SD_SA_PKT4_PKT5_S8_PT6_21rocsparse_index_base_b,"axG",@progbits,_ZN9rocsparseL18bsrxmvn_4x4_kernelILj128ELj16E21rocsparse_complex_numIdEllS1_IfES2_S2_EEvT3_20rocsparse_direction_NS_24const_host_device_scalarIT1_EES4_PKS4_PKT2_SD_SA_PKT4_PKT5_S8_PT6_21rocsparse_index_base_b,comdat
	.globl	_ZN9rocsparseL18bsrxmvn_4x4_kernelILj128ELj16E21rocsparse_complex_numIdEllS1_IfES2_S2_EEvT3_20rocsparse_direction_NS_24const_host_device_scalarIT1_EES4_PKS4_PKT2_SD_SA_PKT4_PKT5_S8_PT6_21rocsparse_index_base_b ; -- Begin function _ZN9rocsparseL18bsrxmvn_4x4_kernelILj128ELj16E21rocsparse_complex_numIdEllS1_IfES2_S2_EEvT3_20rocsparse_direction_NS_24const_host_device_scalarIT1_EES4_PKS4_PKT2_SD_SA_PKT4_PKT5_S8_PT6_21rocsparse_index_base_b
	.p2align	8
	.type	_ZN9rocsparseL18bsrxmvn_4x4_kernelILj128ELj16E21rocsparse_complex_numIdEllS1_IfES2_S2_EEvT3_20rocsparse_direction_NS_24const_host_device_scalarIT1_EES4_PKS4_PKT2_SD_SA_PKT4_PKT5_S8_PT6_21rocsparse_index_base_b,@function
_ZN9rocsparseL18bsrxmvn_4x4_kernelILj128ELj16E21rocsparse_complex_numIdEllS1_IfES2_S2_EEvT3_20rocsparse_direction_NS_24const_host_device_scalarIT1_EES4_PKS4_PKT2_SD_SA_PKT4_PKT5_S8_PT6_21rocsparse_index_base_b: ; @_ZN9rocsparseL18bsrxmvn_4x4_kernelILj128ELj16E21rocsparse_complex_numIdEllS1_IfES2_S2_EEvT3_20rocsparse_direction_NS_24const_host_device_scalarIT1_EES4_PKS4_PKT2_SD_SA_PKT4_PKT5_S8_PT6_21rocsparse_index_base_b
; %bb.0:
	s_clause 0x1
	s_load_dwordx2 s[2:3], s[4:5], 0x70
	s_load_dwordx2 s[0:1], s[4:5], 0x10
	s_add_u32 s7, s4, 16
	s_addc_u32 s10, s5, 0
	s_add_u32 s11, s4, 0x58
	s_addc_u32 s12, s5, 0
	s_load_dwordx2 s[8:9], s[4:5], 0x58
	s_waitcnt lgkmcnt(0)
	s_bitcmp1_b32 s3, 0
	s_cselect_b32 s0, s7, s0
	s_cselect_b32 s1, s10, s1
	v_mov_b32_e32 v1, s0
	v_mov_b32_e32 v2, s1
	s_cselect_b32 s0, s11, s8
	s_cselect_b32 s1, s12, s9
	flat_load_dwordx4 v[5:8], v[1:2]
	v_mov_b32_e32 v1, s0
	v_mov_b32_e32 v2, s1
	flat_load_dwordx4 v[1:4], v[1:2]
	s_waitcnt vmcnt(1) lgkmcnt(1)
	v_cmp_eq_f64_e32 vcc_lo, 0, v[5:6]
	v_cmp_eq_f64_e64 s0, 0, v[7:8]
	s_and_b32 s3, vcc_lo, s0
	s_mov_b32 s0, -1
	s_and_saveexec_b32 s1, s3
	s_cbranch_execz .LBB177_2
; %bb.1:
	s_waitcnt vmcnt(0) lgkmcnt(0)
	v_cmp_neq_f64_e32 vcc_lo, 1.0, v[1:2]
	v_cmp_neq_f64_e64 s0, 0, v[3:4]
	s_or_b32 s0, vcc_lo, s0
	s_orn2_b32 s0, s0, exec_lo
.LBB177_2:
	s_or_b32 exec_lo, exec_lo, s1
	s_and_saveexec_b32 s1, s0
	s_cbranch_execz .LBB177_8
; %bb.3:
	s_load_dwordx2 s[0:1], s[4:5], 0x28
	v_lshrrev_b32_e32 v9, 4, v0
	v_mov_b32_e32 v10, 0
	v_lshl_or_b32 v9, s6, 3, v9
	s_waitcnt lgkmcnt(0)
	s_cmp_lg_u64 s[0:1], 0
	s_cbranch_scc0 .LBB177_9
; %bb.4:
	s_load_dwordx2 s[6:7], s[4:5], 0x20
                                        ; implicit-def: $vgpr25_vgpr26
                                        ; implicit-def: $vgpr27_vgpr28
	s_waitcnt lgkmcnt(0)
	v_cmp_gt_i64_e32 vcc_lo, s[6:7], v[9:10]
	s_mov_b32 s7, 0
	s_mov_b32 s6, 0
	s_and_saveexec_b32 s3, vcc_lo
	s_xor_b32 s8, exec_lo, s3
	s_cbranch_execz .LBB177_6
; %bb.5:
	v_lshlrev_b64 v[11:12], 3, v[9:10]
	s_mov_b32 s3, 0
	s_mov_b32 s6, exec_lo
	v_mov_b32_e32 v28, s3
	v_mov_b32_e32 v27, s2
	v_add_co_u32 v11, vcc_lo, s0, v11
	v_add_co_ci_u32_e64 v12, null, s1, v12, vcc_lo
	global_load_dwordx2 v[11:12], v[11:12], off
	s_waitcnt vmcnt(0)
	v_sub_co_u32 v25, vcc_lo, v11, s2
	v_subrev_co_ci_u32_e64 v26, null, 0, v12, vcc_lo
.LBB177_6:
	s_or_b32 exec_lo, exec_lo, s8
	s_and_b32 vcc_lo, exec_lo, s7
	s_cbranch_vccnz .LBB177_10
.LBB177_7:
	s_and_b32 exec_lo, exec_lo, s6
	s_cbranch_execnz .LBB177_13
.LBB177_8:
	s_endpgm
.LBB177_9:
	s_mov_b32 s6, 0
                                        ; implicit-def: $vgpr25_vgpr26
                                        ; implicit-def: $vgpr27_vgpr28
	s_cbranch_execz .LBB177_7
.LBB177_10:
	s_load_dwordx2 s[0:1], s[4:5], 0x0
	s_waitcnt lgkmcnt(0)
	v_cmp_gt_i64_e32 vcc_lo, s[0:1], v[9:10]
	s_and_saveexec_b32 s0, vcc_lo
; %bb.11:
	s_mov_b32 s3, 0
	s_or_b32 s6, s6, exec_lo
; %bb.12:
	s_or_b32 exec_lo, exec_lo, s0
	v_mov_b32_e32 v28, s3
	v_mov_b32_e32 v26, v10
	;; [unrolled: 1-line block ×4, first 2 shown]
	s_and_b32 exec_lo, exec_lo, s6
	s_cbranch_execz .LBB177_8
.LBB177_13:
	s_load_dwordx8 s[8:15], s[4:5], 0x30
	v_lshlrev_b64 v[9:10], 3, v[25:26]
	v_and_b32_e32 v0, 15, v0
	s_clause 0x1
	s_load_dword s1, s[4:5], 0x8
	s_load_dwordx2 s[2:3], s[4:5], 0x50
	s_waitcnt lgkmcnt(0)
	v_add_co_u32 v11, vcc_lo, s8, v9
	v_add_co_ci_u32_e64 v12, null, s9, v10, vcc_lo
	v_add_co_u32 v9, vcc_lo, s10, v9
	v_add_co_ci_u32_e64 v10, null, s11, v10, vcc_lo
	;; [unrolled: 2-line block ×3, first 2 shown]
	global_load_dwordx2 v[51:52], v[11:12], off
	s_cmp_eq_u64 s[10:11], 0
	s_cselect_b32 vcc_lo, -1, 0
	s_cmp_eq_u32 s1, 1
	v_cndmask_b32_e32 v10, v10, v14, vcc_lo
	v_cndmask_b32_e32 v9, v9, v13, vcc_lo
	global_load_dwordx2 v[9:10], v[9:10], off
	s_waitcnt vmcnt(1)
	v_sub_co_u32 v11, vcc_lo, v51, v27
	v_sub_co_ci_u32_e64 v12, null, v52, v28, vcc_lo
	v_add_co_u32 v29, vcc_lo, v11, v0
	v_add_co_ci_u32_e64 v30, null, 0, v12, vcc_lo
	s_waitcnt vmcnt(0)
	v_sub_co_u32 v31, vcc_lo, v9, v27
	v_sub_co_ci_u32_e64 v32, null, v10, v28, vcc_lo
	v_lshlrev_b64 v[9:10], 7, v[29:30]
	v_cmp_lt_i64_e64 s0, v[29:30], v[31:32]
	v_add_co_u32 v33, vcc_lo, s14, v9
	v_add_co_ci_u32_e64 v34, null, s15, v10, vcc_lo
	s_cbranch_scc1 .LBB177_25
; %bb.14:
	v_mov_b32_e32 v35, 0
	v_mov_b32_e32 v41, 0
	;; [unrolled: 1-line block ×16, first 2 shown]
	s_and_saveexec_b32 s6, s0
	s_cbranch_execz .LBB177_24
; %bb.15:
	v_or_b32_e32 v9, 16, v0
	v_not_b32_e32 v13, v51
	v_not_b32_e32 v11, v52
	v_mov_b32_e32 v37, 0
	v_mov_b32_e32 v43, 0
	v_sub_co_u32 v9, vcc_lo, v9, v27
	v_sub_co_ci_u32_e64 v10, null, 0, v28, vcc_lo
	v_mov_b32_e32 v47, 0
	v_add_co_u32 v9, vcc_lo, v9, v51
	v_add_co_ci_u32_e64 v10, null, v10, v52, vcc_lo
	v_sub_co_u32 v14, vcc_lo, v27, v0
	v_subrev_co_ci_u32_e64 v15, null, 0, v28, vcc_lo
	v_cmp_gt_i64_e32 vcc_lo, v[9:10], v[31:32]
	v_add_co_u32 v13, s1, v14, v13
	v_add_co_ci_u32_e64 v11, null, v15, v11, s1
	v_mov_b32_e32 v45, 0
	v_cndmask_b32_e32 v9, v31, v9, vcc_lo
	v_cndmask_b32_e32 v10, v32, v10, vcc_lo
	v_mov_b32_e32 v49, 0
	v_mov_b32_e32 v39, 0
	;; [unrolled: 1-line block ×3, first 2 shown]
	v_add_co_u32 v9, vcc_lo, v13, v9
	v_mov_b32_e32 v35, 0
	v_mov_b32_e32 v56, v34
	;; [unrolled: 1-line block ×8, first 2 shown]
	v_add_co_ci_u32_e64 v10, null, v11, v10, vcc_lo
	v_and_b32_e32 v11, 48, v9
	v_mov_b32_e32 v50, 0
	v_mov_b32_e32 v40, 0
	;; [unrolled: 1-line block ×6, first 2 shown]
	s_mov_b32 s7, exec_lo
	v_cmpx_ne_u64_e32 48, v[11:12]
	s_cbranch_execz .LBB177_19
; %bb.16:
	v_lshrrev_b32_e32 v13, 4, v9
	v_lshlrev_b64 v[11:12], 3, v[29:30]
	v_mov_b32_e32 v35, 0
	v_mov_b32_e32 v54, v30
	;; [unrolled: 1-line block ×3, first 2 shown]
	v_add_nc_u32_e32 v13, 1, v13
	v_mov_b32_e32 v39, 0
	v_add_co_u32 v11, vcc_lo, s12, v11
	v_mov_b32_e32 v49, 0
	v_and_b32_e32 v13, 3, v13
	v_mov_b32_e32 v45, 0
	v_mov_b32_e32 v47, 0
	;; [unrolled: 1-line block ×4, first 2 shown]
	v_sub_co_u32 v13, s1, 0, v13
	v_mov_b32_e32 v56, v34
	v_mov_b32_e32 v36, 0
	;; [unrolled: 1-line block ×5, first 2 shown]
	v_add_co_ci_u32_e64 v12, null, s13, v12, vcc_lo
	v_sub_co_ci_u32_e64 v14, null, 0, 0, s1
	v_mov_b32_e32 v50, 0
	v_mov_b32_e32 v46, 0
	;; [unrolled: 1-line block ×6, first 2 shown]
	s_mov_b32 s8, 0
.LBB177_17:                             ; =>This Inner Loop Header: Depth=1
	global_load_dwordx2 v[23:24], v[11:12], off
	s_clause 0x4
	global_load_dwordx4 v[15:18], v[55:56], off
	global_load_dwordx4 v[19:22], v[55:56], off offset:48
	global_load_dwordx4 v[57:60], v[55:56], off offset:32
	;; [unrolled: 1-line block ×4, first 2 shown]
	v_add_co_u32 v11, s1, 0x80, v11
	v_add_co_ci_u32_e64 v12, null, 0, v12, s1
	s_waitcnt vmcnt(5)
	v_sub_co_u32 v23, vcc_lo, v23, v27
	v_sub_co_ci_u32_e64 v24, null, v24, v28, vcc_lo
	s_waitcnt vmcnt(2)
	v_cvt_f64_f32_e32 v[97:98], v57
	v_cvt_f64_f32_e32 v[57:58], v58
	s_waitcnt vmcnt(0)
	v_cvt_f64_f32_e32 v[99:100], v65
	v_lshlrev_b64 v[23:24], 6, v[23:24]
	v_cvt_f64_f32_e32 v[65:66], v66
	v_cvt_f64_f32_e32 v[101:102], v61
	;; [unrolled: 1-line block ×5, first 2 shown]
	v_add_co_u32 v23, vcc_lo, s2, v23
	v_add_co_ci_u32_e64 v24, null, s3, v24, vcc_lo
	v_cvt_f64_f32_e32 v[105:106], v67
	v_cvt_f64_f32_e32 v[67:68], v68
	v_cvt_f64_f32_e32 v[107:108], v63
	s_clause 0x1
	global_load_dwordx4 v[69:72], v[23:24], off
	global_load_dwordx4 v[73:76], v[23:24], off offset:16
	s_clause 0x2
	global_load_dwordx4 v[77:80], v[55:56], off offset:16
	global_load_dwordx4 v[81:84], v[55:56], off offset:80
	;; [unrolled: 1-line block ×3, first 2 shown]
	s_clause 0x1
	global_load_dwordx4 v[89:92], v[23:24], off offset:32
	global_load_dwordx4 v[93:96], v[23:24], off offset:48
	v_cvt_f64_f32_e32 v[23:24], v15
	v_cvt_f64_f32_e32 v[15:16], v16
	;; [unrolled: 1-line block ×3, first 2 shown]
	v_add_co_u32 v55, vcc_lo, 0x800, v55
	v_add_co_ci_u32_e64 v56, null, 0, v56, vcc_lo
	v_add_co_u32 v13, vcc_lo, v13, 1
	v_add_co_ci_u32_e64 v14, null, 0, v14, vcc_lo
	;; [unrolled: 2-line block ×3, first 2 shown]
	v_cmp_eq_u64_e32 vcc_lo, 0, v[13:14]
	s_or_b32 s8, vcc_lo, s8
	s_waitcnt vmcnt(6)
	v_fma_f64 v[41:42], v[23:24], v[69:70], v[41:42]
	v_fma_f64 v[35:36], v[15:16], v[69:70], v[35:36]
	;; [unrolled: 1-line block ×8, first 2 shown]
	v_cvt_f64_f32_e32 v[69:70], v17
	v_cvt_f64_f32_e32 v[17:18], v18
	v_fma_f64 v[15:16], -v[15:16], v[71:72], v[41:42]
	v_fma_f64 v[23:24], v[23:24], v[71:72], v[35:36]
	v_fma_f64 v[35:36], -v[57:58], v[71:72], v[49:50]
	v_fma_f64 v[39:40], v[97:98], v[71:72], v[39:40]
	;; [unrolled: 2-line block ×4, first 2 shown]
	s_waitcnt vmcnt(4)
	v_cvt_f64_f32_e32 v[47:48], v77
	v_cvt_f64_f32_e32 v[49:50], v78
	;; [unrolled: 1-line block ×4, first 2 shown]
	s_waitcnt vmcnt(3)
	v_cvt_f64_f32_e32 v[61:62], v81
	v_cvt_f64_f32_e32 v[65:66], v82
	s_waitcnt vmcnt(2)
	v_cvt_f64_f32_e32 v[71:72], v85
	v_cvt_f64_f32_e32 v[77:78], v88
	v_fma_f64 v[15:16], v[69:70], v[73:74], v[15:16]
	v_fma_f64 v[23:24], v[17:18], v[73:74], v[23:24]
	;; [unrolled: 1-line block ×8, first 2 shown]
	v_cvt_f64_f32_e32 v[73:74], v86
	v_fma_f64 v[15:16], -v[17:18], v[75:76], v[15:16]
	v_fma_f64 v[17:18], v[69:70], v[75:76], v[23:24]
	v_fma_f64 v[23:24], -v[59:60], v[75:76], v[35:36]
	v_fma_f64 v[35:36], v[103:104], v[75:76], v[39:40]
	;; [unrolled: 2-line block ×4, first 2 shown]
	v_cvt_f64_f32_e32 v[45:46], v79
	v_cvt_f64_f32_e32 v[59:60], v80
	v_cvt_f64_f32_e32 v[63:64], v21
	v_cvt_f64_f32_e32 v[21:22], v22
	v_cvt_f64_f32_e32 v[67:68], v83
	v_cvt_f64_f32_e32 v[69:70], v84
	v_cvt_f64_f32_e32 v[75:76], v87
	s_waitcnt vmcnt(1)
	v_fma_f64 v[15:16], v[47:48], v[89:90], v[15:16]
	v_fma_f64 v[17:18], v[49:50], v[89:90], v[17:18]
	;; [unrolled: 1-line block ×8, first 2 shown]
	v_fma_f64 v[15:16], -v[49:50], v[91:92], v[15:16]
	v_fma_f64 v[17:18], v[47:48], v[91:92], v[17:18]
	v_fma_f64 v[19:20], -v[19:20], v[91:92], v[23:24]
	v_fma_f64 v[23:24], v[57:58], v[91:92], v[35:36]
	;; [unrolled: 2-line block ×4, first 2 shown]
	s_waitcnt vmcnt(0)
	v_fma_f64 v[15:16], v[45:46], v[93:94], v[15:16]
	v_fma_f64 v[17:18], v[59:60], v[93:94], v[17:18]
	;; [unrolled: 1-line block ×8, first 2 shown]
	v_fma_f64 v[41:42], -v[59:60], v[95:96], v[15:16]
	v_fma_f64 v[35:36], v[45:46], v[95:96], v[17:18]
	v_fma_f64 v[49:50], -v[21:22], v[95:96], v[19:20]
	v_fma_f64 v[39:40], v[63:64], v[95:96], v[23:24]
	;; [unrolled: 2-line block ×4, first 2 shown]
	s_andn2_b32 exec_lo, exec_lo, s8
	s_cbranch_execnz .LBB177_17
; %bb.18:
	s_or_b32 exec_lo, exec_lo, s8
.LBB177_19:
	s_or_b32 exec_lo, exec_lo, s7
	s_mov_b32 s7, exec_lo
	v_cmpx_lt_u64_e32 47, v[9:10]
	s_cbranch_execz .LBB177_23
; %bb.20:
	v_lshlrev_b64 v[9:10], 3, v[53:54]
	s_mov_b32 s8, 0
	v_add_co_u32 v9, vcc_lo, s12, v9
	v_add_co_ci_u32_e64 v10, null, s13, v10, vcc_lo
	v_add_co_u32 v57, vcc_lo, 0x100, v9
	v_add_co_ci_u32_e64 v58, null, 0, v10, vcc_lo
.LBB177_21:                             ; =>This Inner Loop Header: Depth=1
	s_clause 0x1
	global_load_dwordx2 v[63:64], v[57:58], off offset:-256
	global_load_dwordx2 v[111:112], v[57:58], off offset:-128
	s_clause 0x3
	global_load_dwordx4 v[21:24], v[55:56], off
	global_load_dwordx4 v[17:20], v[55:56], off offset:32
	global_load_dwordx4 v[13:16], v[55:56], off offset:64
	;; [unrolled: 1-line block ×3, first 2 shown]
	s_clause 0x1
	global_load_dwordx2 v[59:60], v[57:58], off
	global_load_dwordx2 v[61:62], v[57:58], off offset:128
	v_add_co_u32 v139, s1, v55, 0x1000
	v_add_co_ci_u32_e64 v140, null, 0, v56, s1
	s_waitcnt vmcnt(7)
	v_sub_co_u32 v63, vcc_lo, v63, v27
	v_sub_co_ci_u32_e64 v64, null, v64, v28, vcc_lo
	s_waitcnt vmcnt(5)
	v_cvt_f64_f32_e32 v[169:170], v21
	v_cvt_f64_f32_e32 v[21:22], v22
	;; [unrolled: 1-line block ×3, first 2 shown]
	v_lshlrev_b64 v[63:64], 6, v[63:64]
	v_cvt_f64_f32_e32 v[173:174], v24
	s_waitcnt vmcnt(4)
	v_cvt_f64_f32_e32 v[23:24], v17
	v_cvt_f64_f32_e32 v[175:176], v18
	s_waitcnt vmcnt(3)
	v_cvt_f64_f32_e32 v[179:180], v13
	v_cvt_f64_f32_e32 v[13:14], v14
	v_add_co_u32 v91, vcc_lo, s2, v63
	v_add_co_ci_u32_e64 v92, null, s3, v64, vcc_lo
	v_add_co_u32 v131, vcc_lo, 0x800, v55
	v_add_co_ci_u32_e64 v132, null, 0, v56, vcc_lo
	s_clause 0x1
	global_load_dwordx4 v[63:66], v[91:92], off
	global_load_dwordx4 v[67:70], v[91:92], off offset:16
	s_clause 0x3
	global_load_dwordx4 v[71:74], v[55:56], off offset:16
	global_load_dwordx4 v[75:78], v[55:56], off offset:48
	;; [unrolled: 1-line block ×4, first 2 shown]
	s_clause 0x1
	global_load_dwordx4 v[87:90], v[91:92], off offset:32
	global_load_dwordx4 v[91:94], v[91:92], off offset:48
	s_clause 0x3
	global_load_dwordx4 v[95:98], v[139:140], off offset:-2048
	global_load_dwordx4 v[99:102], v[131:132], off offset:32
	global_load_dwordx4 v[103:106], v[131:132], off offset:64
	;; [unrolled: 1-line block ×3, first 2 shown]
	v_sub_co_u32 v111, vcc_lo, v111, v27
	v_sub_co_ci_u32_e64 v112, null, v112, v28, vcc_lo
	s_waitcnt vmcnt(14)
	v_cvt_f64_f32_e32 v[181:182], v9
	v_cvt_f64_f32_e32 v[9:10], v10
	;; [unrolled: 1-line block ×3, first 2 shown]
	v_lshlrev_b64 v[111:112], 6, v[111:112]
	v_cvt_f64_f32_e32 v[183:184], v20
	v_cvt_f64_f32_e32 v[187:188], v12
	;; [unrolled: 1-line block ×3, first 2 shown]
	v_add_co_u32 v163, vcc_lo, s2, v111
	v_add_co_ci_u32_e64 v164, null, s3, v112, vcc_lo
	s_clause 0x1
	global_load_dwordx4 v[111:114], v[163:164], off
	global_load_dwordx4 v[115:118], v[163:164], off offset:16
	s_clause 0x3
	global_load_dwordx4 v[119:122], v[131:132], off offset:16
	global_load_dwordx4 v[123:126], v[131:132], off offset:48
	;; [unrolled: 1-line block ×5, first 2 shown]
	v_add_co_u32 v165, vcc_lo, 0x1000, v55
	v_add_co_ci_u32_e64 v166, null, 0, v56, vcc_lo
	s_clause 0x5
	global_load_dwordx4 v[139:142], v[139:140], off
	global_load_dwordx4 v[143:146], v[165:166], off offset:32
	global_load_dwordx4 v[147:150], v[165:166], off offset:16
	global_load_dwordx4 v[151:154], v[165:166], off offset:96
	global_load_dwordx4 v[155:158], v[165:166], off offset:48
	global_load_dwordx4 v[159:162], v[165:166], off offset:64
	global_load_dwordx4 v[17:20], v[163:164], off offset:48
	v_add_co_u32 v167, vcc_lo, 0x1800, v55
	v_add_co_ci_u32_e64 v168, null, 0, v56, vcc_lo
	s_waitcnt vmcnt(27)
	v_sub_co_u32 v59, vcc_lo, v59, v27
	v_sub_co_ci_u32_e64 v60, null, v60, v28, vcc_lo
	v_cvt_f64_f32_e32 v[163:164], v11
	v_add_co_u32 v55, s1, 0x2000, v55
	v_lshlrev_b64 v[11:12], 6, v[59:60]
	v_add_co_ci_u32_e64 v56, null, 0, v56, s1
	v_add_co_u32 v59, vcc_lo, s2, v11
	v_add_co_ci_u32_e64 v60, null, s3, v12, vcc_lo
	s_waitcnt vmcnt(25)
	v_fma_f64 v[41:42], v[169:170], v[63:64], v[41:42]
	v_fma_f64 v[35:36], v[21:22], v[63:64], v[35:36]
	;; [unrolled: 1-line block ×8, first 2 shown]
	v_cvt_f64_f32_e32 v[63:64], v16
	s_waitcnt vmcnt(22)
	v_cvt_f64_f32_e32 v[189:190], v78
	s_waitcnt vmcnt(21)
	v_cvt_f64_f32_e32 v[191:192], v81
	v_cvt_f64_f32_e32 v[81:82], v82
	s_waitcnt vmcnt(20)
	v_cvt_f64_f32_e32 v[193:194], v85
	v_cvt_f64_f32_e32 v[85:86], v86
	v_fma_f64 v[15:16], -v[21:22], v[65:66], v[41:42]
	v_fma_f64 v[21:22], v[169:170], v[65:66], v[35:36]
	v_fma_f64 v[35:36], -v[175:176], v[65:66], v[49:50]
	v_fma_f64 v[23:24], v[23:24], v[65:66], v[39:40]
	;; [unrolled: 2-line block ×4, first 2 shown]
	global_load_dwordx4 v[9:12], v[59:60], off
	v_cvt_f64_f32_e32 v[169:170], v79
	v_cvt_f64_f32_e32 v[79:80], v80
	;; [unrolled: 1-line block ×4, first 2 shown]
	v_fma_f64 v[43:44], v[171:172], v[67:68], v[15:16]
	v_fma_f64 v[45:46], v[173:174], v[67:68], v[21:22]
	;; [unrolled: 1-line block ×8, first 2 shown]
	s_clause 0x1
	global_load_dwordx4 v[13:16], v[165:166], off offset:112
	global_load_dwordx4 v[21:24], v[165:166], off offset:80
	v_cvt_f64_f32_e32 v[67:68], v71
	v_cvt_f64_f32_e32 v[71:72], v72
	v_cvt_f64_f32_e32 v[165:166], v75
	v_cvt_f64_f32_e32 v[75:76], v76
	v_fma_f64 v[65:66], -v[173:174], v[69:70], v[43:44]
	v_fma_f64 v[171:172], v[171:172], v[69:70], v[45:46]
	v_fma_f64 v[173:174], -v[183:184], v[69:70], v[35:36]
	v_fma_f64 v[47:48], v[177:178], v[69:70], v[47:48]
	;; [unrolled: 2-line block ×4, first 2 shown]
	s_clause 0x1
	global_load_dwordx4 v[35:38], v[167:168], off
	global_load_dwordx4 v[39:42], v[167:168], off offset:48
	global_load_dwordx4 v[43:46], v[59:60], off offset:16
	v_cvt_f64_f32_e32 v[185:186], v74
	v_cvt_f64_f32_e32 v[187:188], v77
	s_waitcnt vmcnt(25)
	v_fma_f64 v[163:164], v[67:68], v[87:88], v[65:66]
	v_fma_f64 v[171:172], v[71:72], v[87:88], v[171:172]
	;; [unrolled: 1-line block ×8, first 2 shown]
	v_cvt_f64_f32_e32 v[87:88], v73
	s_clause 0x1
	global_load_dwordx4 v[47:50], v[167:168], off offset:32
	global_load_dwordx4 v[63:66], v[167:168], off offset:96
	v_fma_f64 v[163:164], -v[71:72], v[89:90], v[163:164]
	v_fma_f64 v[171:172], v[67:68], v[89:90], v[171:172]
	v_fma_f64 v[173:174], -v[75:76], v[89:90], v[173:174]
	v_fma_f64 v[165:166], v[165:166], v[89:90], v[179:180]
	;; [unrolled: 2-line block ×4, first 2 shown]
	s_clause 0x1
	global_load_dwordx4 v[67:70], v[167:168], off offset:80
	global_load_dwordx4 v[71:74], v[167:168], off offset:64
	;; [unrolled: 1-line block ×3, first 2 shown]
	s_waitcnt vmcnt(28)
	v_cvt_f64_f32_e32 v[175:176], v95
	v_cvt_f64_f32_e32 v[95:96], v96
	s_waitcnt vmcnt(27)
	v_cvt_f64_f32_e32 v[177:178], v99
	v_cvt_f64_f32_e32 v[99:100], v100
	;; [unrolled: 3-line block ×4, first 2 shown]
	v_fma_f64 v[163:164], v[87:88], v[91:92], v[163:164]
	v_fma_f64 v[171:172], v[185:186], v[91:92], v[171:172]
	;; [unrolled: 1-line block ×8, first 2 shown]
	v_sub_co_u32 v91, vcc_lo, v61, v27
	v_sub_co_ci_u32_e64 v92, null, v62, v28, vcc_lo
	global_load_dwordx4 v[59:62], v[59:60], off offset:48
	v_lshlrev_b64 v[91:92], 6, v[91:92]
	v_fma_f64 v[163:164], -v[185:186], v[93:94], v[163:164]
	v_fma_f64 v[87:88], v[87:88], v[93:94], v[171:172]
	v_fma_f64 v[171:172], -v[189:190], v[93:94], v[173:174]
	v_fma_f64 v[165:166], v[187:188], v[93:94], v[165:166]
	;; [unrolled: 2-line block ×4, first 2 shown]
	v_cvt_f64_f32_e32 v[89:90], v97
	v_cvt_f64_f32_e32 v[97:98], v98
	;; [unrolled: 1-line block ×4, first 2 shown]
	v_add_co_u32 v173, vcc_lo, s2, v91
	v_add_co_ci_u32_e64 v174, null, s3, v92, vcc_lo
	v_add_co_u32 v53, vcc_lo, v53, 64
	v_add_co_ci_u32_e64 v54, null, 0, v54, vcc_lo
	v_add_co_u32 v57, vcc_lo, 0x200, v57
	s_waitcnt vmcnt(25)
	v_fma_f64 v[93:94], v[175:176], v[111:112], v[163:164]
	v_fma_f64 v[87:88], v[95:96], v[111:112], v[87:88]
	v_fma_f64 v[163:164], v[177:178], v[111:112], v[171:172]
	v_fma_f64 v[165:166], v[99:100], v[111:112], v[165:166]
	v_fma_f64 v[79:80], v[179:180], v[111:112], v[79:80]
	v_fma_f64 v[81:82], v[103:104], v[111:112], v[81:82]
	v_fma_f64 v[83:84], v[181:182], v[111:112], v[83:84]
	v_fma_f64 v[85:86], v[107:108], v[111:112], v[85:86]
	v_cvt_f64_f32_e32 v[111:112], v101
	v_cvt_f64_f32_e32 v[101:102], v102
	;; [unrolled: 1-line block ×4, first 2 shown]
	v_add_co_ci_u32_e64 v58, null, 0, v58, vcc_lo
	v_cmp_ge_i64_e32 vcc_lo, v[53:54], v[31:32]
	s_or_b32 s8, vcc_lo, s8
	v_fma_f64 v[93:94], -v[95:96], v[113:114], v[93:94]
	v_fma_f64 v[87:88], v[175:176], v[113:114], v[87:88]
	v_fma_f64 v[95:96], -v[99:100], v[113:114], v[163:164]
	v_fma_f64 v[99:100], v[177:178], v[113:114], v[165:166]
	;; [unrolled: 2-line block ×4, first 2 shown]
	global_load_dwordx4 v[79:82], v[173:174], off
	s_waitcnt vmcnt(24)
	v_cvt_f64_f32_e32 v[107:108], v119
	v_cvt_f64_f32_e32 v[113:114], v120
	s_waitcnt vmcnt(23)
	v_cvt_f64_f32_e32 v[119:120], v124
	s_waitcnt vmcnt(22)
	v_cvt_f64_f32_e32 v[165:166], v129
	v_cvt_f64_f32_e32 v[129:130], v130
	v_fma_f64 v[91:92], v[89:90], v[115:116], v[93:94]
	v_fma_f64 v[87:88], v[97:98], v[115:116], v[87:88]
	v_fma_f64 v[93:94], v[111:112], v[115:116], v[95:96]
	v_fma_f64 v[95:96], v[101:102], v[115:116], v[99:100]
	v_fma_f64 v[99:100], v[169:170], v[115:116], v[103:104]
	v_fma_f64 v[103:104], v[105:106], v[115:116], v[163:164]
	v_fma_f64 v[83:84], v[171:172], v[115:116], v[83:84]
	v_fma_f64 v[85:86], v[109:110], v[115:116], v[85:86]
	v_cvt_f64_f32_e32 v[115:116], v123
	v_cvt_f64_f32_e32 v[123:124], v127
	;; [unrolled: 1-line block ×3, first 2 shown]
	s_waitcnt vmcnt(21)
	v_cvt_f64_f32_e32 v[163:164], v131
	v_cvt_f64_f32_e32 v[131:132], v132
	v_fma_f64 v[91:92], -v[97:98], v[117:118], v[91:92]
	v_fma_f64 v[97:98], v[89:90], v[117:118], v[87:88]
	v_fma_f64 v[93:94], -v[101:102], v[117:118], v[93:94]
	v_fma_f64 v[95:96], v[111:112], v[117:118], v[95:96]
	;; [unrolled: 2-line block ×4, first 2 shown]
	global_load_dwordx4 v[83:86], v[173:174], off offset:16
	global_load_dwordx4 v[87:90], v[167:168], off offset:16
	v_cvt_f64_f32_e32 v[117:118], v121
	v_cvt_f64_f32_e32 v[121:122], v122
	s_waitcnt vmcnt(22)
	v_fma_f64 v[109:110], v[107:108], v[135:136], v[91:92]
	v_fma_f64 v[97:98], v[113:114], v[135:136], v[97:98]
	;; [unrolled: 1-line block ×8, first 2 shown]
	global_load_dwordx4 v[91:94], v[167:168], off offset:112
	v_cvt_f64_f32_e32 v[135:136], v125
	v_cvt_f64_f32_e32 v[125:126], v126
	;; [unrolled: 1-line block ×4, first 2 shown]
	v_fma_f64 v[109:110], -v[113:114], v[137:138], v[109:110]
	v_fma_f64 v[107:108], v[107:108], v[137:138], v[97:98]
	v_fma_f64 v[111:112], -v[119:120], v[137:138], v[111:112]
	v_fma_f64 v[113:114], v[115:116], v[137:138], v[95:96]
	v_fma_f64 v[99:100], -v[127:128], v[137:138], v[99:100]
	v_fma_f64 v[101:102], v[123:124], v[137:138], v[101:102]
	v_fma_f64 v[103:104], -v[131:132], v[137:138], v[103:104]
	v_fma_f64 v[105:106], v[163:164], v[137:138], v[105:106]
	global_load_dwordx4 v[95:98], v[173:174], off offset:32
	s_waitcnt vmcnt(23)
	v_cvt_f64_f32_e32 v[115:116], v140
	s_waitcnt vmcnt(22)
	v_cvt_f64_f32_e32 v[119:120], v143
	v_cvt_f64_f32_e32 v[123:124], v144
	s_waitcnt vmcnt(18)
	v_cvt_f64_f32_e32 v[127:128], v159
	v_cvt_f64_f32_e32 v[131:132], v160
	;; [unrolled: 1-line block ×4, first 2 shown]
	s_waitcnt vmcnt(17)
	v_fma_f64 v[109:110], v[117:118], v[17:18], v[109:110]
	v_fma_f64 v[107:108], v[121:122], v[17:18], v[107:108]
	;; [unrolled: 1-line block ×8, first 2 shown]
	v_cvt_f64_f32_e32 v[105:106], v139
	v_cvt_f64_f32_e32 v[139:140], v152
	v_fma_f64 v[109:110], -v[121:122], v[19:20], v[109:110]
	v_fma_f64 v[107:108], v[117:118], v[19:20], v[107:108]
	v_fma_f64 v[111:112], -v[125:126], v[19:20], v[111:112]
	v_fma_f64 v[113:114], v[135:136], v[19:20], v[113:114]
	;; [unrolled: 2-line block ×4, first 2 shown]
	global_load_dwordx4 v[17:20], v[173:174], off offset:48
	v_cvt_f64_f32_e32 v[121:122], v142
	v_cvt_f64_f32_e32 v[125:126], v145
	;; [unrolled: 1-line block ×5, first 2 shown]
	s_waitcnt vmcnt(17)
	v_fma_f64 v[109:110], v[105:106], v[9:10], v[109:110]
	v_fma_f64 v[107:108], v[115:116], v[9:10], v[107:108]
	;; [unrolled: 1-line block ×8, first 2 shown]
	v_cvt_f64_f32_e32 v[117:118], v141
	v_cvt_f64_f32_e32 v[141:142], v153
	v_fma_f64 v[109:110], -v[115:116], v[11:12], v[109:110]
	v_fma_f64 v[105:106], v[105:106], v[11:12], v[107:108]
	v_fma_f64 v[107:108], -v[123:124], v[11:12], v[111:112]
	v_fma_f64 v[111:112], v[119:120], v[11:12], v[113:114]
	v_fma_f64 v[99:100], -v[131:132], v[11:12], v[99:100]
	v_fma_f64 v[101:102], v[127:128], v[11:12], v[101:102]
	v_fma_f64 v[103:104], -v[139:140], v[11:12], v[103:104]
	v_fma_f64 v[9:10], v[137:138], v[11:12], v[9:10]
	v_cvt_f64_f32_e32 v[113:114], v155
	v_cvt_f64_f32_e32 v[115:116], v156
	s_waitcnt vmcnt(15)
	v_cvt_f64_f32_e32 v[119:120], v21
	v_cvt_f64_f32_e32 v[21:22], v22
	;; [unrolled: 1-line block ×6, first 2 shown]
	s_waitcnt vmcnt(12)
	v_fma_f64 v[11:12], v[117:118], v[43:44], v[109:110]
	v_fma_f64 v[105:106], v[121:122], v[43:44], v[105:106]
	;; [unrolled: 1-line block ×8, first 2 shown]
	v_cvt_f64_f32_e32 v[43:44], v147
	v_cvt_f64_f32_e32 v[111:112], v148
	v_fma_f64 v[11:12], -v[121:122], v[45:46], v[11:12]
	v_fma_f64 v[105:106], v[117:118], v[45:46], v[105:106]
	v_fma_f64 v[107:108], -v[129:130], v[45:46], v[107:108]
	v_fma_f64 v[109:110], v[125:126], v[45:46], v[109:110]
	;; [unrolled: 2-line block ×4, first 2 shown]
	v_cvt_f64_f32_e32 v[117:118], v157
	v_cvt_f64_f32_e32 v[121:122], v158
	;; [unrolled: 1-line block ×4, first 2 shown]
	s_waitcnt vmcnt(7)
	v_fma_f64 v[11:12], v[43:44], v[75:76], v[11:12]
	v_fma_f64 v[45:46], v[111:112], v[75:76], v[105:106]
	;; [unrolled: 1-line block ×8, first 2 shown]
	v_cvt_f64_f32_e32 v[75:76], v149
	v_cvt_f64_f32_e32 v[109:110], v150
	v_fma_f64 v[11:12], -v[111:112], v[77:78], v[11:12]
	v_fma_f64 v[43:44], v[43:44], v[77:78], v[45:46]
	v_fma_f64 v[45:46], -v[115:116], v[77:78], v[105:106]
	v_fma_f64 v[105:106], v[113:114], v[77:78], v[107:108]
	;; [unrolled: 2-line block ×4, first 2 shown]
	v_cvt_f64_f32_e32 v[101:102], v47
	v_cvt_f64_f32_e32 v[47:48], v48
	;; [unrolled: 1-line block ×4, first 2 shown]
	s_waitcnt vmcnt(6)
	v_fma_f64 v[11:12], v[75:76], v[59:60], v[11:12]
	v_fma_f64 v[43:44], v[109:110], v[59:60], v[43:44]
	;; [unrolled: 1-line block ×8, first 2 shown]
	v_cvt_f64_f32_e32 v[59:60], v35
	v_cvt_f64_f32_e32 v[35:36], v36
	;; [unrolled: 1-line block ×4, first 2 shown]
	v_fma_f64 v[11:12], -v[109:110], v[61:62], v[11:12]
	v_fma_f64 v[43:44], v[75:76], v[61:62], v[43:44]
	v_fma_f64 v[45:46], -v[121:122], v[61:62], v[45:46]
	v_fma_f64 v[75:76], v[117:118], v[61:62], v[77:78]
	;; [unrolled: 2-line block ×4, first 2 shown]
	v_cvt_f64_f32_e32 v[61:62], v37
	v_cvt_f64_f32_e32 v[37:38], v38
	;; [unrolled: 1-line block ×4, first 2 shown]
	s_waitcnt vmcnt(5)
	v_fma_f64 v[11:12], v[59:60], v[79:80], v[11:12]
	v_fma_f64 v[15:16], v[35:36], v[79:80], v[43:44]
	;; [unrolled: 1-line block ×8, first 2 shown]
	v_cvt_f64_f32_e32 v[75:76], v49
	v_cvt_f64_f32_e32 v[49:50], v50
	;; [unrolled: 1-line block ×4, first 2 shown]
	v_fma_f64 v[11:12], -v[35:36], v[81:82], v[11:12]
	v_fma_f64 v[15:16], v[59:60], v[81:82], v[15:16]
	v_fma_f64 v[35:36], -v[47:48], v[81:82], v[43:44]
	v_fma_f64 v[43:44], v[101:102], v[81:82], v[45:46]
	;; [unrolled: 2-line block ×4, first 2 shown]
	v_cvt_f64_f32_e32 v[59:60], v39
	v_cvt_f64_f32_e32 v[39:40], v40
	;; [unrolled: 1-line block ×4, first 2 shown]
	s_waitcnt vmcnt(3)
	v_cvt_f64_f32_e32 v[45:46], v87
	v_cvt_f64_f32_e32 v[47:48], v88
	v_fma_f64 v[11:12], v[61:62], v[83:84], v[11:12]
	v_fma_f64 v[15:16], v[37:38], v[83:84], v[15:16]
	;; [unrolled: 1-line block ×8, first 2 shown]
	s_waitcnt vmcnt(2)
	v_cvt_f64_f32_e32 v[71:72], v91
	v_cvt_f64_f32_e32 v[81:82], v92
	v_fma_f64 v[11:12], -v[37:38], v[85:86], v[11:12]
	v_fma_f64 v[15:16], v[61:62], v[85:86], v[15:16]
	v_fma_f64 v[35:36], -v[49:50], v[85:86], v[35:36]
	v_fma_f64 v[37:38], v[75:76], v[85:86], v[43:44]
	;; [unrolled: 2-line block ×4, first 2 shown]
	v_cvt_f64_f32_e32 v[43:44], v89
	v_cvt_f64_f32_e32 v[49:50], v90
	;; [unrolled: 1-line block ×8, first 2 shown]
	s_waitcnt vmcnt(1)
	v_fma_f64 v[11:12], v[45:46], v[95:96], v[11:12]
	v_fma_f64 v[15:16], v[47:48], v[95:96], v[15:16]
	;; [unrolled: 1-line block ×8, first 2 shown]
	v_fma_f64 v[11:12], -v[47:48], v[97:98], v[11:12]
	v_fma_f64 v[15:16], v[45:46], v[97:98], v[15:16]
	v_fma_f64 v[35:36], -v[39:40], v[97:98], v[35:36]
	v_fma_f64 v[37:38], v[59:60], v[97:98], v[37:38]
	;; [unrolled: 2-line block ×4, first 2 shown]
	s_waitcnt vmcnt(0)
	v_fma_f64 v[11:12], v[43:44], v[17:18], v[11:12]
	v_fma_f64 v[15:16], v[49:50], v[17:18], v[15:16]
	;; [unrolled: 1-line block ×8, first 2 shown]
	v_fma_f64 v[41:42], -v[49:50], v[19:20], v[11:12]
	v_fma_f64 v[35:36], v[43:44], v[19:20], v[15:16]
	v_fma_f64 v[49:50], -v[65:66], v[19:20], v[39:40]
	v_fma_f64 v[39:40], v[61:62], v[19:20], v[37:38]
	;; [unrolled: 2-line block ×4, first 2 shown]
	s_andn2_b32 exec_lo, exec_lo, s8
	s_cbranch_execnz .LBB177_21
; %bb.22:
	s_or_b32 exec_lo, exec_lo, s8
.LBB177_23:
	s_or_b32 exec_lo, exec_lo, s7
.LBB177_24:
	s_or_b32 exec_lo, exec_lo, s6
	s_cbranch_execz .LBB177_26
	s_branch .LBB177_37
.LBB177_25:
                                        ; implicit-def: $vgpr35_vgpr36
                                        ; implicit-def: $vgpr41_vgpr42
                                        ; implicit-def: $vgpr39_vgpr40
                                        ; implicit-def: $vgpr49_vgpr50
                                        ; implicit-def: $vgpr45_vgpr46
                                        ; implicit-def: $vgpr47_vgpr48
                                        ; implicit-def: $vgpr43_vgpr44
                                        ; implicit-def: $vgpr37_vgpr38
.LBB177_26:
	v_mov_b32_e32 v35, 0
	v_mov_b32_e32 v41, 0
	;; [unrolled: 1-line block ×16, first 2 shown]
	s_and_saveexec_b32 s1, s0
	s_cbranch_execz .LBB177_36
; %bb.27:
	v_or_b32_e32 v9, 16, v0
	v_not_b32_e32 v13, v51
	v_sub_co_u32 v14, s0, v27, v0
	v_not_b32_e32 v11, v52
	v_sub_co_u32 v9, vcc_lo, v9, v27
	v_sub_co_ci_u32_e64 v10, null, 0, v28, vcc_lo
	v_subrev_co_ci_u32_e64 v15, null, 0, v28, s0
	v_add_co_u32 v9, vcc_lo, v9, v51
	v_add_co_ci_u32_e64 v10, null, v10, v52, vcc_lo
	v_add_co_u32 v13, s0, v14, v13
	v_add_co_ci_u32_e64 v11, null, v15, v11, s0
	v_cmp_gt_i64_e32 vcc_lo, v[9:10], v[31:32]
	v_mov_b32_e32 v37, 0
	v_mov_b32_e32 v43, 0
	;; [unrolled: 1-line block ×5, first 2 shown]
	v_cndmask_b32_e32 v9, v31, v9, vcc_lo
	v_cndmask_b32_e32 v10, v32, v10, vcc_lo
	v_mov_b32_e32 v39, 0
	v_mov_b32_e32 v41, 0
	;; [unrolled: 1-line block ×3, first 2 shown]
	v_add_co_u32 v9, vcc_lo, v13, v9
	v_mov_b32_e32 v12, 0
	v_mov_b32_e32 v38, 0
	;; [unrolled: 1-line block ×4, first 2 shown]
	v_add_co_ci_u32_e64 v10, null, v11, v10, vcc_lo
	v_and_b32_e32 v11, 48, v9
	v_mov_b32_e32 v46, 0
	v_mov_b32_e32 v50, 0
	;; [unrolled: 1-line block ×5, first 2 shown]
	s_mov_b32 s6, exec_lo
	v_cmpx_ne_u64_e32 48, v[11:12]
	s_cbranch_execz .LBB177_31
; %bb.28:
	v_lshrrev_b32_e32 v13, 4, v9
	v_lshlrev_b64 v[11:12], 3, v[29:30]
	v_mov_b32_e32 v35, 0
	v_mov_b32_e32 v41, 0
	;; [unrolled: 1-line block ×3, first 2 shown]
	v_add_nc_u32_e32 v13, 1, v13
	v_mov_b32_e32 v49, 0
	v_add_co_u32 v11, vcc_lo, s12, v11
	v_mov_b32_e32 v45, 0
	v_and_b32_e32 v13, 3, v13
	v_mov_b32_e32 v47, 0
	v_mov_b32_e32 v43, 0
	;; [unrolled: 1-line block ×4, first 2 shown]
	v_sub_co_u32 v13, s0, 0, v13
	v_mov_b32_e32 v42, 0
	v_mov_b32_e32 v40, 0
	v_add_co_ci_u32_e64 v12, null, s13, v12, vcc_lo
	v_mov_b32_e32 v50, 0
	v_mov_b32_e32 v46, 0
	;; [unrolled: 1-line block ×5, first 2 shown]
	v_sub_co_ci_u32_e64 v14, null, 0, 0, s0
	s_mov_b32 s7, 0
.LBB177_29:                             ; =>This Inner Loop Header: Depth=1
	global_load_dwordx2 v[23:24], v[11:12], off
	s_clause 0x1
	global_load_dwordx4 v[15:18], v[33:34], off offset:16
	global_load_dwordx4 v[19:22], v[33:34], off
	v_add_co_u32 v11, s0, 0x80, v11
	v_add_co_ci_u32_e64 v12, null, 0, v12, s0
	s_waitcnt vmcnt(2)
	v_sub_co_u32 v23, vcc_lo, v23, v27
	v_sub_co_ci_u32_e64 v24, null, v24, v28, vcc_lo
	s_waitcnt vmcnt(0)
	v_cvt_f64_f32_e32 v[91:92], v21
	v_cvt_f64_f32_e32 v[21:22], v22
	;; [unrolled: 1-line block ×3, first 2 shown]
	v_lshlrev_b64 v[23:24], 6, v[23:24]
	v_cvt_f64_f32_e32 v[15:16], v16
	v_cvt_f64_f32_e32 v[95:96], v17
	;; [unrolled: 1-line block ×3, first 2 shown]
	v_add_co_u32 v23, vcc_lo, s2, v23
	v_add_co_ci_u32_e64 v24, null, s3, v24, vcc_lo
	global_load_dwordx4 v[51:54], v[23:24], off
	s_clause 0x1
	global_load_dwordx4 v[55:58], v[33:34], off offset:32
	global_load_dwordx4 v[59:62], v[33:34], off offset:48
	global_load_dwordx4 v[63:66], v[23:24], off offset:16
	s_clause 0x1
	global_load_dwordx4 v[67:70], v[33:34], off offset:64
	global_load_dwordx4 v[71:74], v[33:34], off offset:80
	global_load_dwordx4 v[75:78], v[23:24], off offset:32
	;; [unrolled: 4-line block ×3, first 2 shown]
	v_cvt_f64_f32_e32 v[23:24], v19
	v_cvt_f64_f32_e32 v[19:20], v20
	v_add_co_u32 v33, vcc_lo, 0x800, v33
	v_add_co_ci_u32_e64 v34, null, 0, v34, vcc_lo
	v_add_co_u32 v13, vcc_lo, v13, 1
	v_add_co_ci_u32_e64 v14, null, 0, v14, vcc_lo
	;; [unrolled: 2-line block ×3, first 2 shown]
	v_cmp_eq_u64_e32 vcc_lo, 0, v[13:14]
	s_or_b32 s7, vcc_lo, s7
	s_waitcnt vmcnt(9)
	v_fma_f64 v[41:42], v[23:24], v[51:52], v[41:42]
	v_fma_f64 v[35:36], v[19:20], v[51:52], v[35:36]
	;; [unrolled: 1-line block ×8, first 2 shown]
	s_waitcnt vmcnt(8)
	v_cvt_f64_f32_e32 v[51:52], v55
	v_cvt_f64_f32_e32 v[55:56], v56
	;; [unrolled: 1-line block ×4, first 2 shown]
	s_waitcnt vmcnt(7)
	v_cvt_f64_f32_e32 v[99:100], v59
	v_cvt_f64_f32_e32 v[59:60], v60
	;; [unrolled: 1-line block ×4, first 2 shown]
	v_fma_f64 v[19:20], -v[19:20], v[53:54], v[41:42]
	v_fma_f64 v[23:24], v[23:24], v[53:54], v[35:36]
	v_fma_f64 v[21:22], -v[21:22], v[53:54], v[49:50]
	v_fma_f64 v[35:36], v[91:92], v[53:54], v[39:40]
	;; [unrolled: 2-line block ×4, first 2 shown]
	s_waitcnt vmcnt(5)
	v_cvt_f64_f32_e32 v[41:42], v67
	v_cvt_f64_f32_e32 v[43:44], v68
	;; [unrolled: 1-line block ×4, first 2 shown]
	s_waitcnt vmcnt(4)
	v_cvt_f64_f32_e32 v[49:50], v71
	v_cvt_f64_f32_e32 v[53:54], v72
	;; [unrolled: 1-line block ×3, first 2 shown]
	s_waitcnt vmcnt(1)
	v_cvt_f64_f32_e32 v[69:70], v85
	v_cvt_f64_f32_e32 v[71:72], v86
	v_fma_f64 v[19:20], v[51:52], v[63:64], v[19:20]
	v_fma_f64 v[23:24], v[55:56], v[63:64], v[23:24]
	;; [unrolled: 1-line block ×8, first 2 shown]
	v_cvt_f64_f32_e32 v[63:64], v73
	v_fma_f64 v[19:20], -v[55:56], v[65:66], v[19:20]
	v_fma_f64 v[23:24], v[51:52], v[65:66], v[23:24]
	v_fma_f64 v[21:22], -v[57:58], v[65:66], v[21:22]
	v_fma_f64 v[35:36], v[97:98], v[65:66], v[35:36]
	;; [unrolled: 2-line block ×4, first 2 shown]
	v_cvt_f64_f32_e32 v[51:52], v79
	v_cvt_f64_f32_e32 v[55:56], v80
	;; [unrolled: 1-line block ×6, first 2 shown]
	v_fma_f64 v[19:20], v[41:42], v[75:76], v[19:20]
	v_fma_f64 v[23:24], v[43:44], v[75:76], v[23:24]
	;; [unrolled: 1-line block ×8, first 2 shown]
	v_fma_f64 v[19:20], -v[43:44], v[77:78], v[19:20]
	v_fma_f64 v[23:24], v[41:42], v[77:78], v[23:24]
	v_fma_f64 v[21:22], -v[47:48], v[77:78], v[21:22]
	v_fma_f64 v[35:36], v[45:46], v[77:78], v[35:36]
	;; [unrolled: 2-line block ×4, first 2 shown]
	s_waitcnt vmcnt(0)
	v_fma_f64 v[19:20], v[51:52], v[87:88], v[19:20]
	v_fma_f64 v[23:24], v[55:56], v[87:88], v[23:24]
	;; [unrolled: 1-line block ×8, first 2 shown]
	v_fma_f64 v[41:42], -v[55:56], v[89:90], v[19:20]
	v_fma_f64 v[35:36], v[51:52], v[89:90], v[23:24]
	v_fma_f64 v[49:50], -v[59:60], v[89:90], v[21:22]
	v_fma_f64 v[39:40], v[57:58], v[89:90], v[43:44]
	;; [unrolled: 2-line block ×4, first 2 shown]
	s_andn2_b32 exec_lo, exec_lo, s7
	s_cbranch_execnz .LBB177_29
; %bb.30:
	s_or_b32 exec_lo, exec_lo, s7
.LBB177_31:
	s_or_b32 exec_lo, exec_lo, s6
	s_mov_b32 s6, exec_lo
	v_cmpx_lt_u64_e32 47, v[9:10]
	s_cbranch_execz .LBB177_35
; %bb.32:
	v_lshlrev_b64 v[9:10], 3, v[29:30]
	s_mov_b32 s7, 0
	v_add_co_u32 v9, vcc_lo, s12, v9
	v_add_co_ci_u32_e64 v10, null, s13, v10, vcc_lo
	v_add_co_u32 v21, vcc_lo, 0x100, v9
	v_add_co_ci_u32_e64 v22, null, 0, v10, vcc_lo
.LBB177_33:                             ; =>This Inner Loop Header: Depth=1
	s_clause 0x1
	global_load_dwordx2 v[23:24], v[21:22], off offset:-256
	global_load_dwordx2 v[95:96], v[21:22], off offset:-128
	s_clause 0x2
	global_load_dwordx4 v[17:20], v[33:34], off
	global_load_dwordx4 v[13:16], v[33:34], off offset:16
	global_load_dwordx4 v[9:12], v[33:34], off offset:32
	s_clause 0x1
	global_load_dwordx2 v[139:140], v[21:22], off
	global_load_dwordx2 v[141:142], v[21:22], off offset:128
	s_waitcnt vmcnt(6)
	v_sub_co_u32 v23, vcc_lo, v23, v27
	v_sub_co_ci_u32_e64 v24, null, v24, v28, vcc_lo
	s_waitcnt vmcnt(4)
	v_cvt_f64_f32_e32 v[147:148], v17
	v_cvt_f64_f32_e32 v[17:18], v18
	;; [unrolled: 1-line block ×3, first 2 shown]
	v_lshlrev_b64 v[23:24], 6, v[23:24]
	v_cvt_f64_f32_e32 v[19:20], v20
	s_waitcnt vmcnt(3)
	v_cvt_f64_f32_e32 v[151:152], v13
	v_cvt_f64_f32_e32 v[153:154], v14
	;; [unrolled: 1-line block ×4, first 2 shown]
	v_add_co_u32 v23, vcc_lo, s2, v23
	v_add_co_ci_u32_e64 v24, null, s3, v24, vcc_lo
	v_add_co_u32 v131, vcc_lo, v33, 0x1000
	v_add_co_ci_u32_e64 v132, null, 0, v34, vcc_lo
	global_load_dwordx4 v[51:54], v[23:24], off
	global_load_dwordx4 v[55:58], v[33:34], off offset:48
	global_load_dwordx4 v[59:62], v[23:24], off offset:16
	s_clause 0x1
	global_load_dwordx4 v[63:66], v[33:34], off offset:64
	global_load_dwordx4 v[67:70], v[33:34], off offset:80
	;; [unrolled: 1-line block ×3, first 2 shown]
	s_clause 0x1
	global_load_dwordx4 v[75:78], v[33:34], off offset:96
	global_load_dwordx4 v[79:82], v[33:34], off offset:112
	v_add_co_u32 v127, vcc_lo, 0x800, v33
	v_add_co_ci_u32_e64 v128, null, 0, v34, vcc_lo
	global_load_dwordx4 v[83:86], v[131:132], off offset:-2048
	global_load_dwordx4 v[87:90], v[23:24], off offset:48
	global_load_dwordx4 v[91:94], v[127:128], off offset:16
	v_sub_co_u32 v23, vcc_lo, v95, v27
	v_sub_co_ci_u32_e64 v24, null, v96, v28, vcc_lo
	s_waitcnt vmcnt(13)
	v_cvt_f64_f32_e32 v[159:160], v9
	v_cvt_f64_f32_e32 v[161:162], v10
	;; [unrolled: 1-line block ×3, first 2 shown]
	v_lshlrev_b64 v[23:24], 6, v[23:24]
	v_cvt_f64_f32_e32 v[165:166], v12
	v_add_co_u32 v23, vcc_lo, s2, v23
	v_add_co_ci_u32_e64 v24, null, s3, v24, vcc_lo
	global_load_dwordx4 v[95:98], v[23:24], off
	s_clause 0x1
	global_load_dwordx4 v[99:102], v[127:128], off offset:32
	global_load_dwordx4 v[103:106], v[127:128], off offset:48
	;; [unrolled: 1-line block ×3, first 2 shown]
	s_clause 0x1
	global_load_dwordx4 v[111:114], v[127:128], off offset:64
	global_load_dwordx4 v[115:118], v[127:128], off offset:80
	;; [unrolled: 1-line block ×3, first 2 shown]
	v_add_co_u32 v143, vcc_lo, 0x1000, v33
	v_add_co_ci_u32_e64 v144, null, 0, v34, vcc_lo
	s_clause 0x3
	global_load_dwordx4 v[123:126], v[127:128], off offset:96
	global_load_dwordx4 v[127:130], v[127:128], off offset:112
	global_load_dwordx4 v[131:134], v[131:132], off
	global_load_dwordx4 v[135:138], v[143:144], off offset:16
	global_load_dwordx4 v[9:12], v[23:24], off offset:48
	v_add_co_u32 v145, vcc_lo, 0x1800, v33
	v_add_co_ci_u32_e64 v146, null, 0, v34, vcc_lo
	s_waitcnt vmcnt(24)
	v_sub_co_u32 v139, vcc_lo, v139, v27
	v_sub_co_ci_u32_e64 v140, null, v140, v28, vcc_lo
	v_add_co_u32 v33, s0, 0x2000, v33
	v_add_co_ci_u32_e64 v34, null, 0, v34, s0
	s_waitcnt vmcnt(22)
	v_fma_f64 v[23:24], v[17:18], v[51:52], v[35:36]
	v_fma_f64 v[35:36], v[149:150], v[51:52], v[49:50]
	;; [unrolled: 1-line block ×8, first 2 shown]
	s_waitcnt vmcnt(21)
	v_cvt_f64_f32_e32 v[167:168], v55
	v_cvt_f64_f32_e32 v[55:56], v56
	;; [unrolled: 1-line block ×4, first 2 shown]
	s_waitcnt vmcnt(19)
	v_cvt_f64_f32_e32 v[51:52], v64
	v_fma_f64 v[23:24], v[147:148], v[53:54], v[23:24]
	v_fma_f64 v[49:50], -v[19:20], v[53:54], v[35:36]
	v_lshlrev_b64 v[35:36], 6, v[139:140]
	v_fma_f64 v[47:48], -v[17:18], v[53:54], v[13:14]
	v_fma_f64 v[39:40], v[149:150], v[53:54], v[39:40]
	v_cvt_f64_f32_e32 v[147:148], v63
	v_fma_f64 v[41:42], -v[153:154], v[53:54], v[41:42]
	v_fma_f64 v[45:46], v[151:152], v[53:54], v[45:46]
	v_fma_f64 v[63:64], -v[157:158], v[53:54], v[37:38]
	v_fma_f64 v[43:44], v[155:156], v[53:54], v[43:44]
	v_add_co_u32 v139, vcc_lo, s2, v35
	v_add_co_ci_u32_e64 v140, null, s3, v36, vcc_lo
	s_clause 0x1
	global_load_dwordx4 v[13:16], v[143:144], off offset:32
	global_load_dwordx4 v[17:20], v[143:144], off offset:48
	v_cvt_f64_f32_e32 v[153:154], v65
	global_load_dwordx4 v[35:38], v[139:140], off
	v_cvt_f64_f32_e32 v[65:66], v66
	s_waitcnt vmcnt(21)
	v_cvt_f64_f32_e32 v[155:156], v67
	v_cvt_f64_f32_e32 v[67:68], v68
	;; [unrolled: 1-line block ×3, first 2 shown]
	v_fma_f64 v[23:24], v[161:162], v[59:60], v[23:24]
	v_fma_f64 v[49:50], v[163:164], v[59:60], v[49:50]
	v_cvt_f64_f32_e32 v[69:70], v70
	v_fma_f64 v[47:48], v[159:160], v[59:60], v[47:48]
	v_fma_f64 v[53:54], v[165:166], v[59:60], v[39:40]
	v_sub_co_u32 v141, vcc_lo, v141, v27
	v_fma_f64 v[149:150], v[167:168], v[59:60], v[41:42]
	v_fma_f64 v[151:152], v[55:56], v[59:60], v[45:46]
	;; [unrolled: 1-line block ×4, first 2 shown]
	s_clause 0x1
	global_load_dwordx4 v[39:42], v[143:144], off offset:64
	global_load_dwordx4 v[43:46], v[143:144], off offset:80
	v_sub_co_ci_u32_e64 v142, null, v142, v28, vcc_lo
	v_lshlrev_b64 v[141:142], 6, v[141:142]
	v_fma_f64 v[23:24], v[159:160], v[61:62], v[23:24]
	v_fma_f64 v[159:160], -v[165:166], v[61:62], v[49:50]
	s_waitcnt vmcnt(20)
	v_cvt_f64_f32_e32 v[165:166], v79
	v_fma_f64 v[161:162], -v[161:162], v[61:62], v[47:48]
	v_fma_f64 v[53:54], v[163:164], v[61:62], v[53:54]
	global_load_dwordx4 v[47:50], v[139:140], off offset:16
	v_cvt_f64_f32_e32 v[79:80], v80
	v_fma_f64 v[55:56], -v[55:56], v[61:62], v[149:150]
	v_fma_f64 v[149:150], v[167:168], v[61:62], v[151:152]
	v_fma_f64 v[57:58], -v[57:58], v[61:62], v[63:64]
	v_fma_f64 v[59:60], v[169:170], v[61:62], v[59:60]
	v_cvt_f64_f32_e32 v[151:152], v75
	v_cvt_f64_f32_e32 v[75:76], v76
	;; [unrolled: 1-line block ×4, first 2 shown]
	v_add_co_u32 v141, vcc_lo, s2, v141
	v_add_co_ci_u32_e64 v142, null, s3, v142, vcc_lo
	v_add_co_u32 v29, vcc_lo, v29, 64
	v_add_co_ci_u32_e64 v30, null, 0, v30, vcc_lo
	v_fma_f64 v[23:24], v[51:52], v[71:72], v[23:24]
	v_fma_f64 v[63:64], v[153:154], v[71:72], v[159:160]
	;; [unrolled: 1-line block ×4, first 2 shown]
	v_add_co_u32 v21, vcc_lo, 0x200, v21
	v_fma_f64 v[161:162], v[155:156], v[71:72], v[55:56]
	v_fma_f64 v[149:150], v[67:68], v[71:72], v[149:150]
	;; [unrolled: 1-line block ×4, first 2 shown]
	v_cvt_f64_f32_e32 v[71:72], v77
	v_cvt_f64_f32_e32 v[77:78], v78
	v_add_co_ci_u32_e64 v22, null, 0, v22, vcc_lo
	v_cmp_ge_i64_e32 vcc_lo, v[29:30], v[31:32]
	global_load_dwordx4 v[55:58], v[143:144], off offset:112
	s_or_b32 s7, vcc_lo, s7
	v_fma_f64 v[23:24], v[147:148], v[73:74], v[23:24]
	v_fma_f64 v[63:64], -v[65:66], v[73:74], v[63:64]
	v_fma_f64 v[169:170], -v[51:52], v[73:74], v[61:62]
	global_load_dwordx4 v[51:54], v[143:144], off offset:96
	v_fma_f64 v[65:66], v[153:154], v[73:74], v[159:160]
	s_waitcnt vmcnt(22)
	v_cvt_f64_f32_e32 v[147:148], v83
	v_fma_f64 v[67:68], -v[67:68], v[73:74], v[161:162]
	v_fma_f64 v[143:144], v[155:156], v[73:74], v[149:150]
	v_fma_f64 v[69:70], -v[69:70], v[73:74], v[163:164]
	v_fma_f64 v[73:74], v[157:158], v[73:74], v[59:60]
	global_load_dwordx4 v[59:62], v[139:140], off offset:32
	v_cvt_f64_f32_e32 v[83:84], v84
	s_waitcnt vmcnt(21)
	v_cvt_f64_f32_e32 v[161:162], v91
	v_cvt_f64_f32_e32 v[91:92], v92
	;; [unrolled: 1-line block ×4, first 2 shown]
	v_fma_f64 v[23:24], v[75:76], v[87:88], v[23:24]
	v_fma_f64 v[153:154], v[71:72], v[87:88], v[63:64]
	;; [unrolled: 1-line block ×4, first 2 shown]
	global_load_dwordx4 v[63:66], v[145:146], off
	v_fma_f64 v[157:158], v[165:166], v[87:88], v[67:68]
	v_fma_f64 v[143:144], v[79:80], v[87:88], v[143:144]
	;; [unrolled: 1-line block ×4, first 2 shown]
	v_cvt_f64_f32_e32 v[87:88], v85
	v_cvt_f64_f32_e32 v[85:86], v86
	global_load_dwordx4 v[67:70], v[145:146], off offset:16
	v_fma_f64 v[23:24], v[151:152], v[89:90], v[23:24]
	v_fma_f64 v[77:78], -v[77:78], v[89:90], v[153:154]
	v_fma_f64 v[75:76], -v[75:76], v[89:90], v[149:150]
	s_waitcnt vmcnt(21)
	v_cvt_f64_f32_e32 v[151:152], v99
	v_fma_f64 v[149:150], v[71:72], v[89:90], v[155:156]
	s_waitcnt vmcnt(20)
	v_cvt_f64_f32_e32 v[153:154], v105
	v_fma_f64 v[79:80], -v[79:80], v[89:90], v[157:158]
	v_fma_f64 v[143:144], v[165:166], v[89:90], v[143:144]
	v_fma_f64 v[81:82], -v[81:82], v[89:90], v[159:160]
	v_fma_f64 v[89:90], v[167:168], v[89:90], v[73:74]
	global_load_dwordx4 v[71:74], v[139:140], off offset:48
	v_cvt_f64_f32_e32 v[105:106], v106
	s_waitcnt vmcnt(18)
	v_cvt_f64_f32_e32 v[155:156], v115
	v_cvt_f64_f32_e32 v[115:116], v116
	;; [unrolled: 1-line block ×4, first 2 shown]
	v_fma_f64 v[23:24], v[83:84], v[95:96], v[23:24]
	v_fma_f64 v[77:78], v[87:88], v[95:96], v[77:78]
	;; [unrolled: 1-line block ×4, first 2 shown]
	v_cvt_f64_f32_e32 v[149:150], v103
	v_fma_f64 v[79:80], v[161:162], v[95:96], v[79:80]
	v_fma_f64 v[143:144], v[91:92], v[95:96], v[143:144]
	;; [unrolled: 1-line block ×4, first 2 shown]
	v_cvt_f64_f32_e32 v[95:96], v100
	v_cvt_f64_f32_e32 v[99:100], v101
	;; [unrolled: 1-line block ×4, first 2 shown]
	v_fma_f64 v[23:24], v[147:148], v[97:98], v[23:24]
	v_fma_f64 v[85:86], -v[85:86], v[97:98], v[77:78]
	v_fma_f64 v[83:84], -v[83:84], v[97:98], v[75:76]
	v_cvt_f64_f32_e32 v[147:148], v113
	v_fma_f64 v[87:88], v[87:88], v[97:98], v[139:140]
	v_cvt_f64_f32_e32 v[113:114], v114
	v_fma_f64 v[91:92], -v[91:92], v[97:98], v[79:80]
	v_fma_f64 v[139:140], v[161:162], v[97:98], v[143:144]
	v_fma_f64 v[93:94], -v[93:94], v[97:98], v[81:82]
	v_fma_f64 v[89:90], v[163:164], v[97:98], v[89:90]
	global_load_dwordx4 v[75:78], v[141:142], off
	global_load_dwordx4 v[79:82], v[145:146], off offset:32
	v_fma_f64 v[23:24], v[95:96], v[107:108], v[23:24]
	v_fma_f64 v[143:144], v[99:100], v[107:108], v[85:86]
	;; [unrolled: 1-line block ×3, first 2 shown]
	global_load_dwordx4 v[83:86], v[145:146], off offset:48
	v_fma_f64 v[87:88], v[101:102], v[107:108], v[87:88]
	v_fma_f64 v[91:92], v[149:150], v[107:108], v[91:92]
	v_fma_f64 v[139:140], v[103:104], v[107:108], v[139:140]
	v_fma_f64 v[93:94], v[153:154], v[107:108], v[93:94]
	v_fma_f64 v[89:90], v[105:106], v[107:108], v[89:90]
	v_cvt_f64_f32_e32 v[107:108], v111
	v_cvt_f64_f32_e32 v[111:112], v112
	v_fma_f64 v[23:24], v[151:152], v[109:110], v[23:24]
	s_waitcnt vmcnt(18)
	v_cvt_f64_f32_e32 v[151:152], v127
	v_fma_f64 v[95:96], -v[95:96], v[109:110], v[97:98]
	v_fma_f64 v[97:98], -v[101:102], v[109:110], v[143:144]
	v_fma_f64 v[99:100], v[99:100], v[109:110], v[87:88]
	v_cvt_f64_f32_e32 v[127:128], v128
	v_fma_f64 v[101:102], -v[103:104], v[109:110], v[91:92]
	v_fma_f64 v[103:104], v[149:150], v[109:110], v[139:140]
	v_fma_f64 v[105:106], -v[105:106], v[109:110], v[93:94]
	v_fma_f64 v[109:110], v[153:154], v[109:110], v[89:90]
	global_load_dwordx4 v[87:90], v[141:142], off offset:16
	global_load_dwordx4 v[91:94], v[145:146], off offset:64
	v_cvt_f64_f32_e32 v[149:150], v125
	v_cvt_f64_f32_e32 v[125:126], v126
	;; [unrolled: 1-line block ×4, first 2 shown]
	v_fma_f64 v[23:24], v[111:112], v[119:120], v[23:24]
	v_fma_f64 v[139:140], v[107:108], v[119:120], v[95:96]
	v_fma_f64 v[143:144], v[147:148], v[119:120], v[97:98]
	v_fma_f64 v[99:100], v[113:114], v[119:120], v[99:100]
	global_load_dwordx4 v[95:98], v[145:146], off offset:80
	v_fma_f64 v[101:102], v[155:156], v[119:120], v[101:102]
	v_fma_f64 v[103:104], v[115:116], v[119:120], v[103:104]
	;; [unrolled: 1-line block ×4, first 2 shown]
	v_cvt_f64_f32_e32 v[119:120], v123
	v_cvt_f64_f32_e32 v[123:124], v124
	v_fma_f64 v[23:24], v[107:108], v[121:122], v[23:24]
	v_fma_f64 v[111:112], -v[111:112], v[121:122], v[139:140]
	v_fma_f64 v[113:114], -v[113:114], v[121:122], v[143:144]
	v_fma_f64 v[139:140], v[147:148], v[121:122], v[99:100]
	v_fma_f64 v[115:116], -v[115:116], v[121:122], v[101:102]
	v_fma_f64 v[143:144], v[155:156], v[121:122], v[103:104]
	;; [unrolled: 2-line block ×3, first 2 shown]
	s_clause 0x1
	global_load_dwordx4 v[99:102], v[141:142], off offset:32
	global_load_dwordx4 v[103:106], v[141:142], off offset:48
	global_load_dwordx4 v[107:110], v[145:146], off offset:96
	s_waitcnt vmcnt(22)
	v_cvt_f64_f32_e32 v[155:156], v135
	v_cvt_f64_f32_e32 v[135:136], v136
	v_cvt_f64_f32_e32 v[157:158], v137
	v_cvt_f64_f32_e32 v[137:138], v138
	s_waitcnt vmcnt(21)
	v_fma_f64 v[23:24], v[123:124], v[9:10], v[23:24]
	v_fma_f64 v[141:142], v[119:120], v[9:10], v[111:112]
	;; [unrolled: 1-line block ×4, first 2 shown]
	global_load_dwordx4 v[111:114], v[145:146], off offset:112
	v_fma_f64 v[115:116], v[151:152], v[9:10], v[115:116]
	v_fma_f64 v[143:144], v[127:128], v[9:10], v[143:144]
	;; [unrolled: 1-line block ×4, first 2 shown]
	v_cvt_f64_f32_e32 v[121:122], v131
	v_cvt_f64_f32_e32 v[131:132], v132
	;; [unrolled: 1-line block ×4, first 2 shown]
	v_fma_f64 v[23:24], v[119:120], v[11:12], v[23:24]
	v_fma_f64 v[123:124], -v[123:124], v[11:12], v[141:142]
	v_fma_f64 v[119:120], -v[125:126], v[11:12], v[147:148]
	v_fma_f64 v[125:126], v[149:150], v[11:12], v[139:140]
	v_fma_f64 v[115:116], -v[127:128], v[11:12], v[115:116]
	v_fma_f64 v[127:128], v[151:152], v[11:12], v[143:144]
	;; [unrolled: 2-line block ×3, first 2 shown]
	s_waitcnt vmcnt(20)
	v_cvt_f64_f32_e32 v[129:130], v17
	v_cvt_f64_f32_e32 v[17:18], v18
	s_waitcnt vmcnt(19)
	v_fma_f64 v[11:12], v[121:122], v[35:36], v[123:124]
	v_fma_f64 v[23:24], v[131:132], v[35:36], v[23:24]
	;; [unrolled: 1-line block ×8, first 2 shown]
	v_cvt_f64_f32_e32 v[35:36], v13
	v_cvt_f64_f32_e32 v[13:14], v14
	;; [unrolled: 1-line block ×6, first 2 shown]
	v_fma_f64 v[11:12], -v[131:132], v[37:38], v[11:12]
	v_fma_f64 v[23:24], v[121:122], v[37:38], v[23:24]
	v_fma_f64 v[119:120], -v[133:134], v[37:38], v[119:120]
	v_fma_f64 v[121:122], v[145:146], v[37:38], v[123:124]
	;; [unrolled: 2-line block ×4, first 2 shown]
	s_waitcnt vmcnt(17)
	v_cvt_f64_f32_e32 v[125:126], v43
	v_cvt_f64_f32_e32 v[43:44], v44
	;; [unrolled: 1-line block ×4, first 2 shown]
	s_waitcnt vmcnt(16)
	v_fma_f64 v[11:12], v[35:36], v[47:48], v[11:12]
	v_fma_f64 v[23:24], v[13:14], v[47:48], v[23:24]
	;; [unrolled: 1-line block ×8, first 2 shown]
	v_cvt_f64_f32_e32 v[47:48], v39
	v_cvt_f64_f32_e32 v[39:40], v40
	;; [unrolled: 1-line block ×4, first 2 shown]
	v_fma_f64 v[11:12], -v[13:14], v[49:50], v[11:12]
	v_fma_f64 v[13:14], v[35:36], v[49:50], v[23:24]
	v_fma_f64 v[15:16], -v[15:16], v[49:50], v[37:38]
	v_fma_f64 v[23:24], v[127:128], v[49:50], v[119:120]
	;; [unrolled: 2-line block ×4, first 2 shown]
	s_waitcnt vmcnt(15)
	v_cvt_f64_f32_e32 v[115:116], v57
	s_waitcnt vmcnt(14)
	v_cvt_f64_f32_e32 v[37:38], v51
	v_cvt_f64_f32_e32 v[49:50], v52
	;; [unrolled: 1-line block ×5, first 2 shown]
	s_waitcnt vmcnt(13)
	v_fma_f64 v[11:12], v[47:48], v[59:60], v[11:12]
	v_fma_f64 v[13:14], v[39:40], v[59:60], v[13:14]
	;; [unrolled: 1-line block ×8, first 2 shown]
	v_cvt_f64_f32_e32 v[59:60], v55
	v_cvt_f64_f32_e32 v[55:56], v56
	v_fma_f64 v[11:12], -v[39:40], v[61:62], v[11:12]
	v_fma_f64 v[13:14], v[47:48], v[61:62], v[13:14]
	v_fma_f64 v[15:16], -v[41:42], v[61:62], v[15:16]
	v_fma_f64 v[23:24], v[123:124], v[61:62], v[23:24]
	;; [unrolled: 2-line block ×4, first 2 shown]
	s_waitcnt vmcnt(12)
	v_cvt_f64_f32_e32 v[39:40], v63
	v_cvt_f64_f32_e32 v[41:42], v64
	;; [unrolled: 1-line block ×4, first 2 shown]
	s_waitcnt vmcnt(11)
	v_cvt_f64_f32_e32 v[47:48], v67
	v_cvt_f64_f32_e32 v[61:62], v68
	;; [unrolled: 1-line block ×4, first 2 shown]
	s_waitcnt vmcnt(10)
	v_fma_f64 v[11:12], v[37:38], v[71:72], v[11:12]
	v_fma_f64 v[13:14], v[49:50], v[71:72], v[13:14]
	;; [unrolled: 1-line block ×8, first 2 shown]
	v_fma_f64 v[11:12], -v[49:50], v[73:74], v[11:12]
	v_fma_f64 v[13:14], v[37:38], v[73:74], v[13:14]
	v_fma_f64 v[15:16], -v[53:54], v[73:74], v[15:16]
	v_fma_f64 v[23:24], v[51:52], v[73:74], v[23:24]
	v_fma_f64 v[17:18], -v[55:56], v[73:74], v[17:18]
	v_fma_f64 v[35:36], v[59:60], v[73:74], v[35:36]
	v_fma_f64 v[19:20], -v[57:58], v[73:74], v[19:20]
	v_fma_f64 v[9:10], v[115:116], v[73:74], v[9:10]
	s_waitcnt vmcnt(8)
	v_cvt_f64_f32_e32 v[37:38], v79
	v_cvt_f64_f32_e32 v[49:50], v80
	v_cvt_f64_f32_e32 v[51:52], v81
	v_cvt_f64_f32_e32 v[53:54], v82
	v_fma_f64 v[11:12], v[39:40], v[75:76], v[11:12]
	v_fma_f64 v[13:14], v[41:42], v[75:76], v[13:14]
	v_fma_f64 v[15:16], v[43:44], v[75:76], v[15:16]
	v_fma_f64 v[23:24], v[45:46], v[75:76], v[23:24]
	v_fma_f64 v[17:18], v[47:48], v[75:76], v[17:18]
	v_fma_f64 v[35:36], v[61:62], v[75:76], v[35:36]
	v_fma_f64 v[19:20], v[63:64], v[75:76], v[19:20]
	v_fma_f64 v[9:10], v[65:66], v[75:76], v[9:10]
	s_waitcnt vmcnt(7)
	v_cvt_f64_f32_e32 v[55:56], v83
	v_cvt_f64_f32_e32 v[57:58], v84
	v_cvt_f64_f32_e32 v[59:60], v85
	v_cvt_f64_f32_e32 v[67:68], v86
	v_fma_f64 v[11:12], -v[41:42], v[77:78], v[11:12]
	v_fma_f64 v[13:14], v[39:40], v[77:78], v[13:14]
	v_fma_f64 v[15:16], -v[45:46], v[77:78], v[15:16]
	v_fma_f64 v[23:24], v[43:44], v[77:78], v[23:24]
	v_fma_f64 v[17:18], -v[61:62], v[77:78], v[17:18]
	v_fma_f64 v[35:36], v[47:48], v[77:78], v[35:36]
	v_fma_f64 v[19:20], -v[65:66], v[77:78], v[19:20]
	v_fma_f64 v[9:10], v[63:64], v[77:78], v[9:10]
	s_waitcnt vmcnt(5)
	v_cvt_f64_f32_e32 v[39:40], v91
	v_cvt_f64_f32_e32 v[41:42], v92
	v_cvt_f64_f32_e32 v[43:44], v93
	v_cvt_f64_f32_e32 v[45:46], v94
	v_fma_f64 v[11:12], v[37:38], v[87:88], v[11:12]
	v_fma_f64 v[13:14], v[49:50], v[87:88], v[13:14]
	v_fma_f64 v[15:16], v[51:52], v[87:88], v[15:16]
	v_fma_f64 v[23:24], v[53:54], v[87:88], v[23:24]
	v_fma_f64 v[17:18], v[55:56], v[87:88], v[17:18]
	v_fma_f64 v[35:36], v[57:58], v[87:88], v[35:36]
	v_fma_f64 v[19:20], v[59:60], v[87:88], v[19:20]
	v_fma_f64 v[9:10], v[67:68], v[87:88], v[9:10]
	s_waitcnt vmcnt(4)
	v_cvt_f64_f32_e32 v[47:48], v95
	v_cvt_f64_f32_e32 v[61:62], v96
	v_cvt_f64_f32_e32 v[63:64], v97
	v_cvt_f64_f32_e32 v[65:66], v98
	;; [unrolled: 26-line block ×3, first 2 shown]
	v_fma_f64 v[11:12], -v[41:42], v[101:102], v[11:12]
	v_fma_f64 v[13:14], v[39:40], v[101:102], v[13:14]
	v_fma_f64 v[15:16], -v[45:46], v[101:102], v[15:16]
	v_fma_f64 v[23:24], v[43:44], v[101:102], v[23:24]
	;; [unrolled: 2-line block ×4, first 2 shown]
	v_fma_f64 v[11:12], v[37:38], v[103:104], v[11:12]
	v_fma_f64 v[13:14], v[49:50], v[103:104], v[13:14]
	;; [unrolled: 1-line block ×8, first 2 shown]
	v_fma_f64 v[41:42], -v[49:50], v[105:106], v[11:12]
	v_fma_f64 v[35:36], v[37:38], v[105:106], v[13:14]
	v_fma_f64 v[49:50], -v[53:54], v[105:106], v[15:16]
	v_fma_f64 v[39:40], v[51:52], v[105:106], v[23:24]
	;; [unrolled: 2-line block ×4, first 2 shown]
	s_andn2_b32 exec_lo, exec_lo, s7
	s_cbranch_execnz .LBB177_33
; %bb.34:
	s_or_b32 exec_lo, exec_lo, s7
.LBB177_35:
	s_or_b32 exec_lo, exec_lo, s6
.LBB177_36:
	s_or_b32 exec_lo, exec_lo, s1
.LBB177_37:
	v_mbcnt_lo_u32_b32 v51, -1, 0
	v_xor_b32_e32 v9, 8, v51
	v_xor_b32_e32 v27, 4, v51
	v_cmp_gt_i32_e32 vcc_lo, 32, v9
	v_cndmask_b32_e32 v9, v51, v9, vcc_lo
	v_cmp_gt_i32_e32 vcc_lo, 32, v27
	v_lshlrev_b32_e32 v24, 2, v9
	v_cndmask_b32_e32 v27, v51, v27, vcc_lo
	ds_bpermute_b32 v9, v24, v41
	ds_bpermute_b32 v10, v24, v42
	;; [unrolled: 1-line block ×16, first 2 shown]
	s_waitcnt lgkmcnt(14)
	v_add_f64 v[9:10], v[41:42], v[9:10]
	v_lshlrev_b32_e32 v42, 2, v27
	s_waitcnt lgkmcnt(12)
	v_add_f64 v[11:12], v[35:36], v[11:12]
	s_waitcnt lgkmcnt(10)
	v_add_f64 v[13:14], v[49:50], v[13:14]
	;; [unrolled: 2-line block ×7, first 2 shown]
	ds_bpermute_b32 v27, v42, v9
	ds_bpermute_b32 v28, v42, v10
	;; [unrolled: 1-line block ×16, first 2 shown]
	s_waitcnt lgkmcnt(14)
	v_add_f64 v[9:10], v[9:10], v[27:28]
	v_xor_b32_e32 v27, 2, v51
	s_waitcnt lgkmcnt(12)
	v_add_f64 v[11:12], v[11:12], v[29:30]
	s_waitcnt lgkmcnt(10)
	v_add_f64 v[13:14], v[13:14], v[31:32]
	v_cmp_gt_i32_e32 vcc_lo, 32, v27
	s_waitcnt lgkmcnt(8)
	v_add_f64 v[15:16], v[15:16], v[33:34]
	s_waitcnt lgkmcnt(6)
	v_add_f64 v[17:18], v[17:18], v[35:36]
	;; [unrolled: 2-line block ×3, first 2 shown]
	v_cndmask_b32_e32 v29, v51, v27, vcc_lo
	s_waitcnt lgkmcnt(2)
	v_add_f64 v[21:22], v[21:22], v[39:40]
	s_waitcnt lgkmcnt(0)
	v_add_f64 v[27:28], v[23:24], v[41:42]
	v_lshlrev_b32_e32 v42, 2, v29
	ds_bpermute_b32 v23, v42, v9
	ds_bpermute_b32 v24, v42, v10
	;; [unrolled: 1-line block ×16, first 2 shown]
	s_waitcnt lgkmcnt(14)
	v_add_f64 v[9:10], v[9:10], v[23:24]
	s_waitcnt lgkmcnt(12)
	v_add_f64 v[29:30], v[11:12], v[29:30]
	;; [unrolled: 2-line block ×3, first 2 shown]
	v_xor_b32_e32 v31, 1, v51
	s_waitcnt lgkmcnt(8)
	v_add_f64 v[23:24], v[15:16], v[33:34]
	s_waitcnt lgkmcnt(6)
	v_add_f64 v[13:14], v[17:18], v[35:36]
	v_cmp_gt_i32_e32 vcc_lo, 32, v31
	s_waitcnt lgkmcnt(4)
	v_add_f64 v[17:18], v[19:20], v[37:38]
	s_waitcnt lgkmcnt(2)
	v_add_f64 v[15:16], v[21:22], v[39:40]
	;; [unrolled: 2-line block ×3, first 2 shown]
	v_cndmask_b32_e32 v31, v51, v31, vcc_lo
	v_cmp_eq_u32_e32 vcc_lo, 15, v0
	v_lshlrev_b32_e32 v36, 2, v31
	ds_bpermute_b32 v21, v36, v9
	ds_bpermute_b32 v22, v36, v10
	ds_bpermute_b32 v41, v36, v29
	ds_bpermute_b32 v42, v36, v30
	ds_bpermute_b32 v27, v36, v11
	ds_bpermute_b32 v28, v36, v12
	ds_bpermute_b32 v39, v36, v23
	ds_bpermute_b32 v40, v36, v24
	ds_bpermute_b32 v31, v36, v13
	ds_bpermute_b32 v32, v36, v14
	ds_bpermute_b32 v37, v36, v17
	ds_bpermute_b32 v38, v36, v18
	ds_bpermute_b32 v33, v36, v15
	ds_bpermute_b32 v34, v36, v16
	ds_bpermute_b32 v35, v36, v19
	ds_bpermute_b32 v36, v36, v20
	s_and_b32 exec_lo, exec_lo, vcc_lo
	s_cbranch_execz .LBB177_8
; %bb.38:
	s_waitcnt lgkmcnt(12)
	v_add_f64 v[29:30], v[29:30], v[41:42]
	s_waitcnt lgkmcnt(8)
	v_add_f64 v[23:24], v[23:24], v[39:40]
	;; [unrolled: 2-line block ×4, first 2 shown]
	v_add_f64 v[9:10], v[9:10], v[21:22]
	v_add_f64 v[11:12], v[11:12], v[27:28]
	;; [unrolled: 1-line block ×4, first 2 shown]
	v_cmp_eq_f64_e32 vcc_lo, 0, v[1:2]
	v_cmp_eq_f64_e64 s0, 0, v[3:4]
	s_load_dwordx2 s[2:3], s[4:5], 0x68
	v_mul_f64 v[13:14], v[29:30], -v[7:8]
	v_mul_f64 v[15:16], v[5:6], v[29:30]
	v_mul_f64 v[29:30], v[23:24], -v[7:8]
	v_mul_f64 v[23:24], v[5:6], v[23:24]
	;; [unrolled: 2-line block ×4, first 2 shown]
	s_and_b32 s0, vcc_lo, s0
	v_fma_f64 v[17:18], v[5:6], v[9:10], v[13:14]
	v_fma_f64 v[19:20], v[7:8], v[9:10], v[15:16]
	;; [unrolled: 1-line block ×8, first 2 shown]
	v_lshlrev_b64 v[21:22], 6, v[25:26]
	s_and_saveexec_b32 s1, s0
	s_xor_b32 s0, exec_lo, s1
	s_cbranch_execz .LBB177_40
; %bb.39:
	s_waitcnt lgkmcnt(0)
	v_add_co_u32 v0, vcc_lo, s2, v21
	v_add_co_ci_u32_e64 v1, null, s3, v22, vcc_lo
                                        ; implicit-def: $vgpr21_vgpr22
	global_store_dwordx4 v[0:1], v[17:20], off
	global_store_dwordx4 v[0:1], v[13:16], off offset:16
	global_store_dwordx4 v[0:1], v[9:12], off offset:32
	;; [unrolled: 1-line block ×3, first 2 shown]
                                        ; implicit-def: $vgpr3_vgpr4
                                        ; implicit-def: $vgpr17_vgpr18
                                        ; implicit-def: $vgpr13_vgpr14
                                        ; implicit-def: $vgpr9_vgpr10
                                        ; implicit-def: $vgpr5_vgpr6
.LBB177_40:
	s_andn2_saveexec_b32 s0, s0
	s_cbranch_execz .LBB177_8
; %bb.41:
	s_waitcnt lgkmcnt(0)
	v_add_co_u32 v37, vcc_lo, s2, v21
	v_add_co_ci_u32_e64 v38, null, s3, v22, vcc_lo
	s_clause 0x3
	global_load_dwordx4 v[21:24], v[37:38], off
	global_load_dwordx4 v[25:28], v[37:38], off offset:16
	global_load_dwordx4 v[29:32], v[37:38], off offset:32
	;; [unrolled: 1-line block ×3, first 2 shown]
	s_waitcnt vmcnt(3)
	v_fma_f64 v[17:18], v[1:2], v[21:22], v[17:18]
	v_fma_f64 v[19:20], v[3:4], v[21:22], v[19:20]
	s_waitcnt vmcnt(2)
	v_fma_f64 v[13:14], v[1:2], v[25:26], v[13:14]
	v_fma_f64 v[15:16], v[3:4], v[25:26], v[15:16]
	;; [unrolled: 3-line block ×4, first 2 shown]
	v_fma_f64 v[5:6], -v[3:4], v[23:24], v[17:18]
	v_fma_f64 v[7:8], v[1:2], v[23:24], v[19:20]
	v_fma_f64 v[9:10], -v[3:4], v[27:28], v[13:14]
	v_fma_f64 v[11:12], v[1:2], v[27:28], v[15:16]
	;; [unrolled: 2-line block ×4, first 2 shown]
	global_store_dwordx4 v[37:38], v[5:8], off
	global_store_dwordx4 v[37:38], v[9:12], off offset:16
	global_store_dwordx4 v[37:38], v[13:16], off offset:32
	global_store_dwordx4 v[37:38], v[17:20], off offset:48
	s_endpgm
	.section	.rodata,"a",@progbits
	.p2align	6, 0x0
	.amdhsa_kernel _ZN9rocsparseL18bsrxmvn_4x4_kernelILj128ELj16E21rocsparse_complex_numIdEllS1_IfES2_S2_EEvT3_20rocsparse_direction_NS_24const_host_device_scalarIT1_EES4_PKS4_PKT2_SD_SA_PKT4_PKT5_S8_PT6_21rocsparse_index_base_b
		.amdhsa_group_segment_fixed_size 0
		.amdhsa_private_segment_fixed_size 0
		.amdhsa_kernarg_size 120
		.amdhsa_user_sgpr_count 6
		.amdhsa_user_sgpr_private_segment_buffer 1
		.amdhsa_user_sgpr_dispatch_ptr 0
		.amdhsa_user_sgpr_queue_ptr 0
		.amdhsa_user_sgpr_kernarg_segment_ptr 1
		.amdhsa_user_sgpr_dispatch_id 0
		.amdhsa_user_sgpr_flat_scratch_init 0
		.amdhsa_user_sgpr_private_segment_size 0
		.amdhsa_wavefront_size32 1
		.amdhsa_uses_dynamic_stack 0
		.amdhsa_system_sgpr_private_segment_wavefront_offset 0
		.amdhsa_system_sgpr_workgroup_id_x 1
		.amdhsa_system_sgpr_workgroup_id_y 0
		.amdhsa_system_sgpr_workgroup_id_z 0
		.amdhsa_system_sgpr_workgroup_info 0
		.amdhsa_system_vgpr_workitem_id 0
		.amdhsa_next_free_vgpr 195
		.amdhsa_next_free_sgpr 16
		.amdhsa_reserve_vcc 1
		.amdhsa_reserve_flat_scratch 0
		.amdhsa_float_round_mode_32 0
		.amdhsa_float_round_mode_16_64 0
		.amdhsa_float_denorm_mode_32 3
		.amdhsa_float_denorm_mode_16_64 3
		.amdhsa_dx10_clamp 1
		.amdhsa_ieee_mode 1
		.amdhsa_fp16_overflow 0
		.amdhsa_workgroup_processor_mode 1
		.amdhsa_memory_ordered 1
		.amdhsa_forward_progress 1
		.amdhsa_shared_vgpr_count 0
		.amdhsa_exception_fp_ieee_invalid_op 0
		.amdhsa_exception_fp_denorm_src 0
		.amdhsa_exception_fp_ieee_div_zero 0
		.amdhsa_exception_fp_ieee_overflow 0
		.amdhsa_exception_fp_ieee_underflow 0
		.amdhsa_exception_fp_ieee_inexact 0
		.amdhsa_exception_int_div_zero 0
	.end_amdhsa_kernel
	.section	.text._ZN9rocsparseL18bsrxmvn_4x4_kernelILj128ELj16E21rocsparse_complex_numIdEllS1_IfES2_S2_EEvT3_20rocsparse_direction_NS_24const_host_device_scalarIT1_EES4_PKS4_PKT2_SD_SA_PKT4_PKT5_S8_PT6_21rocsparse_index_base_b,"axG",@progbits,_ZN9rocsparseL18bsrxmvn_4x4_kernelILj128ELj16E21rocsparse_complex_numIdEllS1_IfES2_S2_EEvT3_20rocsparse_direction_NS_24const_host_device_scalarIT1_EES4_PKS4_PKT2_SD_SA_PKT4_PKT5_S8_PT6_21rocsparse_index_base_b,comdat
.Lfunc_end177:
	.size	_ZN9rocsparseL18bsrxmvn_4x4_kernelILj128ELj16E21rocsparse_complex_numIdEllS1_IfES2_S2_EEvT3_20rocsparse_direction_NS_24const_host_device_scalarIT1_EES4_PKS4_PKT2_SD_SA_PKT4_PKT5_S8_PT6_21rocsparse_index_base_b, .Lfunc_end177-_ZN9rocsparseL18bsrxmvn_4x4_kernelILj128ELj16E21rocsparse_complex_numIdEllS1_IfES2_S2_EEvT3_20rocsparse_direction_NS_24const_host_device_scalarIT1_EES4_PKS4_PKT2_SD_SA_PKT4_PKT5_S8_PT6_21rocsparse_index_base_b
                                        ; -- End function
	.set _ZN9rocsparseL18bsrxmvn_4x4_kernelILj128ELj16E21rocsparse_complex_numIdEllS1_IfES2_S2_EEvT3_20rocsparse_direction_NS_24const_host_device_scalarIT1_EES4_PKS4_PKT2_SD_SA_PKT4_PKT5_S8_PT6_21rocsparse_index_base_b.num_vgpr, 195
	.set _ZN9rocsparseL18bsrxmvn_4x4_kernelILj128ELj16E21rocsparse_complex_numIdEllS1_IfES2_S2_EEvT3_20rocsparse_direction_NS_24const_host_device_scalarIT1_EES4_PKS4_PKT2_SD_SA_PKT4_PKT5_S8_PT6_21rocsparse_index_base_b.num_agpr, 0
	.set _ZN9rocsparseL18bsrxmvn_4x4_kernelILj128ELj16E21rocsparse_complex_numIdEllS1_IfES2_S2_EEvT3_20rocsparse_direction_NS_24const_host_device_scalarIT1_EES4_PKS4_PKT2_SD_SA_PKT4_PKT5_S8_PT6_21rocsparse_index_base_b.numbered_sgpr, 16
	.set _ZN9rocsparseL18bsrxmvn_4x4_kernelILj128ELj16E21rocsparse_complex_numIdEllS1_IfES2_S2_EEvT3_20rocsparse_direction_NS_24const_host_device_scalarIT1_EES4_PKS4_PKT2_SD_SA_PKT4_PKT5_S8_PT6_21rocsparse_index_base_b.num_named_barrier, 0
	.set _ZN9rocsparseL18bsrxmvn_4x4_kernelILj128ELj16E21rocsparse_complex_numIdEllS1_IfES2_S2_EEvT3_20rocsparse_direction_NS_24const_host_device_scalarIT1_EES4_PKS4_PKT2_SD_SA_PKT4_PKT5_S8_PT6_21rocsparse_index_base_b.private_seg_size, 0
	.set _ZN9rocsparseL18bsrxmvn_4x4_kernelILj128ELj16E21rocsparse_complex_numIdEllS1_IfES2_S2_EEvT3_20rocsparse_direction_NS_24const_host_device_scalarIT1_EES4_PKS4_PKT2_SD_SA_PKT4_PKT5_S8_PT6_21rocsparse_index_base_b.uses_vcc, 1
	.set _ZN9rocsparseL18bsrxmvn_4x4_kernelILj128ELj16E21rocsparse_complex_numIdEllS1_IfES2_S2_EEvT3_20rocsparse_direction_NS_24const_host_device_scalarIT1_EES4_PKS4_PKT2_SD_SA_PKT4_PKT5_S8_PT6_21rocsparse_index_base_b.uses_flat_scratch, 0
	.set _ZN9rocsparseL18bsrxmvn_4x4_kernelILj128ELj16E21rocsparse_complex_numIdEllS1_IfES2_S2_EEvT3_20rocsparse_direction_NS_24const_host_device_scalarIT1_EES4_PKS4_PKT2_SD_SA_PKT4_PKT5_S8_PT6_21rocsparse_index_base_b.has_dyn_sized_stack, 0
	.set _ZN9rocsparseL18bsrxmvn_4x4_kernelILj128ELj16E21rocsparse_complex_numIdEllS1_IfES2_S2_EEvT3_20rocsparse_direction_NS_24const_host_device_scalarIT1_EES4_PKS4_PKT2_SD_SA_PKT4_PKT5_S8_PT6_21rocsparse_index_base_b.has_recursion, 0
	.set _ZN9rocsparseL18bsrxmvn_4x4_kernelILj128ELj16E21rocsparse_complex_numIdEllS1_IfES2_S2_EEvT3_20rocsparse_direction_NS_24const_host_device_scalarIT1_EES4_PKS4_PKT2_SD_SA_PKT4_PKT5_S8_PT6_21rocsparse_index_base_b.has_indirect_call, 0
	.section	.AMDGPU.csdata,"",@progbits
; Kernel info:
; codeLenInByte = 11812
; TotalNumSgprs: 18
; NumVgprs: 195
; ScratchSize: 0
; MemoryBound: 0
; FloatMode: 240
; IeeeMode: 1
; LDSByteSize: 0 bytes/workgroup (compile time only)
; SGPRBlocks: 0
; VGPRBlocks: 24
; NumSGPRsForWavesPerEU: 18
; NumVGPRsForWavesPerEU: 195
; Occupancy: 4
; WaveLimiterHint : 1
; COMPUTE_PGM_RSRC2:SCRATCH_EN: 0
; COMPUTE_PGM_RSRC2:USER_SGPR: 6
; COMPUTE_PGM_RSRC2:TRAP_HANDLER: 0
; COMPUTE_PGM_RSRC2:TGID_X_EN: 1
; COMPUTE_PGM_RSRC2:TGID_Y_EN: 0
; COMPUTE_PGM_RSRC2:TGID_Z_EN: 0
; COMPUTE_PGM_RSRC2:TIDIG_COMP_CNT: 0
	.section	.text._ZN9rocsparseL18bsrxmvn_4x4_kernelILj128ELj32E21rocsparse_complex_numIdEllS1_IfES2_S2_EEvT3_20rocsparse_direction_NS_24const_host_device_scalarIT1_EES4_PKS4_PKT2_SD_SA_PKT4_PKT5_S8_PT6_21rocsparse_index_base_b,"axG",@progbits,_ZN9rocsparseL18bsrxmvn_4x4_kernelILj128ELj32E21rocsparse_complex_numIdEllS1_IfES2_S2_EEvT3_20rocsparse_direction_NS_24const_host_device_scalarIT1_EES4_PKS4_PKT2_SD_SA_PKT4_PKT5_S8_PT6_21rocsparse_index_base_b,comdat
	.globl	_ZN9rocsparseL18bsrxmvn_4x4_kernelILj128ELj32E21rocsparse_complex_numIdEllS1_IfES2_S2_EEvT3_20rocsparse_direction_NS_24const_host_device_scalarIT1_EES4_PKS4_PKT2_SD_SA_PKT4_PKT5_S8_PT6_21rocsparse_index_base_b ; -- Begin function _ZN9rocsparseL18bsrxmvn_4x4_kernelILj128ELj32E21rocsparse_complex_numIdEllS1_IfES2_S2_EEvT3_20rocsparse_direction_NS_24const_host_device_scalarIT1_EES4_PKS4_PKT2_SD_SA_PKT4_PKT5_S8_PT6_21rocsparse_index_base_b
	.p2align	8
	.type	_ZN9rocsparseL18bsrxmvn_4x4_kernelILj128ELj32E21rocsparse_complex_numIdEllS1_IfES2_S2_EEvT3_20rocsparse_direction_NS_24const_host_device_scalarIT1_EES4_PKS4_PKT2_SD_SA_PKT4_PKT5_S8_PT6_21rocsparse_index_base_b,@function
_ZN9rocsparseL18bsrxmvn_4x4_kernelILj128ELj32E21rocsparse_complex_numIdEllS1_IfES2_S2_EEvT3_20rocsparse_direction_NS_24const_host_device_scalarIT1_EES4_PKS4_PKT2_SD_SA_PKT4_PKT5_S8_PT6_21rocsparse_index_base_b: ; @_ZN9rocsparseL18bsrxmvn_4x4_kernelILj128ELj32E21rocsparse_complex_numIdEllS1_IfES2_S2_EEvT3_20rocsparse_direction_NS_24const_host_device_scalarIT1_EES4_PKS4_PKT2_SD_SA_PKT4_PKT5_S8_PT6_21rocsparse_index_base_b
; %bb.0:
	s_clause 0x1
	s_load_dwordx2 s[2:3], s[4:5], 0x70
	s_load_dwordx2 s[0:1], s[4:5], 0x10
	s_add_u32 s7, s4, 16
	s_addc_u32 s10, s5, 0
	s_add_u32 s11, s4, 0x58
	s_addc_u32 s12, s5, 0
	s_load_dwordx2 s[8:9], s[4:5], 0x58
	s_waitcnt lgkmcnt(0)
	s_bitcmp1_b32 s3, 0
	s_cselect_b32 s0, s7, s0
	s_cselect_b32 s1, s10, s1
	v_mov_b32_e32 v1, s0
	v_mov_b32_e32 v2, s1
	s_cselect_b32 s0, s11, s8
	s_cselect_b32 s1, s12, s9
	flat_load_dwordx4 v[5:8], v[1:2]
	v_mov_b32_e32 v1, s0
	v_mov_b32_e32 v2, s1
	flat_load_dwordx4 v[1:4], v[1:2]
	s_waitcnt vmcnt(1) lgkmcnt(1)
	v_cmp_eq_f64_e32 vcc_lo, 0, v[5:6]
	v_cmp_eq_f64_e64 s0, 0, v[7:8]
	s_and_b32 s3, vcc_lo, s0
	s_mov_b32 s0, -1
	s_and_saveexec_b32 s1, s3
	s_cbranch_execz .LBB178_2
; %bb.1:
	s_waitcnt vmcnt(0) lgkmcnt(0)
	v_cmp_neq_f64_e32 vcc_lo, 1.0, v[1:2]
	v_cmp_neq_f64_e64 s0, 0, v[3:4]
	s_or_b32 s0, vcc_lo, s0
	s_orn2_b32 s0, s0, exec_lo
.LBB178_2:
	s_or_b32 exec_lo, exec_lo, s1
	s_and_saveexec_b32 s1, s0
	s_cbranch_execz .LBB178_8
; %bb.3:
	s_load_dwordx2 s[0:1], s[4:5], 0x28
	v_lshrrev_b32_e32 v9, 5, v0
	v_mov_b32_e32 v10, 0
	v_lshl_or_b32 v9, s6, 2, v9
	s_waitcnt lgkmcnt(0)
	s_cmp_lg_u64 s[0:1], 0
	s_cbranch_scc0 .LBB178_9
; %bb.4:
	s_load_dwordx2 s[6:7], s[4:5], 0x20
                                        ; implicit-def: $vgpr29_vgpr30
                                        ; implicit-def: $vgpr31_vgpr32
	s_waitcnt lgkmcnt(0)
	v_cmp_gt_i64_e32 vcc_lo, s[6:7], v[9:10]
	s_mov_b32 s7, 0
	s_mov_b32 s6, 0
	s_and_saveexec_b32 s3, vcc_lo
	s_xor_b32 s8, exec_lo, s3
	s_cbranch_execz .LBB178_6
; %bb.5:
	v_lshlrev_b64 v[11:12], 3, v[9:10]
	s_mov_b32 s3, 0
	s_mov_b32 s6, exec_lo
	v_mov_b32_e32 v32, s3
	v_mov_b32_e32 v31, s2
	v_add_co_u32 v11, vcc_lo, s0, v11
	v_add_co_ci_u32_e64 v12, null, s1, v12, vcc_lo
	global_load_dwordx2 v[11:12], v[11:12], off
	s_waitcnt vmcnt(0)
	v_sub_co_u32 v29, vcc_lo, v11, s2
	v_subrev_co_ci_u32_e64 v30, null, 0, v12, vcc_lo
.LBB178_6:
	s_or_b32 exec_lo, exec_lo, s8
	s_and_b32 vcc_lo, exec_lo, s7
	s_cbranch_vccnz .LBB178_10
.LBB178_7:
	s_and_b32 exec_lo, exec_lo, s6
	s_cbranch_execnz .LBB178_13
.LBB178_8:
	s_endpgm
.LBB178_9:
	s_mov_b32 s6, 0
                                        ; implicit-def: $vgpr29_vgpr30
                                        ; implicit-def: $vgpr31_vgpr32
	s_cbranch_execz .LBB178_7
.LBB178_10:
	s_load_dwordx2 s[0:1], s[4:5], 0x0
	s_waitcnt lgkmcnt(0)
	v_cmp_gt_i64_e32 vcc_lo, s[0:1], v[9:10]
	s_and_saveexec_b32 s0, vcc_lo
; %bb.11:
	s_mov_b32 s3, 0
	s_or_b32 s6, s6, exec_lo
; %bb.12:
	s_or_b32 exec_lo, exec_lo, s0
	v_mov_b32_e32 v32, s3
	v_mov_b32_e32 v30, v10
	;; [unrolled: 1-line block ×4, first 2 shown]
	s_and_b32 exec_lo, exec_lo, s6
	s_cbranch_execz .LBB178_8
.LBB178_13:
	s_load_dwordx8 s[8:15], s[4:5], 0x30
	v_lshlrev_b64 v[9:10], 3, v[29:30]
	v_and_b32_e32 v0, 31, v0
	s_clause 0x1
	s_load_dword s1, s[4:5], 0x8
	s_load_dwordx2 s[2:3], s[4:5], 0x50
	s_waitcnt lgkmcnt(0)
	v_add_co_u32 v11, vcc_lo, s8, v9
	v_add_co_ci_u32_e64 v12, null, s9, v10, vcc_lo
	v_add_co_u32 v9, vcc_lo, s10, v9
	v_add_co_ci_u32_e64 v10, null, s11, v10, vcc_lo
	;; [unrolled: 2-line block ×3, first 2 shown]
	global_load_dwordx2 v[55:56], v[11:12], off
	s_cmp_eq_u64 s[10:11], 0
	s_cselect_b32 vcc_lo, -1, 0
	s_cmp_eq_u32 s1, 1
	v_cndmask_b32_e32 v10, v10, v14, vcc_lo
	v_cndmask_b32_e32 v9, v9, v13, vcc_lo
	global_load_dwordx2 v[9:10], v[9:10], off
	s_waitcnt vmcnt(1)
	v_sub_co_u32 v11, vcc_lo, v55, v31
	v_sub_co_ci_u32_e64 v12, null, v56, v32, vcc_lo
	v_add_co_u32 v33, vcc_lo, v11, v0
	v_add_co_ci_u32_e64 v34, null, 0, v12, vcc_lo
	s_waitcnt vmcnt(0)
	v_sub_co_u32 v35, vcc_lo, v9, v31
	v_sub_co_ci_u32_e64 v36, null, v10, v32, vcc_lo
	v_lshlrev_b64 v[9:10], 7, v[33:34]
	v_cmp_lt_i64_e64 s0, v[33:34], v[35:36]
	v_add_co_u32 v37, vcc_lo, s14, v9
	v_add_co_ci_u32_e64 v38, null, s15, v10, vcc_lo
	s_cbranch_scc1 .LBB178_25
; %bb.14:
	v_mov_b32_e32 v39, 0
	v_mov_b32_e32 v45, 0
	;; [unrolled: 1-line block ×16, first 2 shown]
	s_and_saveexec_b32 s6, s0
	s_cbranch_execz .LBB178_24
; %bb.15:
	v_or_b32_e32 v9, 32, v0
	v_not_b32_e32 v13, v55
	v_not_b32_e32 v11, v56
	v_mov_b32_e32 v41, 0
	v_mov_b32_e32 v47, 0
	v_sub_co_u32 v9, vcc_lo, v9, v31
	v_sub_co_ci_u32_e64 v10, null, 0, v32, vcc_lo
	v_mov_b32_e32 v51, 0
	v_add_co_u32 v9, vcc_lo, v9, v55
	v_add_co_ci_u32_e64 v10, null, v10, v56, vcc_lo
	v_sub_co_u32 v14, vcc_lo, v31, v0
	v_subrev_co_ci_u32_e64 v15, null, 0, v32, vcc_lo
	v_cmp_gt_i64_e32 vcc_lo, v[9:10], v[35:36]
	v_add_co_u32 v13, s1, v14, v13
	v_add_co_ci_u32_e64 v11, null, v15, v11, s1
	v_mov_b32_e32 v49, 0
	v_cndmask_b32_e32 v9, v35, v9, vcc_lo
	v_cndmask_b32_e32 v10, v36, v10, vcc_lo
	v_mov_b32_e32 v53, 0
	v_mov_b32_e32 v43, 0
	;; [unrolled: 1-line block ×3, first 2 shown]
	v_add_co_u32 v9, vcc_lo, v13, v9
	v_mov_b32_e32 v39, 0
	v_mov_b32_e32 v60, v38
	;; [unrolled: 1-line block ×8, first 2 shown]
	v_add_co_ci_u32_e64 v10, null, v11, v10, vcc_lo
	v_and_b32_e32 v11, 0x60, v9
	v_mov_b32_e32 v54, 0
	v_mov_b32_e32 v44, 0
	;; [unrolled: 1-line block ×6, first 2 shown]
	s_mov_b32 s7, exec_lo
	v_cmpx_ne_u64_e32 0x60, v[11:12]
	s_cbranch_execz .LBB178_19
; %bb.16:
	v_lshrrev_b32_e32 v13, 5, v9
	v_lshlrev_b64 v[11:12], 3, v[33:34]
	v_mov_b32_e32 v39, 0
	v_mov_b32_e32 v58, v34
	;; [unrolled: 1-line block ×3, first 2 shown]
	v_add_nc_u32_e32 v13, 1, v13
	v_mov_b32_e32 v43, 0
	v_add_co_u32 v11, vcc_lo, s12, v11
	v_mov_b32_e32 v53, 0
	v_and_b32_e32 v13, 3, v13
	v_mov_b32_e32 v49, 0
	v_mov_b32_e32 v51, 0
	;; [unrolled: 1-line block ×4, first 2 shown]
	v_sub_co_u32 v13, s1, 0, v13
	v_mov_b32_e32 v60, v38
	v_mov_b32_e32 v40, 0
	;; [unrolled: 1-line block ×5, first 2 shown]
	v_add_co_ci_u32_e64 v12, null, s13, v12, vcc_lo
	v_sub_co_ci_u32_e64 v14, null, 0, 0, s1
	v_mov_b32_e32 v54, 0
	v_mov_b32_e32 v50, 0
	v_mov_b32_e32 v52, 0
	v_mov_b32_e32 v48, 0
	v_mov_b32_e32 v42, 0
	v_mov_b32_e32 v59, v37
	s_mov_b32 s8, 0
.LBB178_17:                             ; =>This Inner Loop Header: Depth=1
	global_load_dwordx2 v[27:28], v[11:12], off
	s_clause 0x4
	global_load_dwordx4 v[15:18], v[59:60], off
	global_load_dwordx4 v[19:22], v[59:60], off offset:48
	global_load_dwordx4 v[23:26], v[59:60], off offset:32
	;; [unrolled: 1-line block ×4, first 2 shown]
	v_add_co_u32 v11, s1, 0x100, v11
	v_add_co_ci_u32_e64 v12, null, 0, v12, s1
	s_waitcnt vmcnt(5)
	v_sub_co_u32 v27, vcc_lo, v27, v31
	v_sub_co_ci_u32_e64 v28, null, v28, v32, vcc_lo
	s_waitcnt vmcnt(2)
	v_cvt_f64_f32_e32 v[97:98], v23
	v_cvt_f64_f32_e32 v[23:24], v24
	s_waitcnt vmcnt(0)
	v_cvt_f64_f32_e32 v[99:100], v65
	v_lshlrev_b64 v[27:28], 6, v[27:28]
	v_cvt_f64_f32_e32 v[65:66], v66
	v_cvt_f64_f32_e32 v[101:102], v61
	;; [unrolled: 1-line block ×5, first 2 shown]
	v_add_co_u32 v27, vcc_lo, s2, v27
	v_add_co_ci_u32_e64 v28, null, s3, v28, vcc_lo
	v_cvt_f64_f32_e32 v[105:106], v67
	v_cvt_f64_f32_e32 v[67:68], v68
	v_cvt_f64_f32_e32 v[107:108], v63
	s_clause 0x1
	global_load_dwordx4 v[69:72], v[27:28], off
	global_load_dwordx4 v[73:76], v[27:28], off offset:16
	s_clause 0x2
	global_load_dwordx4 v[77:80], v[59:60], off offset:16
	global_load_dwordx4 v[81:84], v[59:60], off offset:80
	;; [unrolled: 1-line block ×3, first 2 shown]
	s_clause 0x1
	global_load_dwordx4 v[89:92], v[27:28], off offset:32
	global_load_dwordx4 v[93:96], v[27:28], off offset:48
	v_cvt_f64_f32_e32 v[27:28], v15
	v_cvt_f64_f32_e32 v[15:16], v16
	;; [unrolled: 1-line block ×3, first 2 shown]
	v_add_co_u32 v59, vcc_lo, 0x1000, v59
	v_add_co_ci_u32_e64 v60, null, 0, v60, vcc_lo
	v_add_co_u32 v13, vcc_lo, v13, 1
	v_add_co_ci_u32_e64 v14, null, 0, v14, vcc_lo
	;; [unrolled: 2-line block ×3, first 2 shown]
	v_cmp_eq_u64_e32 vcc_lo, 0, v[13:14]
	s_or_b32 s8, vcc_lo, s8
	s_waitcnt vmcnt(6)
	v_fma_f64 v[45:46], v[27:28], v[69:70], v[45:46]
	v_fma_f64 v[39:40], v[15:16], v[69:70], v[39:40]
	v_fma_f64 v[53:54], v[97:98], v[69:70], v[53:54]
	v_fma_f64 v[43:44], v[23:24], v[69:70], v[43:44]
	v_fma_f64 v[51:52], v[99:100], v[69:70], v[51:52]
	v_fma_f64 v[49:50], v[65:66], v[69:70], v[49:50]
	v_fma_f64 v[41:42], v[101:102], v[69:70], v[41:42]
	v_fma_f64 v[47:48], v[61:62], v[69:70], v[47:48]
	v_cvt_f64_f32_e32 v[69:70], v17
	v_cvt_f64_f32_e32 v[17:18], v18
	v_fma_f64 v[15:16], -v[15:16], v[71:72], v[45:46]
	v_fma_f64 v[27:28], v[27:28], v[71:72], v[39:40]
	v_fma_f64 v[23:24], -v[23:24], v[71:72], v[53:54]
	v_fma_f64 v[39:40], v[97:98], v[71:72], v[43:44]
	;; [unrolled: 2-line block ×4, first 2 shown]
	s_waitcnt vmcnt(4)
	v_cvt_f64_f32_e32 v[49:50], v77
	v_cvt_f64_f32_e32 v[51:52], v78
	;; [unrolled: 1-line block ×4, first 2 shown]
	s_waitcnt vmcnt(3)
	v_cvt_f64_f32_e32 v[61:62], v81
	v_cvt_f64_f32_e32 v[65:66], v82
	s_waitcnt vmcnt(2)
	v_cvt_f64_f32_e32 v[71:72], v85
	v_cvt_f64_f32_e32 v[77:78], v88
	v_fma_f64 v[15:16], v[69:70], v[73:74], v[15:16]
	v_fma_f64 v[27:28], v[17:18], v[73:74], v[27:28]
	;; [unrolled: 1-line block ×8, first 2 shown]
	v_cvt_f64_f32_e32 v[73:74], v86
	v_fma_f64 v[15:16], -v[17:18], v[75:76], v[15:16]
	v_fma_f64 v[17:18], v[69:70], v[75:76], v[27:28]
	v_fma_f64 v[23:24], -v[25:26], v[75:76], v[23:24]
	v_fma_f64 v[25:26], v[103:104], v[75:76], v[39:40]
	;; [unrolled: 2-line block ×4, first 2 shown]
	v_cvt_f64_f32_e32 v[47:48], v79
	v_cvt_f64_f32_e32 v[45:46], v80
	;; [unrolled: 1-line block ×7, first 2 shown]
	s_waitcnt vmcnt(1)
	v_fma_f64 v[15:16], v[49:50], v[89:90], v[15:16]
	v_fma_f64 v[17:18], v[51:52], v[89:90], v[17:18]
	;; [unrolled: 1-line block ×8, first 2 shown]
	v_fma_f64 v[15:16], -v[51:52], v[91:92], v[15:16]
	v_fma_f64 v[17:18], v[49:50], v[91:92], v[17:18]
	v_fma_f64 v[19:20], -v[19:20], v[91:92], v[23:24]
	v_fma_f64 v[23:24], v[53:54], v[91:92], v[25:26]
	;; [unrolled: 2-line block ×4, first 2 shown]
	s_waitcnt vmcnt(0)
	v_fma_f64 v[15:16], v[47:48], v[93:94], v[15:16]
	v_fma_f64 v[17:18], v[45:46], v[93:94], v[17:18]
	;; [unrolled: 1-line block ×8, first 2 shown]
	v_fma_f64 v[45:46], -v[45:46], v[95:96], v[15:16]
	v_fma_f64 v[39:40], v[47:48], v[95:96], v[17:18]
	v_fma_f64 v[53:54], -v[21:22], v[95:96], v[19:20]
	v_fma_f64 v[43:44], v[63:64], v[95:96], v[23:24]
	;; [unrolled: 2-line block ×4, first 2 shown]
	s_andn2_b32 exec_lo, exec_lo, s8
	s_cbranch_execnz .LBB178_17
; %bb.18:
	s_or_b32 exec_lo, exec_lo, s8
.LBB178_19:
	s_or_b32 exec_lo, exec_lo, s7
	s_mov_b32 s7, exec_lo
	v_cmpx_lt_u64_e32 0x5f, v[9:10]
	s_cbranch_execz .LBB178_23
; %bb.20:
	v_lshlrev_b64 v[9:10], 3, v[57:58]
	s_mov_b32 s8, 0
	v_add_co_u32 v9, vcc_lo, s12, v9
	v_add_co_ci_u32_e64 v10, null, s13, v10, vcc_lo
	v_add_co_u32 v61, vcc_lo, 0x200, v9
	v_add_co_ci_u32_e64 v62, null, 0, v10, vcc_lo
.LBB178_21:                             ; =>This Inner Loop Header: Depth=1
	s_clause 0x1
	global_load_dwordx2 v[25:26], v[61:62], off offset:-512
	global_load_dwordx2 v[115:116], v[61:62], off offset:-256
	s_clause 0x3
	global_load_dwordx4 v[21:24], v[59:60], off
	global_load_dwordx4 v[17:20], v[59:60], off offset:32
	global_load_dwordx4 v[13:16], v[59:60], off offset:64
	;; [unrolled: 1-line block ×3, first 2 shown]
	s_clause 0x1
	global_load_dwordx2 v[63:64], v[61:62], off
	global_load_dwordx2 v[65:66], v[61:62], off offset:256
	s_waitcnt vmcnt(7)
	v_sub_co_u32 v25, vcc_lo, v25, v31
	v_sub_co_ci_u32_e64 v26, null, v26, v32, vcc_lo
	s_waitcnt vmcnt(5)
	v_cvt_f64_f32_e32 v[172:173], v21
	v_cvt_f64_f32_e32 v[21:22], v22
	s_waitcnt vmcnt(4)
	v_cvt_f64_f32_e32 v[176:177], v17
	v_lshlrev_b64 v[25:26], 6, v[25:26]
	v_cvt_f64_f32_e32 v[178:179], v18
	s_waitcnt vmcnt(3)
	v_cvt_f64_f32_e32 v[182:183], v13
	v_cvt_f64_f32_e32 v[13:14], v14
	s_waitcnt vmcnt(2)
	v_cvt_f64_f32_e32 v[184:185], v9
	v_cvt_f64_f32_e32 v[9:10], v10
	v_add_co_u32 v25, vcc_lo, s2, v25
	v_add_co_ci_u32_e64 v26, null, s3, v26, vcc_lo
	v_add_co_u32 v131, vcc_lo, 0x1000, v59
	v_add_co_ci_u32_e64 v132, null, 0, v60, vcc_lo
	s_clause 0x1
	global_load_dwordx4 v[67:70], v[25:26], off
	global_load_dwordx4 v[71:74], v[25:26], off offset:16
	s_clause 0x3
	global_load_dwordx4 v[75:78], v[59:60], off offset:16
	global_load_dwordx4 v[79:82], v[59:60], off offset:48
	;; [unrolled: 1-line block ×4, first 2 shown]
	s_clause 0x1
	global_load_dwordx4 v[91:94], v[25:26], off offset:32
	global_load_dwordx4 v[95:98], v[25:26], off offset:48
	s_clause 0x4
	global_load_dwordx4 v[99:102], v[131:132], off
	global_load_dwordx4 v[103:106], v[131:132], off offset:32
	global_load_dwordx4 v[107:110], v[131:132], off offset:64
	;; [unrolled: 1-line block ×4, first 2 shown]
	v_sub_co_u32 v115, vcc_lo, v115, v31
	v_sub_co_ci_u32_e64 v116, null, v116, v32, vcc_lo
	v_cvt_f64_f32_e32 v[180:181], v19
	v_cvt_f64_f32_e32 v[186:187], v20
	s_waitcnt vmcnt(14)
	v_sub_co_u32 v63, s1, v63, v31
	v_lshlrev_b64 v[115:116], 6, v[115:116]
	v_sub_co_ci_u32_e64 v64, null, v64, v32, s1
	v_cvt_f64_f32_e32 v[190:191], v12
	v_cvt_f64_f32_e32 v[174:175], v23
	v_cvt_f64_f32_e32 v[23:24], v24
	v_add_co_u32 v167, vcc_lo, s2, v115
	v_add_co_ci_u32_e64 v168, null, s3, v116, vcc_lo
	s_clause 0x1
	global_load_dwordx4 v[115:118], v[167:168], off
	global_load_dwordx4 v[119:122], v[167:168], off offset:16
	s_clause 0x2
	global_load_dwordx4 v[123:126], v[131:132], off offset:16
	global_load_dwordx4 v[127:130], v[131:132], off offset:48
	;; [unrolled: 1-line block ×4, first 2 shown]
	v_add_co_u32 v169, vcc_lo, 0x2000, v59
	v_add_co_ci_u32_e64 v170, null, 0, v60, vcc_lo
	s_clause 0x6
	global_load_dwordx4 v[139:142], v[169:170], off
	global_load_dwordx4 v[143:146], v[169:170], off offset:48
	global_load_dwordx4 v[147:150], v[169:170], off offset:32
	;; [unrolled: 1-line block ×7, first 2 shown]
	v_cvt_f64_f32_e32 v[167:168], v11
	v_lshlrev_b64 v[11:12], 6, v[63:64]
	v_cvt_f64_f32_e32 v[188:189], v15
	v_add_co_u32 v171, vcc_lo, 0x3000, v59
	v_add_co_u32 v63, s1, s2, v11
	v_add_co_ci_u32_e64 v64, null, s3, v12, s1
	v_add_co_u32 v59, s1, 0x4000, v59
	s_waitcnt vmcnt(26)
	v_fma_f64 v[45:46], v[172:173], v[67:68], v[45:46]
	v_fma_f64 v[39:40], v[21:22], v[67:68], v[39:40]
	;; [unrolled: 1-line block ×8, first 2 shown]
	v_cvt_f64_f32_e32 v[67:68], v16
	s_waitcnt vmcnt(21)
	v_cvt_f64_f32_e32 v[192:193], v89
	v_cvt_f64_f32_e32 v[89:90], v90
	v_fma_f64 v[15:16], -v[21:22], v[69:70], v[45:46]
	v_fma_f64 v[21:22], v[172:173], v[69:70], v[39:40]
	v_fma_f64 v[39:40], -v[178:179], v[69:70], v[53:54]
	v_fma_f64 v[43:44], v[176:177], v[69:70], v[43:44]
	;; [unrolled: 2-line block ×4, first 2 shown]
	global_load_dwordx4 v[9:12], v[63:64], off
	v_cvt_f64_f32_e32 v[69:70], v75
	v_cvt_f64_f32_e32 v[176:177], v87
	;; [unrolled: 1-line block ×3, first 2 shown]
	v_add_co_ci_u32_e64 v172, null, 0, v60, vcc_lo
	v_cvt_f64_f32_e32 v[184:185], v77
	v_add_co_ci_u32_e64 v60, null, 0, v60, s1
	v_fma_f64 v[49:50], v[174:175], v[71:72], v[15:16]
	v_fma_f64 v[21:22], v[23:24], v[71:72], v[21:22]
	;; [unrolled: 1-line block ×8, first 2 shown]
	global_load_dwordx4 v[13:16], v[169:170], off offset:16
	v_cvt_f64_f32_e32 v[71:72], v76
	v_cvt_f64_f32_e32 v[75:76], v79
	;; [unrolled: 1-line block ×5, first 2 shown]
	v_fma_f64 v[49:50], -v[23:24], v[73:74], v[49:50]
	v_fma_f64 v[53:54], v[174:175], v[73:74], v[21:22]
	v_fma_f64 v[173:174], -v[186:187], v[73:74], v[39:40]
	v_fma_f64 v[178:179], v[180:181], v[73:74], v[43:44]
	;; [unrolled: 2-line block ×4, first 2 shown]
	s_clause 0x1
	global_load_dwordx4 v[21:24], v[171:172], off
	global_load_dwordx4 v[39:42], v[171:172], off offset:48
	global_load_dwordx4 v[43:46], v[63:64], off offset:16
	v_cvt_f64_f32_e32 v[186:187], v78
	v_cvt_f64_f32_e32 v[188:189], v81
	;; [unrolled: 1-line block ×5, first 2 shown]
	s_waitcnt vmcnt(25)
	v_fma_f64 v[73:74], v[69:70], v[91:92], v[49:50]
	v_fma_f64 v[167:168], v[71:72], v[91:92], v[53:54]
	;; [unrolled: 1-line block ×8, first 2 shown]
	s_clause 0x1
	global_load_dwordx4 v[47:50], v[171:172], off offset:32
	global_load_dwordx4 v[51:54], v[171:172], off offset:96
	v_fma_f64 v[194:195], -v[71:72], v[93:94], v[73:74]
	v_fma_f64 v[167:168], v[69:70], v[93:94], v[167:168]
	v_fma_f64 v[79:80], -v[79:80], v[93:94], v[173:174]
	v_fma_f64 v[173:174], v[75:76], v[93:94], v[178:179]
	;; [unrolled: 2-line block ×4, first 2 shown]
	s_clause 0x1
	global_load_dwordx4 v[67:70], v[171:172], off offset:80
	global_load_dwordx4 v[71:74], v[171:172], off offset:64
	;; [unrolled: 1-line block ×3, first 2 shown]
	s_waitcnt vmcnt(28)
	v_cvt_f64_f32_e32 v[175:176], v99
	v_cvt_f64_f32_e32 v[99:100], v100
	s_waitcnt vmcnt(27)
	v_cvt_f64_f32_e32 v[177:178], v103
	v_cvt_f64_f32_e32 v[103:104], v104
	;; [unrolled: 3-line block ×4, first 2 shown]
	v_fma_f64 v[93:94], v[184:185], v[95:96], v[194:195]
	v_fma_f64 v[167:168], v[186:187], v[95:96], v[167:168]
	;; [unrolled: 1-line block ×8, first 2 shown]
	v_sub_co_u32 v95, vcc_lo, v65, v31
	v_sub_co_ci_u32_e64 v96, null, v66, v32, vcc_lo
	global_load_dwordx4 v[63:66], v[63:64], off offset:48
	v_lshlrev_b64 v[95:96], 6, v[95:96]
	v_add_co_u32 v95, vcc_lo, s2, v95
	v_fma_f64 v[93:94], -v[186:187], v[97:98], v[93:94]
	v_fma_f64 v[167:168], v[184:185], v[97:98], v[167:168]
	v_fma_f64 v[79:80], -v[81:82], v[97:98], v[79:80]
	v_fma_f64 v[81:82], v[188:189], v[97:98], v[173:174]
	;; [unrolled: 2-line block ×4, first 2 shown]
	v_cvt_f64_f32_e32 v[91:92], v101
	v_cvt_f64_f32_e32 v[101:102], v102
	v_cvt_f64_f32_e32 v[169:170], v113
	v_cvt_f64_f32_e32 v[113:114], v114
	v_add_co_ci_u32_e64 v96, null, s3, v96, vcc_lo
	v_add_co_u32 v57, vcc_lo, 0x80, v57
	v_add_co_ci_u32_e64 v58, null, 0, v58, vcc_lo
	v_add_co_u32 v61, vcc_lo, 0x400, v61
	v_add_co_ci_u32_e64 v62, null, 0, v62, vcc_lo
	s_waitcnt vmcnt(24)
	v_fma_f64 v[93:94], v[175:176], v[115:116], v[93:94]
	v_fma_f64 v[97:98], v[99:100], v[115:116], v[167:168]
	;; [unrolled: 1-line block ×8, first 2 shown]
	v_cvt_f64_f32_e32 v[115:116], v105
	v_cvt_f64_f32_e32 v[105:106], v106
	;; [unrolled: 1-line block ×4, first 2 shown]
	v_cmp_ge_i64_e32 vcc_lo, v[57:58], v[35:36]
	s_or_b32 s8, vcc_lo, s8
	v_fma_f64 v[93:94], -v[99:100], v[117:118], v[93:94]
	v_fma_f64 v[97:98], v[175:176], v[117:118], v[97:98]
	v_fma_f64 v[99:100], -v[103:104], v[117:118], v[79:80]
	v_fma_f64 v[103:104], v[177:178], v[117:118], v[81:82]
	;; [unrolled: 2-line block ×4, first 2 shown]
	global_load_dwordx4 v[79:82], v[95:96], off
	s_waitcnt vmcnt(23)
	v_cvt_f64_f32_e32 v[107:108], v123
	v_cvt_f64_f32_e32 v[111:112], v124
	s_waitcnt vmcnt(22)
	v_cvt_f64_f32_e32 v[117:118], v127
	s_waitcnt vmcnt(21)
	v_cvt_f64_f32_e32 v[123:124], v131
	v_fma_f64 v[93:94], v[91:92], v[119:120], v[93:94]
	v_fma_f64 v[97:98], v[101:102], v[119:120], v[97:98]
	;; [unrolled: 1-line block ×8, first 2 shown]
	v_cvt_f64_f32_e32 v[119:120], v128
	v_cvt_f64_f32_e32 v[127:128], v132
	;; [unrolled: 1-line block ×4, first 2 shown]
	v_fma_f64 v[93:94], -v[101:102], v[121:122], v[93:94]
	v_fma_f64 v[91:92], v[91:92], v[121:122], v[97:98]
	v_fma_f64 v[97:98], -v[105:106], v[121:122], v[99:100]
	v_fma_f64 v[99:100], v[115:116], v[121:122], v[103:104]
	;; [unrolled: 2-line block ×4, first 2 shown]
	global_load_dwordx4 v[83:86], v[95:96], off offset:16
	global_load_dwordx4 v[87:90], v[171:172], off offset:16
	v_cvt_f64_f32_e32 v[121:122], v125
	v_cvt_f64_f32_e32 v[125:126], v126
	v_cvt_f64_f32_e32 v[167:168], v133
	v_cvt_f64_f32_e32 v[133:134], v134
	v_cvt_f64_f32_e32 v[169:170], v27
	s_waitcnt vmcnt(22)
	v_fma_f64 v[113:114], v[107:108], v[135:136], v[93:94]
	v_fma_f64 v[115:116], v[111:112], v[135:136], v[91:92]
	;; [unrolled: 1-line block ×8, first 2 shown]
	global_load_dwordx4 v[91:94], v[171:172], off offset:112
	v_cvt_f64_f32_e32 v[135:136], v129
	v_cvt_f64_f32_e32 v[129:130], v130
	;; [unrolled: 1-line block ×3, first 2 shown]
	v_fma_f64 v[111:112], -v[111:112], v[137:138], v[113:114]
	v_fma_f64 v[107:108], v[107:108], v[137:138], v[115:116]
	v_fma_f64 v[97:98], -v[119:120], v[137:138], v[97:98]
	v_fma_f64 v[99:100], v[117:118], v[137:138], v[99:100]
	;; [unrolled: 2-line block ×4, first 2 shown]
	global_load_dwordx4 v[25:28], v[95:96], off offset:32
	s_waitcnt vmcnt(23)
	v_cvt_f64_f32_e32 v[113:114], v140
	s_waitcnt vmcnt(21)
	v_cvt_f64_f32_e32 v[115:116], v147
	v_cvt_f64_f32_e32 v[117:118], v148
	s_waitcnt vmcnt(17)
	v_cvt_f64_f32_e32 v[119:120], v163
	v_cvt_f64_f32_e32 v[123:124], v164
	;; [unrolled: 1-line block ×5, first 2 shown]
	s_waitcnt vmcnt(16)
	v_fma_f64 v[111:112], v[121:122], v[17:18], v[111:112]
	v_fma_f64 v[107:108], v[125:126], v[17:18], v[107:108]
	;; [unrolled: 1-line block ×8, first 2 shown]
	v_cvt_f64_f32_e32 v[109:110], v139
	v_cvt_f64_f32_e32 v[139:140], v158
	v_fma_f64 v[111:112], -v[125:126], v[19:20], v[111:112]
	v_fma_f64 v[107:108], v[121:122], v[19:20], v[107:108]
	v_fma_f64 v[97:98], -v[129:130], v[19:20], v[97:98]
	v_fma_f64 v[99:100], v[135:136], v[19:20], v[99:100]
	;; [unrolled: 2-line block ×4, first 2 shown]
	global_load_dwordx4 v[17:20], v[95:96], off offset:48
	v_cvt_f64_f32_e32 v[125:126], v149
	v_cvt_f64_f32_e32 v[129:130], v150
	v_cvt_f64_f32_e32 v[133:134], v165
	v_cvt_f64_f32_e32 v[135:136], v166
	s_waitcnt vmcnt(16)
	v_fma_f64 v[95:96], v[109:110], v[9:10], v[111:112]
	v_fma_f64 v[107:108], v[113:114], v[9:10], v[107:108]
	;; [unrolled: 1-line block ×8, first 2 shown]
	v_cvt_f64_f32_e32 v[111:112], v141
	v_cvt_f64_f32_e32 v[121:122], v142
	v_fma_f64 v[95:96], -v[113:114], v[11:12], v[95:96]
	v_fma_f64 v[107:108], v[109:110], v[11:12], v[107:108]
	v_fma_f64 v[97:98], -v[117:118], v[11:12], v[97:98]
	v_fma_f64 v[99:100], v[115:116], v[11:12], v[99:100]
	;; [unrolled: 2-line block ×4, first 2 shown]
	v_cvt_f64_f32_e32 v[109:110], v144
	v_cvt_f64_f32_e32 v[113:114], v159
	;; [unrolled: 1-line block ×7, first 2 shown]
	s_waitcnt vmcnt(12)
	v_fma_f64 v[11:12], v[111:112], v[43:44], v[95:96]
	v_fma_f64 v[95:96], v[121:122], v[43:44], v[107:108]
	;; [unrolled: 1-line block ×8, first 2 shown]
	v_cvt_f64_f32_e32 v[43:44], v13
	v_cvt_f64_f32_e32 v[13:14], v14
	;; [unrolled: 1-line block ×3, first 2 shown]
	v_fma_f64 v[11:12], -v[121:122], v[45:46], v[11:12]
	v_fma_f64 v[95:96], v[111:112], v[45:46], v[95:96]
	v_fma_f64 v[97:98], -v[129:130], v[45:46], v[97:98]
	v_fma_f64 v[99:100], v[125:126], v[45:46], v[99:100]
	;; [unrolled: 2-line block ×4, first 2 shown]
	v_cvt_f64_f32_e32 v[111:112], v146
	v_cvt_f64_f32_e32 v[121:122], v161
	;; [unrolled: 1-line block ×3, first 2 shown]
	s_waitcnt vmcnt(7)
	v_fma_f64 v[11:12], v[43:44], v[75:76], v[11:12]
	v_fma_f64 v[45:46], v[13:14], v[75:76], v[95:96]
	;; [unrolled: 1-line block ×8, first 2 shown]
	v_cvt_f64_f32_e32 v[75:76], v15
	v_cvt_f64_f32_e32 v[15:16], v16
	;; [unrolled: 1-line block ×3, first 2 shown]
	v_fma_f64 v[11:12], -v[13:14], v[77:78], v[11:12]
	v_fma_f64 v[13:14], v[43:44], v[77:78], v[45:46]
	v_fma_f64 v[43:44], -v[109:110], v[77:78], v[95:96]
	v_fma_f64 v[45:46], v[107:108], v[77:78], v[97:98]
	;; [unrolled: 2-line block ×4, first 2 shown]
	v_cvt_f64_f32_e32 v[101:102], v71
	v_cvt_f64_f32_e32 v[71:72], v72
	;; [unrolled: 1-line block ×4, first 2 shown]
	s_waitcnt vmcnt(6)
	v_fma_f64 v[11:12], v[75:76], v[63:64], v[11:12]
	v_fma_f64 v[13:14], v[15:16], v[63:64], v[13:14]
	;; [unrolled: 1-line block ×8, first 2 shown]
	v_cvt_f64_f32_e32 v[63:64], v21
	v_cvt_f64_f32_e32 v[21:22], v22
	;; [unrolled: 1-line block ×4, first 2 shown]
	v_fma_f64 v[11:12], -v[15:16], v[65:66], v[11:12]
	v_fma_f64 v[13:14], v[75:76], v[65:66], v[13:14]
	v_fma_f64 v[15:16], -v[111:112], v[65:66], v[43:44]
	v_fma_f64 v[43:44], v[105:106], v[65:66], v[45:46]
	;; [unrolled: 2-line block ×4, first 2 shown]
	v_cvt_f64_f32_e32 v[95:96], v73
	v_cvt_f64_f32_e32 v[73:74], v74
	;; [unrolled: 1-line block ×4, first 2 shown]
	s_waitcnt vmcnt(5)
	v_fma_f64 v[11:12], v[63:64], v[79:80], v[11:12]
	v_fma_f64 v[13:14], v[21:22], v[79:80], v[13:14]
	;; [unrolled: 1-line block ×8, first 2 shown]
	v_cvt_f64_f32_e32 v[77:78], v23
	v_cvt_f64_f32_e32 v[23:24], v24
	;; [unrolled: 1-line block ×4, first 2 shown]
	v_fma_f64 v[11:12], -v[21:22], v[81:82], v[11:12]
	v_fma_f64 v[13:14], v[63:64], v[81:82], v[13:14]
	v_fma_f64 v[15:16], -v[47:48], v[81:82], v[15:16]
	v_fma_f64 v[21:22], v[99:100], v[81:82], v[43:44]
	;; [unrolled: 2-line block ×4, first 2 shown]
	v_cvt_f64_f32_e32 v[65:66], v39
	v_cvt_f64_f32_e32 v[39:40], v40
	;; [unrolled: 1-line block ×4, first 2 shown]
	s_waitcnt vmcnt(3)
	v_cvt_f64_f32_e32 v[51:52], v87
	v_cvt_f64_f32_e32 v[63:64], v88
	v_fma_f64 v[11:12], v[77:78], v[83:84], v[11:12]
	v_fma_f64 v[13:14], v[23:24], v[83:84], v[13:14]
	;; [unrolled: 1-line block ×8, first 2 shown]
	s_waitcnt vmcnt(2)
	v_cvt_f64_f32_e32 v[75:76], v91
	v_cvt_f64_f32_e32 v[81:82], v92
	v_fma_f64 v[11:12], -v[23:24], v[85:86], v[11:12]
	v_fma_f64 v[13:14], v[77:78], v[85:86], v[13:14]
	v_fma_f64 v[15:16], -v[49:50], v[85:86], v[15:16]
	v_fma_f64 v[21:22], v[79:80], v[85:86], v[21:22]
	;; [unrolled: 2-line block ×4, first 2 shown]
	v_cvt_f64_f32_e32 v[47:48], v90
	v_cvt_f64_f32_e32 v[49:50], v41
	;; [unrolled: 1-line block ×7, first 2 shown]
	s_waitcnt vmcnt(1)
	v_fma_f64 v[11:12], v[51:52], v[25:26], v[11:12]
	v_fma_f64 v[13:14], v[63:64], v[25:26], v[13:14]
	;; [unrolled: 1-line block ×8, first 2 shown]
	v_cvt_f64_f32_e32 v[25:26], v89
	v_fma_f64 v[11:12], -v[63:64], v[27:28], v[11:12]
	v_fma_f64 v[13:14], v[51:52], v[27:28], v[13:14]
	v_fma_f64 v[15:16], -v[39:40], v[27:28], v[15:16]
	v_fma_f64 v[21:22], v[65:66], v[27:28], v[21:22]
	v_fma_f64 v[23:24], -v[67:68], v[27:28], v[23:24]
	v_fma_f64 v[39:40], v[71:72], v[27:28], v[43:44]
	v_fma_f64 v[43:44], -v[81:82], v[27:28], v[45:46]
	v_fma_f64 v[9:10], v[75:76], v[27:28], v[9:10]
	s_waitcnt vmcnt(0)
	v_fma_f64 v[11:12], v[25:26], v[17:18], v[11:12]
	v_fma_f64 v[13:14], v[47:48], v[17:18], v[13:14]
	;; [unrolled: 1-line block ×8, first 2 shown]
	v_fma_f64 v[45:46], -v[47:48], v[19:20], v[11:12]
	v_fma_f64 v[39:40], v[25:26], v[19:20], v[13:14]
	v_fma_f64 v[53:54], -v[41:42], v[19:20], v[15:16]
	v_fma_f64 v[43:44], v[49:50], v[19:20], v[21:22]
	;; [unrolled: 2-line block ×4, first 2 shown]
	s_andn2_b32 exec_lo, exec_lo, s8
	s_cbranch_execnz .LBB178_21
; %bb.22:
	s_or_b32 exec_lo, exec_lo, s8
.LBB178_23:
	s_or_b32 exec_lo, exec_lo, s7
.LBB178_24:
	s_or_b32 exec_lo, exec_lo, s6
	s_cbranch_execz .LBB178_26
	s_branch .LBB178_37
.LBB178_25:
                                        ; implicit-def: $vgpr39_vgpr40
                                        ; implicit-def: $vgpr45_vgpr46
                                        ; implicit-def: $vgpr43_vgpr44
                                        ; implicit-def: $vgpr53_vgpr54
                                        ; implicit-def: $vgpr49_vgpr50
                                        ; implicit-def: $vgpr51_vgpr52
                                        ; implicit-def: $vgpr47_vgpr48
                                        ; implicit-def: $vgpr41_vgpr42
.LBB178_26:
	v_mov_b32_e32 v39, 0
	v_mov_b32_e32 v45, 0
	;; [unrolled: 1-line block ×16, first 2 shown]
	s_and_saveexec_b32 s1, s0
	s_cbranch_execz .LBB178_36
; %bb.27:
	v_or_b32_e32 v9, 32, v0
	v_not_b32_e32 v13, v55
	v_sub_co_u32 v14, s0, v31, v0
	v_not_b32_e32 v11, v56
	v_sub_co_u32 v9, vcc_lo, v9, v31
	v_sub_co_ci_u32_e64 v10, null, 0, v32, vcc_lo
	v_subrev_co_ci_u32_e64 v15, null, 0, v32, s0
	v_add_co_u32 v9, vcc_lo, v9, v55
	v_add_co_ci_u32_e64 v10, null, v10, v56, vcc_lo
	v_add_co_u32 v13, s0, v14, v13
	v_add_co_ci_u32_e64 v11, null, v15, v11, s0
	v_cmp_gt_i64_e32 vcc_lo, v[9:10], v[35:36]
	v_mov_b32_e32 v41, 0
	v_mov_b32_e32 v47, 0
	v_mov_b32_e32 v51, 0
	v_mov_b32_e32 v49, 0
	v_mov_b32_e32 v53, 0
	v_cndmask_b32_e32 v9, v35, v9, vcc_lo
	v_cndmask_b32_e32 v10, v36, v10, vcc_lo
	v_mov_b32_e32 v43, 0
	v_mov_b32_e32 v45, 0
	;; [unrolled: 1-line block ×3, first 2 shown]
	v_add_co_u32 v9, vcc_lo, v13, v9
	v_mov_b32_e32 v12, 0
	v_mov_b32_e32 v42, 0
	;; [unrolled: 1-line block ×4, first 2 shown]
	v_add_co_ci_u32_e64 v10, null, v11, v10, vcc_lo
	v_and_b32_e32 v11, 0x60, v9
	v_mov_b32_e32 v50, 0
	v_mov_b32_e32 v54, 0
	;; [unrolled: 1-line block ×5, first 2 shown]
	s_mov_b32 s6, exec_lo
	v_cmpx_ne_u64_e32 0x60, v[11:12]
	s_cbranch_execz .LBB178_31
; %bb.28:
	v_lshrrev_b32_e32 v13, 5, v9
	v_lshlrev_b64 v[11:12], 3, v[33:34]
	v_mov_b32_e32 v39, 0
	v_mov_b32_e32 v45, 0
	;; [unrolled: 1-line block ×3, first 2 shown]
	v_add_nc_u32_e32 v13, 1, v13
	v_mov_b32_e32 v53, 0
	v_add_co_u32 v11, vcc_lo, s12, v11
	v_mov_b32_e32 v49, 0
	v_and_b32_e32 v13, 3, v13
	v_mov_b32_e32 v51, 0
	v_mov_b32_e32 v47, 0
	;; [unrolled: 1-line block ×4, first 2 shown]
	v_sub_co_u32 v13, s0, 0, v13
	v_mov_b32_e32 v46, 0
	v_mov_b32_e32 v44, 0
	v_add_co_ci_u32_e64 v12, null, s13, v12, vcc_lo
	v_mov_b32_e32 v54, 0
	v_mov_b32_e32 v50, 0
	;; [unrolled: 1-line block ×5, first 2 shown]
	v_sub_co_ci_u32_e64 v14, null, 0, 0, s0
	s_mov_b32 s7, 0
.LBB178_29:                             ; =>This Inner Loop Header: Depth=1
	global_load_dwordx2 v[23:24], v[11:12], off
	s_clause 0x1
	global_load_dwordx4 v[15:18], v[37:38], off offset:16
	global_load_dwordx4 v[19:22], v[37:38], off
	v_add_co_u32 v11, s0, 0x100, v11
	v_add_co_ci_u32_e64 v12, null, 0, v12, s0
	s_waitcnt vmcnt(2)
	v_sub_co_u32 v23, vcc_lo, v23, v31
	v_sub_co_ci_u32_e64 v24, null, v24, v32, vcc_lo
	s_waitcnt vmcnt(0)
	v_cvt_f64_f32_e32 v[91:92], v21
	v_cvt_f64_f32_e32 v[21:22], v22
	;; [unrolled: 1-line block ×3, first 2 shown]
	v_lshlrev_b64 v[23:24], 6, v[23:24]
	v_cvt_f64_f32_e32 v[15:16], v16
	v_cvt_f64_f32_e32 v[95:96], v17
	;; [unrolled: 1-line block ×3, first 2 shown]
	v_add_co_u32 v27, vcc_lo, s2, v23
	v_add_co_ci_u32_e64 v28, null, s3, v24, vcc_lo
	global_load_dwordx4 v[23:26], v[27:28], off
	s_clause 0x1
	global_load_dwordx4 v[55:58], v[37:38], off offset:32
	global_load_dwordx4 v[59:62], v[37:38], off offset:48
	global_load_dwordx4 v[63:66], v[27:28], off offset:16
	s_clause 0x1
	global_load_dwordx4 v[67:70], v[37:38], off offset:64
	global_load_dwordx4 v[71:74], v[37:38], off offset:80
	global_load_dwordx4 v[75:78], v[27:28], off offset:32
	;; [unrolled: 4-line block ×3, first 2 shown]
	v_cvt_f64_f32_e32 v[27:28], v19
	v_cvt_f64_f32_e32 v[19:20], v20
	v_add_co_u32 v37, vcc_lo, 0x1000, v37
	v_add_co_ci_u32_e64 v38, null, 0, v38, vcc_lo
	v_add_co_u32 v13, vcc_lo, v13, 1
	v_add_co_ci_u32_e64 v14, null, 0, v14, vcc_lo
	;; [unrolled: 2-line block ×3, first 2 shown]
	v_cmp_eq_u64_e32 vcc_lo, 0, v[13:14]
	s_or_b32 s7, vcc_lo, s7
	s_waitcnt vmcnt(9)
	v_fma_f64 v[45:46], v[27:28], v[23:24], v[45:46]
	v_fma_f64 v[39:40], v[19:20], v[23:24], v[39:40]
	;; [unrolled: 1-line block ×8, first 2 shown]
	s_waitcnt vmcnt(8)
	v_cvt_f64_f32_e32 v[47:48], v55
	v_cvt_f64_f32_e32 v[55:56], v56
	;; [unrolled: 1-line block ×4, first 2 shown]
	s_waitcnt vmcnt(7)
	v_cvt_f64_f32_e32 v[99:100], v59
	v_cvt_f64_f32_e32 v[59:60], v60
	;; [unrolled: 1-line block ×4, first 2 shown]
	v_fma_f64 v[19:20], -v[19:20], v[25:26], v[45:46]
	v_fma_f64 v[27:28], v[27:28], v[25:26], v[39:40]
	v_fma_f64 v[21:22], -v[21:22], v[25:26], v[53:54]
	v_fma_f64 v[39:40], v[91:92], v[25:26], v[43:44]
	v_fma_f64 v[15:16], -v[15:16], v[25:26], v[51:52]
	v_fma_f64 v[43:44], v[93:94], v[25:26], v[49:50]
	v_fma_f64 v[17:18], -v[17:18], v[25:26], v[41:42]
	v_fma_f64 v[23:24], v[95:96], v[25:26], v[23:24]
	s_waitcnt vmcnt(5)
	v_cvt_f64_f32_e32 v[41:42], v67
	v_cvt_f64_f32_e32 v[45:46], v69
	;; [unrolled: 1-line block ×3, first 2 shown]
	s_waitcnt vmcnt(4)
	v_cvt_f64_f32_e32 v[51:52], v71
	v_cvt_f64_f32_e32 v[53:54], v72
	s_waitcnt vmcnt(1)
	v_cvt_f64_f32_e32 v[69:70], v85
	v_cvt_f64_f32_e32 v[71:72], v86
	v_fma_f64 v[19:20], v[47:48], v[63:64], v[19:20]
	v_fma_f64 v[25:26], v[55:56], v[63:64], v[27:28]
	;; [unrolled: 1-line block ×8, first 2 shown]
	v_cvt_f64_f32_e32 v[43:44], v68
	v_cvt_f64_f32_e32 v[63:64], v73
	;; [unrolled: 1-line block ×3, first 2 shown]
	v_fma_f64 v[19:20], -v[55:56], v[65:66], v[19:20]
	v_fma_f64 v[25:26], v[47:48], v[65:66], v[25:26]
	v_fma_f64 v[21:22], -v[57:58], v[65:66], v[21:22]
	v_fma_f64 v[27:28], v[97:98], v[65:66], v[27:28]
	;; [unrolled: 2-line block ×4, first 2 shown]
	v_cvt_f64_f32_e32 v[47:48], v79
	v_cvt_f64_f32_e32 v[55:56], v80
	;; [unrolled: 1-line block ×6, first 2 shown]
	v_fma_f64 v[19:20], v[41:42], v[75:76], v[19:20]
	v_fma_f64 v[25:26], v[43:44], v[75:76], v[25:26]
	;; [unrolled: 1-line block ×8, first 2 shown]
	v_fma_f64 v[19:20], -v[43:44], v[77:78], v[19:20]
	v_fma_f64 v[25:26], v[41:42], v[77:78], v[25:26]
	v_fma_f64 v[21:22], -v[49:50], v[77:78], v[21:22]
	v_fma_f64 v[27:28], v[45:46], v[77:78], v[27:28]
	;; [unrolled: 2-line block ×4, first 2 shown]
	s_waitcnt vmcnt(0)
	v_fma_f64 v[19:20], v[47:48], v[87:88], v[19:20]
	v_fma_f64 v[25:26], v[55:56], v[87:88], v[25:26]
	;; [unrolled: 1-line block ×8, first 2 shown]
	v_fma_f64 v[45:46], -v[55:56], v[89:90], v[19:20]
	v_fma_f64 v[39:40], v[47:48], v[89:90], v[25:26]
	v_fma_f64 v[53:54], -v[59:60], v[89:90], v[21:22]
	v_fma_f64 v[43:44], v[57:58], v[89:90], v[27:28]
	;; [unrolled: 2-line block ×4, first 2 shown]
	s_andn2_b32 exec_lo, exec_lo, s7
	s_cbranch_execnz .LBB178_29
; %bb.30:
	s_or_b32 exec_lo, exec_lo, s7
.LBB178_31:
	s_or_b32 exec_lo, exec_lo, s6
	s_mov_b32 s6, exec_lo
	v_cmpx_lt_u64_e32 0x5f, v[9:10]
	s_cbranch_execz .LBB178_35
; %bb.32:
	v_lshlrev_b64 v[9:10], 3, v[33:34]
	s_mov_b32 s7, 0
	v_add_co_u32 v9, vcc_lo, s12, v9
	v_add_co_ci_u32_e64 v10, null, s13, v10, vcc_lo
	v_add_co_u32 v21, vcc_lo, 0x200, v9
	v_add_co_ci_u32_e64 v22, null, 0, v10, vcc_lo
.LBB178_33:                             ; =>This Inner Loop Header: Depth=1
	s_clause 0x1
	global_load_dwordx2 v[23:24], v[21:22], off offset:-512
	global_load_dwordx2 v[27:28], v[21:22], off offset:-256
	s_clause 0x2
	global_load_dwordx4 v[17:20], v[37:38], off
	global_load_dwordx4 v[13:16], v[37:38], off offset:16
	global_load_dwordx4 v[9:12], v[37:38], off offset:32
	s_clause 0x1
	global_load_dwordx2 v[139:140], v[21:22], off
	global_load_dwordx2 v[141:142], v[21:22], off offset:256
	s_waitcnt vmcnt(6)
	v_sub_co_u32 v23, vcc_lo, v23, v31
	v_sub_co_ci_u32_e64 v24, null, v24, v32, vcc_lo
	s_waitcnt vmcnt(4)
	v_cvt_f64_f32_e32 v[147:148], v17
	v_cvt_f64_f32_e32 v[17:18], v18
	;; [unrolled: 1-line block ×3, first 2 shown]
	v_lshlrev_b64 v[23:24], 6, v[23:24]
	v_cvt_f64_f32_e32 v[19:20], v20
	s_waitcnt vmcnt(3)
	v_cvt_f64_f32_e32 v[151:152], v13
	v_cvt_f64_f32_e32 v[153:154], v14
	;; [unrolled: 1-line block ×4, first 2 shown]
	v_add_co_u32 v87, vcc_lo, s2, v23
	v_add_co_ci_u32_e64 v88, null, s3, v24, vcc_lo
	v_add_co_u32 v127, vcc_lo, 0x1000, v37
	v_add_co_ci_u32_e64 v128, null, 0, v38, vcc_lo
	global_load_dwordx4 v[23:26], v[87:88], off
	global_load_dwordx4 v[55:58], v[37:38], off offset:48
	global_load_dwordx4 v[59:62], v[87:88], off offset:16
	s_clause 0x1
	global_load_dwordx4 v[63:66], v[37:38], off offset:64
	global_load_dwordx4 v[67:70], v[37:38], off offset:80
	;; [unrolled: 1-line block ×3, first 2 shown]
	s_clause 0x2
	global_load_dwordx4 v[75:78], v[37:38], off offset:96
	global_load_dwordx4 v[79:82], v[37:38], off offset:112
	global_load_dwordx4 v[83:86], v[127:128], off
	global_load_dwordx4 v[87:90], v[87:88], off offset:48
	global_load_dwordx4 v[91:94], v[127:128], off offset:16
	v_sub_co_u32 v27, vcc_lo, v27, v31
	v_sub_co_ci_u32_e64 v28, null, v28, v32, vcc_lo
	s_waitcnt vmcnt(13)
	v_cvt_f64_f32_e32 v[159:160], v9
	v_cvt_f64_f32_e32 v[161:162], v10
	v_cvt_f64_f32_e32 v[163:164], v11
	v_lshlrev_b64 v[27:28], 6, v[27:28]
	v_cvt_f64_f32_e32 v[165:166], v12
	v_add_co_u32 v27, vcc_lo, s2, v27
	v_add_co_ci_u32_e64 v28, null, s3, v28, vcc_lo
	global_load_dwordx4 v[95:98], v[27:28], off
	s_clause 0x1
	global_load_dwordx4 v[99:102], v[127:128], off offset:32
	global_load_dwordx4 v[103:106], v[127:128], off offset:48
	;; [unrolled: 1-line block ×3, first 2 shown]
	s_clause 0x1
	global_load_dwordx4 v[111:114], v[127:128], off offset:64
	global_load_dwordx4 v[115:118], v[127:128], off offset:80
	global_load_dwordx4 v[119:122], v[27:28], off offset:32
	v_add_co_u32 v143, vcc_lo, 0x2000, v37
	v_add_co_ci_u32_e64 v144, null, 0, v38, vcc_lo
	s_clause 0x3
	global_load_dwordx4 v[123:126], v[127:128], off offset:96
	global_load_dwordx4 v[127:130], v[127:128], off offset:112
	global_load_dwordx4 v[131:134], v[143:144], off
	global_load_dwordx4 v[135:138], v[143:144], off offset:16
	global_load_dwordx4 v[9:12], v[27:28], off offset:48
	v_add_co_u32 v145, vcc_lo, 0x3000, v37
	v_add_co_ci_u32_e64 v146, null, 0, v38, vcc_lo
	s_waitcnt vmcnt(24)
	v_sub_co_u32 v139, vcc_lo, v139, v31
	v_sub_co_ci_u32_e64 v140, null, v140, v32, vcc_lo
	v_add_co_u32 v37, s0, 0x4000, v37
	v_add_co_ci_u32_e64 v38, null, 0, v38, s0
	s_waitcnt vmcnt(22)
	v_fma_f64 v[13:14], v[147:148], v[23:24], v[45:46]
	v_fma_f64 v[27:28], v[17:18], v[23:24], v[39:40]
	;; [unrolled: 1-line block ×8, first 2 shown]
	v_lshlrev_b64 v[53:54], 6, v[139:140]
	s_waitcnt vmcnt(21)
	v_cvt_f64_f32_e32 v[167:168], v55
	v_cvt_f64_f32_e32 v[55:56], v56
	;; [unrolled: 1-line block ×4, first 2 shown]
	s_waitcnt vmcnt(19)
	v_cvt_f64_f32_e32 v[51:52], v64
	v_add_co_u32 v139, vcc_lo, s2, v53
	v_add_co_ci_u32_e64 v140, null, s3, v54, vcc_lo
	v_sub_co_u32 v141, vcc_lo, v141, v31
	v_sub_co_ci_u32_e64 v142, null, v142, v32, vcc_lo
	v_fma_f64 v[47:48], -v[17:18], v[25:26], v[13:14]
	v_fma_f64 v[27:28], v[147:148], v[25:26], v[27:28]
	v_fma_f64 v[39:40], -v[19:20], v[25:26], v[39:40]
	v_fma_f64 v[43:44], v[149:150], v[25:26], v[43:44]
	v_cvt_f64_f32_e32 v[147:148], v63
	v_fma_f64 v[45:46], -v[153:154], v[25:26], v[45:46]
	v_fma_f64 v[49:50], v[151:152], v[25:26], v[49:50]
	v_fma_f64 v[41:42], -v[157:158], v[25:26], v[41:42]
	v_fma_f64 v[63:64], v[155:156], v[25:26], v[23:24]
	global_load_dwordx4 v[23:26], v[139:140], off
	s_clause 0x1
	global_load_dwordx4 v[13:16], v[143:144], off offset:32
	global_load_dwordx4 v[17:20], v[143:144], off offset:48
	s_waitcnt vmcnt(21)
	v_cvt_f64_f32_e32 v[155:156], v67
	v_cvt_f64_f32_e32 v[67:68], v68
	;; [unrolled: 1-line block ×4, first 2 shown]
	v_lshlrev_b64 v[141:142], 6, v[141:142]
	v_add_co_u32 v141, vcc_lo, s2, v141
	v_fma_f64 v[47:48], v[159:160], v[59:60], v[47:48]
	v_fma_f64 v[27:28], v[161:162], v[59:60], v[27:28]
	;; [unrolled: 1-line block ×8, first 2 shown]
	v_cvt_f64_f32_e32 v[63:64], v65
	v_cvt_f64_f32_e32 v[65:66], v66
	s_clause 0x1
	global_load_dwordx4 v[39:42], v[143:144], off offset:64
	global_load_dwordx4 v[43:46], v[143:144], off offset:80
	v_add_co_ci_u32_e64 v142, null, s3, v142, vcc_lo
	v_add_co_u32 v33, vcc_lo, 0x80, v33
	v_add_co_ci_u32_e64 v34, null, 0, v34, vcc_lo
	v_add_co_u32 v21, vcc_lo, 0x400, v21
	v_add_co_ci_u32_e64 v22, null, 0, v22, vcc_lo
	v_fma_f64 v[161:162], -v[161:162], v[61:62], v[47:48]
	v_fma_f64 v[27:28], v[159:160], v[61:62], v[27:28]
	v_fma_f64 v[53:54], -v[165:166], v[61:62], v[53:54]
	v_fma_f64 v[149:150], v[163:164], v[61:62], v[149:150]
	;; [unrolled: 2-line block ×4, first 2 shown]
	global_load_dwordx4 v[47:50], v[139:140], off offset:16
	s_waitcnt vmcnt(22)
	v_cvt_f64_f32_e32 v[153:154], v75
	v_cvt_f64_f32_e32 v[75:76], v76
	s_waitcnt vmcnt(21)
	v_cvt_f64_f32_e32 v[165:166], v79
	v_cvt_f64_f32_e32 v[79:80], v80
	;; [unrolled: 1-line block ×4, first 2 shown]
	v_cmp_ge_i64_e32 vcc_lo, v[33:34], v[35:36]
	s_or_b32 s7, vcc_lo, s7
	v_fma_f64 v[61:62], v[147:148], v[71:72], v[161:162]
	v_fma_f64 v[27:28], v[51:52], v[71:72], v[27:28]
	;; [unrolled: 1-line block ×8, first 2 shown]
	v_cvt_f64_f32_e32 v[71:72], v77
	v_cvt_f64_f32_e32 v[77:78], v78
	global_load_dwordx4 v[55:58], v[143:144], off offset:96
	v_fma_f64 v[169:170], -v[51:52], v[73:74], v[61:62]
	global_load_dwordx4 v[51:54], v[143:144], off offset:112
	v_fma_f64 v[27:28], v[147:148], v[73:74], v[27:28]
	v_fma_f64 v[65:66], -v[65:66], v[73:74], v[159:160]
	v_fma_f64 v[63:64], v[63:64], v[73:74], v[149:150]
	v_fma_f64 v[67:68], -v[67:68], v[73:74], v[161:162]
	;; [unrolled: 2-line block ×3, first 2 shown]
	v_fma_f64 v[73:74], v[157:158], v[73:74], v[59:60]
	global_load_dwordx4 v[59:62], v[139:140], off offset:32
	s_waitcnt vmcnt(23)
	v_cvt_f64_f32_e32 v[147:148], v83
	v_cvt_f64_f32_e32 v[83:84], v84
	s_waitcnt vmcnt(21)
	v_cvt_f64_f32_e32 v[161:162], v91
	v_cvt_f64_f32_e32 v[91:92], v92
	v_cvt_f64_f32_e32 v[163:164], v93
	v_cvt_f64_f32_e32 v[93:94], v94
	v_fma_f64 v[149:150], v[153:154], v[87:88], v[169:170]
	v_fma_f64 v[27:28], v[75:76], v[87:88], v[27:28]
	;; [unrolled: 1-line block ×8, first 2 shown]
	v_cvt_f64_f32_e32 v[87:88], v85
	v_cvt_f64_f32_e32 v[85:86], v86
	s_clause 0x1
	global_load_dwordx4 v[63:66], v[145:146], off
	global_load_dwordx4 v[67:70], v[145:146], off offset:16
	v_fma_f64 v[75:76], -v[75:76], v[89:90], v[149:150]
	v_fma_f64 v[27:28], v[153:154], v[89:90], v[27:28]
	v_fma_f64 v[77:78], -v[77:78], v[89:90], v[151:152]
	v_fma_f64 v[149:150], v[71:72], v[89:90], v[155:156]
	;; [unrolled: 2-line block ×4, first 2 shown]
	global_load_dwordx4 v[71:74], v[139:140], off offset:48
	s_waitcnt vmcnt(22)
	v_cvt_f64_f32_e32 v[151:152], v99
	s_waitcnt vmcnt(21)
	v_cvt_f64_f32_e32 v[153:154], v105
	v_cvt_f64_f32_e32 v[105:106], v106
	s_waitcnt vmcnt(18)
	v_cvt_f64_f32_e32 v[155:156], v115
	v_cvt_f64_f32_e32 v[115:116], v116
	;; [unrolled: 1-line block ×4, first 2 shown]
	v_fma_f64 v[75:76], v[147:148], v[95:96], v[75:76]
	v_fma_f64 v[27:28], v[83:84], v[95:96], v[27:28]
	;; [unrolled: 1-line block ×8, first 2 shown]
	v_cvt_f64_f32_e32 v[95:96], v100
	v_cvt_f64_f32_e32 v[99:100], v101
	;; [unrolled: 1-line block ×5, first 2 shown]
	v_fma_f64 v[83:84], -v[83:84], v[97:98], v[75:76]
	v_fma_f64 v[27:28], v[147:148], v[97:98], v[27:28]
	v_fma_f64 v[85:86], -v[85:86], v[97:98], v[77:78]
	v_fma_f64 v[87:88], v[87:88], v[97:98], v[139:140]
	;; [unrolled: 2-line block ×4, first 2 shown]
	global_load_dwordx4 v[75:78], v[141:142], off
	global_load_dwordx4 v[79:82], v[145:146], off offset:32
	v_cvt_f64_f32_e32 v[147:148], v113
	v_cvt_f64_f32_e32 v[113:114], v114
	v_fma_f64 v[97:98], v[151:152], v[107:108], v[83:84]
	v_fma_f64 v[27:28], v[95:96], v[107:108], v[27:28]
	;; [unrolled: 1-line block ×8, first 2 shown]
	global_load_dwordx4 v[83:86], v[145:146], off offset:48
	v_cvt_f64_f32_e32 v[107:108], v111
	v_cvt_f64_f32_e32 v[111:112], v112
	v_fma_f64 v[95:96], -v[95:96], v[109:110], v[97:98]
	v_fma_f64 v[27:28], v[151:152], v[109:110], v[27:28]
	v_fma_f64 v[97:98], -v[101:102], v[109:110], v[143:144]
	v_fma_f64 v[99:100], v[99:100], v[109:110], v[87:88]
	;; [unrolled: 2-line block ×4, first 2 shown]
	global_load_dwordx4 v[87:90], v[141:142], off offset:16
	global_load_dwordx4 v[91:94], v[145:146], off offset:64
	s_waitcnt vmcnt(21)
	v_cvt_f64_f32_e32 v[149:150], v125
	v_cvt_f64_f32_e32 v[125:126], v126
	s_waitcnt vmcnt(20)
	v_cvt_f64_f32_e32 v[151:152], v127
	v_cvt_f64_f32_e32 v[127:128], v128
	;; [unrolled: 1-line block ×4, first 2 shown]
	v_fma_f64 v[139:140], v[107:108], v[119:120], v[95:96]
	v_fma_f64 v[27:28], v[111:112], v[119:120], v[27:28]
	;; [unrolled: 1-line block ×8, first 2 shown]
	global_load_dwordx4 v[95:98], v[145:146], off offset:80
	v_cvt_f64_f32_e32 v[119:120], v123
	v_cvt_f64_f32_e32 v[123:124], v124
	v_fma_f64 v[111:112], -v[111:112], v[121:122], v[139:140]
	v_fma_f64 v[27:28], v[107:108], v[121:122], v[27:28]
	v_fma_f64 v[113:114], -v[113:114], v[121:122], v[143:144]
	v_fma_f64 v[139:140], v[147:148], v[121:122], v[99:100]
	;; [unrolled: 2-line block ×4, first 2 shown]
	s_clause 0x1
	global_load_dwordx4 v[99:102], v[141:142], off offset:32
	global_load_dwordx4 v[103:106], v[141:142], off offset:48
	;; [unrolled: 1-line block ×3, first 2 shown]
	s_waitcnt vmcnt(22)
	v_cvt_f64_f32_e32 v[155:156], v135
	v_cvt_f64_f32_e32 v[135:136], v136
	;; [unrolled: 1-line block ×4, first 2 shown]
	s_waitcnt vmcnt(21)
	v_fma_f64 v[141:142], v[119:120], v[9:10], v[111:112]
	v_fma_f64 v[27:28], v[123:124], v[9:10], v[27:28]
	;; [unrolled: 1-line block ×8, first 2 shown]
	global_load_dwordx4 v[111:114], v[145:146], off offset:112
	v_cvt_f64_f32_e32 v[121:122], v131
	v_cvt_f64_f32_e32 v[131:132], v132
	;; [unrolled: 1-line block ×4, first 2 shown]
	v_fma_f64 v[123:124], -v[123:124], v[11:12], v[141:142]
	v_fma_f64 v[27:28], v[119:120], v[11:12], v[27:28]
	v_fma_f64 v[119:120], -v[125:126], v[11:12], v[147:148]
	v_fma_f64 v[125:126], v[149:150], v[11:12], v[139:140]
	;; [unrolled: 2-line block ×4, first 2 shown]
	s_waitcnt vmcnt(19)
	v_cvt_f64_f32_e32 v[129:130], v17
	v_fma_f64 v[11:12], v[121:122], v[23:24], v[123:124]
	v_cvt_f64_f32_e32 v[17:18], v18
	v_fma_f64 v[27:28], v[131:132], v[23:24], v[27:28]
	v_fma_f64 v[119:120], v[145:146], v[23:24], v[119:120]
	;; [unrolled: 1-line block ×7, first 2 shown]
	v_cvt_f64_f32_e32 v[23:24], v13
	v_cvt_f64_f32_e32 v[13:14], v14
	v_cvt_f64_f32_e32 v[127:128], v15
	v_cvt_f64_f32_e32 v[15:16], v16
	v_cvt_f64_f32_e32 v[139:140], v19
	v_cvt_f64_f32_e32 v[19:20], v20
	v_fma_f64 v[11:12], -v[131:132], v[25:26], v[11:12]
	s_waitcnt vmcnt(17)
	v_cvt_f64_f32_e32 v[131:132], v45
	v_fma_f64 v[27:28], v[121:122], v[25:26], v[27:28]
	v_fma_f64 v[119:120], -v[133:134], v[25:26], v[119:120]
	v_fma_f64 v[121:122], v[145:146], v[25:26], v[123:124]
	v_fma_f64 v[115:116], -v[135:136], v[25:26], v[115:116]
	;; [unrolled: 2-line block ×3, first 2 shown]
	v_fma_f64 v[9:10], v[157:158], v[25:26], v[9:10]
	v_cvt_f64_f32_e32 v[125:126], v43
	v_cvt_f64_f32_e32 v[43:44], v44
	;; [unrolled: 1-line block ×3, first 2 shown]
	s_waitcnt vmcnt(16)
	v_fma_f64 v[11:12], v[23:24], v[47:48], v[11:12]
	v_fma_f64 v[25:26], v[13:14], v[47:48], v[27:28]
	v_fma_f64 v[27:28], v[127:128], v[47:48], v[119:120]
	v_fma_f64 v[119:120], v[15:16], v[47:48], v[121:122]
	v_fma_f64 v[115:116], v[129:130], v[47:48], v[115:116]
	v_fma_f64 v[121:122], v[17:18], v[47:48], v[123:124]
	v_fma_f64 v[117:118], v[139:140], v[47:48], v[117:118]
	v_fma_f64 v[9:10], v[19:20], v[47:48], v[9:10]
	v_cvt_f64_f32_e32 v[47:48], v39
	v_cvt_f64_f32_e32 v[39:40], v40
	;; [unrolled: 1-line block ×4, first 2 shown]
	v_fma_f64 v[11:12], -v[13:14], v[49:50], v[11:12]
	v_fma_f64 v[13:14], v[23:24], v[49:50], v[25:26]
	v_fma_f64 v[15:16], -v[15:16], v[49:50], v[27:28]
	v_fma_f64 v[23:24], v[127:128], v[49:50], v[119:120]
	;; [unrolled: 2-line block ×4, first 2 shown]
	s_waitcnt vmcnt(15)
	v_cvt_f64_f32_e32 v[27:28], v55
	v_cvt_f64_f32_e32 v[49:50], v56
	;; [unrolled: 1-line block ×4, first 2 shown]
	s_waitcnt vmcnt(14)
	v_cvt_f64_f32_e32 v[115:116], v53
	v_cvt_f64_f32_e32 v[53:54], v54
	s_waitcnt vmcnt(13)
	v_fma_f64 v[11:12], v[47:48], v[59:60], v[11:12]
	v_fma_f64 v[13:14], v[39:40], v[59:60], v[13:14]
	;; [unrolled: 1-line block ×8, first 2 shown]
	v_cvt_f64_f32_e32 v[59:60], v51
	v_cvt_f64_f32_e32 v[51:52], v52
	v_fma_f64 v[11:12], -v[39:40], v[61:62], v[11:12]
	s_waitcnt vmcnt(12)
	v_cvt_f64_f32_e32 v[39:40], v63
	v_fma_f64 v[13:14], v[47:48], v[61:62], v[13:14]
	v_fma_f64 v[15:16], -v[41:42], v[61:62], v[15:16]
	v_fma_f64 v[23:24], v[123:124], v[61:62], v[23:24]
	v_fma_f64 v[17:18], -v[43:44], v[61:62], v[17:18]
	v_fma_f64 v[25:26], v[125:126], v[61:62], v[25:26]
	v_fma_f64 v[19:20], -v[45:46], v[61:62], v[19:20]
	v_fma_f64 v[9:10], v[131:132], v[61:62], v[9:10]
	v_cvt_f64_f32_e32 v[41:42], v64
	v_cvt_f64_f32_e32 v[43:44], v65
	;; [unrolled: 1-line block ×3, first 2 shown]
	s_waitcnt vmcnt(11)
	v_cvt_f64_f32_e32 v[47:48], v67
	v_cvt_f64_f32_e32 v[61:62], v68
	;; [unrolled: 1-line block ×4, first 2 shown]
	s_waitcnt vmcnt(10)
	v_fma_f64 v[11:12], v[27:28], v[71:72], v[11:12]
	v_fma_f64 v[13:14], v[49:50], v[71:72], v[13:14]
	v_fma_f64 v[15:16], v[55:56], v[71:72], v[15:16]
	v_fma_f64 v[23:24], v[57:58], v[71:72], v[23:24]
	v_fma_f64 v[17:18], v[59:60], v[71:72], v[17:18]
	v_fma_f64 v[25:26], v[51:52], v[71:72], v[25:26]
	v_fma_f64 v[19:20], v[115:116], v[71:72], v[19:20]
	v_fma_f64 v[9:10], v[53:54], v[71:72], v[9:10]
	v_fma_f64 v[11:12], -v[49:50], v[73:74], v[11:12]
	v_fma_f64 v[13:14], v[27:28], v[73:74], v[13:14]
	v_fma_f64 v[15:16], -v[57:58], v[73:74], v[15:16]
	v_fma_f64 v[23:24], v[55:56], v[73:74], v[23:24]
	;; [unrolled: 2-line block ×4, first 2 shown]
	s_waitcnt vmcnt(8)
	v_cvt_f64_f32_e32 v[27:28], v79
	v_fma_f64 v[11:12], v[39:40], v[75:76], v[11:12]
	v_cvt_f64_f32_e32 v[49:50], v80
	v_fma_f64 v[13:14], v[41:42], v[75:76], v[13:14]
	v_fma_f64 v[15:16], v[43:44], v[75:76], v[15:16]
	v_fma_f64 v[23:24], v[45:46], v[75:76], v[23:24]
	v_fma_f64 v[17:18], v[47:48], v[75:76], v[17:18]
	v_fma_f64 v[25:26], v[61:62], v[75:76], v[25:26]
	v_fma_f64 v[19:20], v[63:64], v[75:76], v[19:20]
	v_fma_f64 v[9:10], v[65:66], v[75:76], v[9:10]
	v_cvt_f64_f32_e32 v[51:52], v81
	v_cvt_f64_f32_e32 v[53:54], v82
	s_waitcnt vmcnt(7)
	v_cvt_f64_f32_e32 v[55:56], v83
	v_cvt_f64_f32_e32 v[57:58], v84
	;; [unrolled: 1-line block ×4, first 2 shown]
	v_fma_f64 v[11:12], -v[41:42], v[77:78], v[11:12]
	v_fma_f64 v[13:14], v[39:40], v[77:78], v[13:14]
	v_fma_f64 v[15:16], -v[45:46], v[77:78], v[15:16]
	v_fma_f64 v[23:24], v[43:44], v[77:78], v[23:24]
	;; [unrolled: 2-line block ×4, first 2 shown]
	s_waitcnt vmcnt(5)
	v_cvt_f64_f32_e32 v[39:40], v91
	v_cvt_f64_f32_e32 v[41:42], v92
	;; [unrolled: 1-line block ×4, first 2 shown]
	v_fma_f64 v[11:12], v[27:28], v[87:88], v[11:12]
	v_fma_f64 v[13:14], v[49:50], v[87:88], v[13:14]
	;; [unrolled: 1-line block ×8, first 2 shown]
	s_waitcnt vmcnt(4)
	v_cvt_f64_f32_e32 v[47:48], v95
	v_cvt_f64_f32_e32 v[61:62], v96
	;; [unrolled: 1-line block ×4, first 2 shown]
	v_fma_f64 v[11:12], -v[49:50], v[89:90], v[11:12]
	v_fma_f64 v[13:14], v[27:28], v[89:90], v[13:14]
	v_fma_f64 v[15:16], -v[53:54], v[89:90], v[15:16]
	v_fma_f64 v[23:24], v[51:52], v[89:90], v[23:24]
	v_fma_f64 v[17:18], -v[57:58], v[89:90], v[17:18]
	v_fma_f64 v[25:26], v[55:56], v[89:90], v[25:26]
	v_fma_f64 v[19:20], -v[67:68], v[89:90], v[19:20]
	v_fma_f64 v[9:10], v[59:60], v[89:90], v[9:10]
	s_waitcnt vmcnt(1)
	v_cvt_f64_f32_e32 v[27:28], v107
	v_cvt_f64_f32_e32 v[49:50], v108
	;; [unrolled: 1-line block ×4, first 2 shown]
	v_fma_f64 v[11:12], v[39:40], v[99:100], v[11:12]
	v_fma_f64 v[13:14], v[41:42], v[99:100], v[13:14]
	;; [unrolled: 1-line block ×8, first 2 shown]
	s_waitcnt vmcnt(0)
	v_cvt_f64_f32_e32 v[55:56], v111
	v_cvt_f64_f32_e32 v[57:58], v112
	;; [unrolled: 1-line block ×4, first 2 shown]
	v_fma_f64 v[11:12], -v[41:42], v[101:102], v[11:12]
	v_fma_f64 v[13:14], v[39:40], v[101:102], v[13:14]
	v_fma_f64 v[15:16], -v[45:46], v[101:102], v[15:16]
	v_fma_f64 v[23:24], v[43:44], v[101:102], v[23:24]
	;; [unrolled: 2-line block ×4, first 2 shown]
	v_fma_f64 v[11:12], v[27:28], v[103:104], v[11:12]
	v_fma_f64 v[13:14], v[49:50], v[103:104], v[13:14]
	;; [unrolled: 1-line block ×8, first 2 shown]
	v_fma_f64 v[45:46], -v[49:50], v[105:106], v[11:12]
	v_fma_f64 v[39:40], v[27:28], v[105:106], v[13:14]
	v_fma_f64 v[53:54], -v[53:54], v[105:106], v[15:16]
	v_fma_f64 v[43:44], v[51:52], v[105:106], v[23:24]
	;; [unrolled: 2-line block ×4, first 2 shown]
	s_andn2_b32 exec_lo, exec_lo, s7
	s_cbranch_execnz .LBB178_33
; %bb.34:
	s_or_b32 exec_lo, exec_lo, s7
.LBB178_35:
	s_or_b32 exec_lo, exec_lo, s6
.LBB178_36:
	s_or_b32 exec_lo, exec_lo, s1
.LBB178_37:
	v_mbcnt_lo_u32_b32 v55, -1, 0
	v_xor_b32_e32 v9, 16, v55
	v_xor_b32_e32 v25, 8, v55
	v_cmp_gt_i32_e32 vcc_lo, 32, v9
	v_cndmask_b32_e32 v9, v55, v9, vcc_lo
	v_cmp_gt_i32_e32 vcc_lo, 32, v25
	v_lshlrev_b32_e32 v24, 2, v9
	v_cndmask_b32_e32 v25, v55, v25, vcc_lo
	ds_bpermute_b32 v9, v24, v45
	ds_bpermute_b32 v10, v24, v46
	;; [unrolled: 1-line block ×16, first 2 shown]
	s_waitcnt lgkmcnt(14)
	v_add_f64 v[9:10], v[45:46], v[9:10]
	s_waitcnt lgkmcnt(12)
	v_add_f64 v[11:12], v[39:40], v[11:12]
	;; [unrolled: 2-line block ×7, first 2 shown]
	v_lshlrev_b32_e32 v42, 2, v25
	s_waitcnt lgkmcnt(0)
	v_add_f64 v[23:24], v[47:48], v[23:24]
	ds_bpermute_b32 v25, v42, v9
	ds_bpermute_b32 v26, v42, v10
	;; [unrolled: 1-line block ×16, first 2 shown]
	s_waitcnt lgkmcnt(14)
	v_add_f64 v[9:10], v[9:10], v[25:26]
	v_xor_b32_e32 v25, 4, v55
	s_waitcnt lgkmcnt(12)
	v_add_f64 v[11:12], v[11:12], v[27:28]
	s_waitcnt lgkmcnt(10)
	v_add_f64 v[13:14], v[13:14], v[31:32]
	v_cmp_gt_i32_e32 vcc_lo, 32, v25
	s_waitcnt lgkmcnt(8)
	v_add_f64 v[15:16], v[15:16], v[33:34]
	s_waitcnt lgkmcnt(6)
	v_add_f64 v[17:18], v[17:18], v[35:36]
	;; [unrolled: 2-line block ×3, first 2 shown]
	v_cndmask_b32_e32 v25, v55, v25, vcc_lo
	s_waitcnt lgkmcnt(2)
	v_add_f64 v[21:22], v[21:22], v[39:40]
	s_waitcnt lgkmcnt(0)
	v_add_f64 v[23:24], v[23:24], v[41:42]
	v_lshlrev_b32_e32 v42, 2, v25
	ds_bpermute_b32 v25, v42, v9
	ds_bpermute_b32 v26, v42, v10
	;; [unrolled: 1-line block ×16, first 2 shown]
	s_waitcnt lgkmcnt(14)
	v_add_f64 v[9:10], v[9:10], v[25:26]
	v_xor_b32_e32 v25, 2, v55
	s_waitcnt lgkmcnt(12)
	v_add_f64 v[11:12], v[11:12], v[27:28]
	s_waitcnt lgkmcnt(10)
	v_add_f64 v[13:14], v[13:14], v[31:32]
	v_cmp_gt_i32_e32 vcc_lo, 32, v25
	s_waitcnt lgkmcnt(8)
	v_add_f64 v[15:16], v[15:16], v[33:34]
	s_waitcnt lgkmcnt(6)
	v_add_f64 v[17:18], v[17:18], v[35:36]
	;; [unrolled: 2-line block ×3, first 2 shown]
	v_cndmask_b32_e32 v27, v55, v25, vcc_lo
	s_waitcnt lgkmcnt(2)
	v_add_f64 v[21:22], v[21:22], v[39:40]
	s_waitcnt lgkmcnt(0)
	v_add_f64 v[25:26], v[23:24], v[41:42]
	v_lshlrev_b32_e32 v42, 2, v27
	ds_bpermute_b32 v23, v42, v9
	ds_bpermute_b32 v24, v42, v10
	;; [unrolled: 1-line block ×16, first 2 shown]
	s_waitcnt lgkmcnt(14)
	v_add_f64 v[9:10], v[9:10], v[23:24]
	s_waitcnt lgkmcnt(12)
	v_add_f64 v[27:28], v[11:12], v[27:28]
	;; [unrolled: 2-line block ×3, first 2 shown]
	v_xor_b32_e32 v31, 1, v55
	s_waitcnt lgkmcnt(8)
	v_add_f64 v[23:24], v[15:16], v[33:34]
	s_waitcnt lgkmcnt(6)
	v_add_f64 v[13:14], v[17:18], v[35:36]
	v_cmp_gt_i32_e32 vcc_lo, 32, v31
	s_waitcnt lgkmcnt(4)
	v_add_f64 v[17:18], v[19:20], v[37:38]
	s_waitcnt lgkmcnt(2)
	v_add_f64 v[15:16], v[21:22], v[39:40]
	;; [unrolled: 2-line block ×3, first 2 shown]
	v_cndmask_b32_e32 v31, v55, v31, vcc_lo
	v_cmp_eq_u32_e32 vcc_lo, 31, v0
	v_lshlrev_b32_e32 v36, 2, v31
	ds_bpermute_b32 v21, v36, v9
	ds_bpermute_b32 v22, v36, v10
	;; [unrolled: 1-line block ×16, first 2 shown]
	s_and_b32 exec_lo, exec_lo, vcc_lo
	s_cbranch_execz .LBB178_8
; %bb.38:
	s_waitcnt lgkmcnt(12)
	v_add_f64 v[27:28], v[27:28], v[41:42]
	s_waitcnt lgkmcnt(8)
	v_add_f64 v[23:24], v[23:24], v[39:40]
	;; [unrolled: 2-line block ×4, first 2 shown]
	v_add_f64 v[9:10], v[9:10], v[21:22]
	v_add_f64 v[11:12], v[11:12], v[25:26]
	;; [unrolled: 1-line block ×4, first 2 shown]
	v_cmp_eq_f64_e32 vcc_lo, 0, v[1:2]
	v_cmp_eq_f64_e64 s0, 0, v[3:4]
	s_load_dwordx2 s[2:3], s[4:5], 0x68
	v_mul_f64 v[13:14], v[27:28], -v[7:8]
	v_mul_f64 v[15:16], v[5:6], v[27:28]
	v_mul_f64 v[27:28], v[23:24], -v[7:8]
	v_mul_f64 v[23:24], v[5:6], v[23:24]
	;; [unrolled: 2-line block ×4, first 2 shown]
	s_and_b32 s0, vcc_lo, s0
	v_fma_f64 v[17:18], v[5:6], v[9:10], v[13:14]
	v_fma_f64 v[19:20], v[7:8], v[9:10], v[15:16]
	;; [unrolled: 1-line block ×8, first 2 shown]
	v_lshlrev_b64 v[21:22], 6, v[29:30]
	s_and_saveexec_b32 s1, s0
	s_xor_b32 s0, exec_lo, s1
	s_cbranch_execz .LBB178_40
; %bb.39:
	s_waitcnt lgkmcnt(0)
	v_add_co_u32 v0, vcc_lo, s2, v21
	v_add_co_ci_u32_e64 v1, null, s3, v22, vcc_lo
                                        ; implicit-def: $vgpr21_vgpr22
	global_store_dwordx4 v[0:1], v[17:20], off
	global_store_dwordx4 v[0:1], v[13:16], off offset:16
	global_store_dwordx4 v[0:1], v[9:12], off offset:32
	;; [unrolled: 1-line block ×3, first 2 shown]
                                        ; implicit-def: $vgpr3_vgpr4
                                        ; implicit-def: $vgpr17_vgpr18
                                        ; implicit-def: $vgpr13_vgpr14
                                        ; implicit-def: $vgpr9_vgpr10
                                        ; implicit-def: $vgpr5_vgpr6
.LBB178_40:
	s_andn2_saveexec_b32 s0, s0
	s_cbranch_execz .LBB178_8
; %bb.41:
	s_waitcnt lgkmcnt(0)
	v_add_co_u32 v37, vcc_lo, s2, v21
	v_add_co_ci_u32_e64 v38, null, s3, v22, vcc_lo
	s_clause 0x3
	global_load_dwordx4 v[21:24], v[37:38], off
	global_load_dwordx4 v[25:28], v[37:38], off offset:16
	global_load_dwordx4 v[29:32], v[37:38], off offset:32
	;; [unrolled: 1-line block ×3, first 2 shown]
	s_waitcnt vmcnt(3)
	v_fma_f64 v[17:18], v[1:2], v[21:22], v[17:18]
	v_fma_f64 v[19:20], v[3:4], v[21:22], v[19:20]
	s_waitcnt vmcnt(2)
	v_fma_f64 v[13:14], v[1:2], v[25:26], v[13:14]
	v_fma_f64 v[15:16], v[3:4], v[25:26], v[15:16]
	;; [unrolled: 3-line block ×4, first 2 shown]
	v_fma_f64 v[5:6], -v[3:4], v[23:24], v[17:18]
	v_fma_f64 v[7:8], v[1:2], v[23:24], v[19:20]
	v_fma_f64 v[9:10], -v[3:4], v[27:28], v[13:14]
	v_fma_f64 v[11:12], v[1:2], v[27:28], v[15:16]
	;; [unrolled: 2-line block ×4, first 2 shown]
	global_store_dwordx4 v[37:38], v[5:8], off
	global_store_dwordx4 v[37:38], v[9:12], off offset:16
	global_store_dwordx4 v[37:38], v[13:16], off offset:32
	;; [unrolled: 1-line block ×3, first 2 shown]
	s_endpgm
	.section	.rodata,"a",@progbits
	.p2align	6, 0x0
	.amdhsa_kernel _ZN9rocsparseL18bsrxmvn_4x4_kernelILj128ELj32E21rocsparse_complex_numIdEllS1_IfES2_S2_EEvT3_20rocsparse_direction_NS_24const_host_device_scalarIT1_EES4_PKS4_PKT2_SD_SA_PKT4_PKT5_S8_PT6_21rocsparse_index_base_b
		.amdhsa_group_segment_fixed_size 0
		.amdhsa_private_segment_fixed_size 0
		.amdhsa_kernarg_size 120
		.amdhsa_user_sgpr_count 6
		.amdhsa_user_sgpr_private_segment_buffer 1
		.amdhsa_user_sgpr_dispatch_ptr 0
		.amdhsa_user_sgpr_queue_ptr 0
		.amdhsa_user_sgpr_kernarg_segment_ptr 1
		.amdhsa_user_sgpr_dispatch_id 0
		.amdhsa_user_sgpr_flat_scratch_init 0
		.amdhsa_user_sgpr_private_segment_size 0
		.amdhsa_wavefront_size32 1
		.amdhsa_uses_dynamic_stack 0
		.amdhsa_system_sgpr_private_segment_wavefront_offset 0
		.amdhsa_system_sgpr_workgroup_id_x 1
		.amdhsa_system_sgpr_workgroup_id_y 0
		.amdhsa_system_sgpr_workgroup_id_z 0
		.amdhsa_system_sgpr_workgroup_info 0
		.amdhsa_system_vgpr_workitem_id 0
		.amdhsa_next_free_vgpr 196
		.amdhsa_next_free_sgpr 16
		.amdhsa_reserve_vcc 1
		.amdhsa_reserve_flat_scratch 0
		.amdhsa_float_round_mode_32 0
		.amdhsa_float_round_mode_16_64 0
		.amdhsa_float_denorm_mode_32 3
		.amdhsa_float_denorm_mode_16_64 3
		.amdhsa_dx10_clamp 1
		.amdhsa_ieee_mode 1
		.amdhsa_fp16_overflow 0
		.amdhsa_workgroup_processor_mode 1
		.amdhsa_memory_ordered 1
		.amdhsa_forward_progress 1
		.amdhsa_shared_vgpr_count 0
		.amdhsa_exception_fp_ieee_invalid_op 0
		.amdhsa_exception_fp_denorm_src 0
		.amdhsa_exception_fp_ieee_div_zero 0
		.amdhsa_exception_fp_ieee_overflow 0
		.amdhsa_exception_fp_ieee_underflow 0
		.amdhsa_exception_fp_ieee_inexact 0
		.amdhsa_exception_int_div_zero 0
	.end_amdhsa_kernel
	.section	.text._ZN9rocsparseL18bsrxmvn_4x4_kernelILj128ELj32E21rocsparse_complex_numIdEllS1_IfES2_S2_EEvT3_20rocsparse_direction_NS_24const_host_device_scalarIT1_EES4_PKS4_PKT2_SD_SA_PKT4_PKT5_S8_PT6_21rocsparse_index_base_b,"axG",@progbits,_ZN9rocsparseL18bsrxmvn_4x4_kernelILj128ELj32E21rocsparse_complex_numIdEllS1_IfES2_S2_EEvT3_20rocsparse_direction_NS_24const_host_device_scalarIT1_EES4_PKS4_PKT2_SD_SA_PKT4_PKT5_S8_PT6_21rocsparse_index_base_b,comdat
.Lfunc_end178:
	.size	_ZN9rocsparseL18bsrxmvn_4x4_kernelILj128ELj32E21rocsparse_complex_numIdEllS1_IfES2_S2_EEvT3_20rocsparse_direction_NS_24const_host_device_scalarIT1_EES4_PKS4_PKT2_SD_SA_PKT4_PKT5_S8_PT6_21rocsparse_index_base_b, .Lfunc_end178-_ZN9rocsparseL18bsrxmvn_4x4_kernelILj128ELj32E21rocsparse_complex_numIdEllS1_IfES2_S2_EEvT3_20rocsparse_direction_NS_24const_host_device_scalarIT1_EES4_PKS4_PKT2_SD_SA_PKT4_PKT5_S8_PT6_21rocsparse_index_base_b
                                        ; -- End function
	.set _ZN9rocsparseL18bsrxmvn_4x4_kernelILj128ELj32E21rocsparse_complex_numIdEllS1_IfES2_S2_EEvT3_20rocsparse_direction_NS_24const_host_device_scalarIT1_EES4_PKS4_PKT2_SD_SA_PKT4_PKT5_S8_PT6_21rocsparse_index_base_b.num_vgpr, 196
	.set _ZN9rocsparseL18bsrxmvn_4x4_kernelILj128ELj32E21rocsparse_complex_numIdEllS1_IfES2_S2_EEvT3_20rocsparse_direction_NS_24const_host_device_scalarIT1_EES4_PKS4_PKT2_SD_SA_PKT4_PKT5_S8_PT6_21rocsparse_index_base_b.num_agpr, 0
	.set _ZN9rocsparseL18bsrxmvn_4x4_kernelILj128ELj32E21rocsparse_complex_numIdEllS1_IfES2_S2_EEvT3_20rocsparse_direction_NS_24const_host_device_scalarIT1_EES4_PKS4_PKT2_SD_SA_PKT4_PKT5_S8_PT6_21rocsparse_index_base_b.numbered_sgpr, 16
	.set _ZN9rocsparseL18bsrxmvn_4x4_kernelILj128ELj32E21rocsparse_complex_numIdEllS1_IfES2_S2_EEvT3_20rocsparse_direction_NS_24const_host_device_scalarIT1_EES4_PKS4_PKT2_SD_SA_PKT4_PKT5_S8_PT6_21rocsparse_index_base_b.num_named_barrier, 0
	.set _ZN9rocsparseL18bsrxmvn_4x4_kernelILj128ELj32E21rocsparse_complex_numIdEllS1_IfES2_S2_EEvT3_20rocsparse_direction_NS_24const_host_device_scalarIT1_EES4_PKS4_PKT2_SD_SA_PKT4_PKT5_S8_PT6_21rocsparse_index_base_b.private_seg_size, 0
	.set _ZN9rocsparseL18bsrxmvn_4x4_kernelILj128ELj32E21rocsparse_complex_numIdEllS1_IfES2_S2_EEvT3_20rocsparse_direction_NS_24const_host_device_scalarIT1_EES4_PKS4_PKT2_SD_SA_PKT4_PKT5_S8_PT6_21rocsparse_index_base_b.uses_vcc, 1
	.set _ZN9rocsparseL18bsrxmvn_4x4_kernelILj128ELj32E21rocsparse_complex_numIdEllS1_IfES2_S2_EEvT3_20rocsparse_direction_NS_24const_host_device_scalarIT1_EES4_PKS4_PKT2_SD_SA_PKT4_PKT5_S8_PT6_21rocsparse_index_base_b.uses_flat_scratch, 0
	.set _ZN9rocsparseL18bsrxmvn_4x4_kernelILj128ELj32E21rocsparse_complex_numIdEllS1_IfES2_S2_EEvT3_20rocsparse_direction_NS_24const_host_device_scalarIT1_EES4_PKS4_PKT2_SD_SA_PKT4_PKT5_S8_PT6_21rocsparse_index_base_b.has_dyn_sized_stack, 0
	.set _ZN9rocsparseL18bsrxmvn_4x4_kernelILj128ELj32E21rocsparse_complex_numIdEllS1_IfES2_S2_EEvT3_20rocsparse_direction_NS_24const_host_device_scalarIT1_EES4_PKS4_PKT2_SD_SA_PKT4_PKT5_S8_PT6_21rocsparse_index_base_b.has_recursion, 0
	.set _ZN9rocsparseL18bsrxmvn_4x4_kernelILj128ELj32E21rocsparse_complex_numIdEllS1_IfES2_S2_EEvT3_20rocsparse_direction_NS_24const_host_device_scalarIT1_EES4_PKS4_PKT2_SD_SA_PKT4_PKT5_S8_PT6_21rocsparse_index_base_b.has_indirect_call, 0
	.section	.AMDGPU.csdata,"",@progbits
; Kernel info:
; codeLenInByte = 12032
; TotalNumSgprs: 18
; NumVgprs: 196
; ScratchSize: 0
; MemoryBound: 0
; FloatMode: 240
; IeeeMode: 1
; LDSByteSize: 0 bytes/workgroup (compile time only)
; SGPRBlocks: 0
; VGPRBlocks: 24
; NumSGPRsForWavesPerEU: 18
; NumVGPRsForWavesPerEU: 196
; Occupancy: 4
; WaveLimiterHint : 1
; COMPUTE_PGM_RSRC2:SCRATCH_EN: 0
; COMPUTE_PGM_RSRC2:USER_SGPR: 6
; COMPUTE_PGM_RSRC2:TRAP_HANDLER: 0
; COMPUTE_PGM_RSRC2:TGID_X_EN: 1
; COMPUTE_PGM_RSRC2:TGID_Y_EN: 0
; COMPUTE_PGM_RSRC2:TGID_Z_EN: 0
; COMPUTE_PGM_RSRC2:TIDIG_COMP_CNT: 0
	.section	.text._ZN9rocsparseL18bsrxmvn_4x4_kernelILj128ELj64E21rocsparse_complex_numIdEllS1_IfES2_S2_EEvT3_20rocsparse_direction_NS_24const_host_device_scalarIT1_EES4_PKS4_PKT2_SD_SA_PKT4_PKT5_S8_PT6_21rocsparse_index_base_b,"axG",@progbits,_ZN9rocsparseL18bsrxmvn_4x4_kernelILj128ELj64E21rocsparse_complex_numIdEllS1_IfES2_S2_EEvT3_20rocsparse_direction_NS_24const_host_device_scalarIT1_EES4_PKS4_PKT2_SD_SA_PKT4_PKT5_S8_PT6_21rocsparse_index_base_b,comdat
	.globl	_ZN9rocsparseL18bsrxmvn_4x4_kernelILj128ELj64E21rocsparse_complex_numIdEllS1_IfES2_S2_EEvT3_20rocsparse_direction_NS_24const_host_device_scalarIT1_EES4_PKS4_PKT2_SD_SA_PKT4_PKT5_S8_PT6_21rocsparse_index_base_b ; -- Begin function _ZN9rocsparseL18bsrxmvn_4x4_kernelILj128ELj64E21rocsparse_complex_numIdEllS1_IfES2_S2_EEvT3_20rocsparse_direction_NS_24const_host_device_scalarIT1_EES4_PKS4_PKT2_SD_SA_PKT4_PKT5_S8_PT6_21rocsparse_index_base_b
	.p2align	8
	.type	_ZN9rocsparseL18bsrxmvn_4x4_kernelILj128ELj64E21rocsparse_complex_numIdEllS1_IfES2_S2_EEvT3_20rocsparse_direction_NS_24const_host_device_scalarIT1_EES4_PKS4_PKT2_SD_SA_PKT4_PKT5_S8_PT6_21rocsparse_index_base_b,@function
_ZN9rocsparseL18bsrxmvn_4x4_kernelILj128ELj64E21rocsparse_complex_numIdEllS1_IfES2_S2_EEvT3_20rocsparse_direction_NS_24const_host_device_scalarIT1_EES4_PKS4_PKT2_SD_SA_PKT4_PKT5_S8_PT6_21rocsparse_index_base_b: ; @_ZN9rocsparseL18bsrxmvn_4x4_kernelILj128ELj64E21rocsparse_complex_numIdEllS1_IfES2_S2_EEvT3_20rocsparse_direction_NS_24const_host_device_scalarIT1_EES4_PKS4_PKT2_SD_SA_PKT4_PKT5_S8_PT6_21rocsparse_index_base_b
; %bb.0:
	s_clause 0x1
	s_load_dwordx2 s[2:3], s[4:5], 0x70
	s_load_dwordx2 s[0:1], s[4:5], 0x10
	s_add_u32 s7, s4, 16
	s_addc_u32 s10, s5, 0
	s_add_u32 s11, s4, 0x58
	s_addc_u32 s12, s5, 0
	s_load_dwordx2 s[8:9], s[4:5], 0x58
	s_waitcnt lgkmcnt(0)
	s_bitcmp1_b32 s3, 0
	s_cselect_b32 s0, s7, s0
	s_cselect_b32 s1, s10, s1
	v_mov_b32_e32 v1, s0
	v_mov_b32_e32 v2, s1
	s_cselect_b32 s0, s11, s8
	s_cselect_b32 s1, s12, s9
	flat_load_dwordx4 v[5:8], v[1:2]
	v_mov_b32_e32 v1, s0
	v_mov_b32_e32 v2, s1
	flat_load_dwordx4 v[1:4], v[1:2]
	s_waitcnt vmcnt(1) lgkmcnt(1)
	v_cmp_eq_f64_e32 vcc_lo, 0, v[5:6]
	v_cmp_eq_f64_e64 s0, 0, v[7:8]
	s_and_b32 s3, vcc_lo, s0
	s_mov_b32 s0, -1
	s_and_saveexec_b32 s1, s3
	s_cbranch_execz .LBB179_2
; %bb.1:
	s_waitcnt vmcnt(0) lgkmcnt(0)
	v_cmp_neq_f64_e32 vcc_lo, 1.0, v[1:2]
	v_cmp_neq_f64_e64 s0, 0, v[3:4]
	s_or_b32 s0, vcc_lo, s0
	s_orn2_b32 s0, s0, exec_lo
.LBB179_2:
	s_or_b32 exec_lo, exec_lo, s1
	s_and_saveexec_b32 s1, s0
	s_cbranch_execz .LBB179_8
; %bb.3:
	s_load_dwordx2 s[0:1], s[4:5], 0x28
	v_lshrrev_b32_e32 v9, 6, v0
	v_mov_b32_e32 v10, 0
	v_lshl_or_b32 v9, s6, 1, v9
	s_waitcnt lgkmcnt(0)
	s_cmp_lg_u64 s[0:1], 0
	s_cbranch_scc0 .LBB179_9
; %bb.4:
	s_load_dwordx2 s[6:7], s[4:5], 0x20
                                        ; implicit-def: $vgpr29_vgpr30
                                        ; implicit-def: $vgpr31_vgpr32
	s_waitcnt lgkmcnt(0)
	v_cmp_gt_i64_e32 vcc_lo, s[6:7], v[9:10]
	s_mov_b32 s7, 0
	s_mov_b32 s6, 0
	s_and_saveexec_b32 s3, vcc_lo
	s_xor_b32 s8, exec_lo, s3
	s_cbranch_execz .LBB179_6
; %bb.5:
	v_lshlrev_b64 v[11:12], 3, v[9:10]
	s_mov_b32 s3, 0
	s_mov_b32 s6, exec_lo
	v_mov_b32_e32 v32, s3
	v_mov_b32_e32 v31, s2
	v_add_co_u32 v11, vcc_lo, s0, v11
	v_add_co_ci_u32_e64 v12, null, s1, v12, vcc_lo
	global_load_dwordx2 v[11:12], v[11:12], off
	s_waitcnt vmcnt(0)
	v_sub_co_u32 v29, vcc_lo, v11, s2
	v_subrev_co_ci_u32_e64 v30, null, 0, v12, vcc_lo
.LBB179_6:
	s_or_b32 exec_lo, exec_lo, s8
	s_and_b32 vcc_lo, exec_lo, s7
	s_cbranch_vccnz .LBB179_10
.LBB179_7:
	s_and_b32 exec_lo, exec_lo, s6
	s_cbranch_execnz .LBB179_13
.LBB179_8:
	s_endpgm
.LBB179_9:
	s_mov_b32 s6, 0
                                        ; implicit-def: $vgpr29_vgpr30
                                        ; implicit-def: $vgpr31_vgpr32
	s_cbranch_execz .LBB179_7
.LBB179_10:
	s_load_dwordx2 s[0:1], s[4:5], 0x0
	s_waitcnt lgkmcnt(0)
	v_cmp_gt_i64_e32 vcc_lo, s[0:1], v[9:10]
	s_and_saveexec_b32 s0, vcc_lo
; %bb.11:
	s_mov_b32 s3, 0
	s_or_b32 s6, s6, exec_lo
; %bb.12:
	s_or_b32 exec_lo, exec_lo, s0
	v_mov_b32_e32 v32, s3
	v_mov_b32_e32 v30, v10
	;; [unrolled: 1-line block ×4, first 2 shown]
	s_and_b32 exec_lo, exec_lo, s6
	s_cbranch_execz .LBB179_8
.LBB179_13:
	s_load_dwordx8 s[8:15], s[4:5], 0x30
	v_lshlrev_b64 v[9:10], 3, v[29:30]
	v_and_b32_e32 v0, 63, v0
	s_clause 0x1
	s_load_dword s1, s[4:5], 0x8
	s_load_dwordx2 s[2:3], s[4:5], 0x50
	s_waitcnt lgkmcnt(0)
	v_add_co_u32 v11, vcc_lo, s8, v9
	v_add_co_ci_u32_e64 v12, null, s9, v10, vcc_lo
	v_add_co_u32 v9, vcc_lo, s10, v9
	v_add_co_ci_u32_e64 v10, null, s11, v10, vcc_lo
	;; [unrolled: 2-line block ×3, first 2 shown]
	global_load_dwordx2 v[55:56], v[11:12], off
	s_cmp_eq_u64 s[10:11], 0
	s_cselect_b32 vcc_lo, -1, 0
	s_cmp_eq_u32 s1, 1
	v_cndmask_b32_e32 v10, v10, v14, vcc_lo
	v_cndmask_b32_e32 v9, v9, v13, vcc_lo
	global_load_dwordx2 v[9:10], v[9:10], off
	s_waitcnt vmcnt(1)
	v_sub_co_u32 v11, vcc_lo, v55, v31
	v_sub_co_ci_u32_e64 v12, null, v56, v32, vcc_lo
	v_add_co_u32 v33, vcc_lo, v11, v0
	v_add_co_ci_u32_e64 v34, null, 0, v12, vcc_lo
	s_waitcnt vmcnt(0)
	v_sub_co_u32 v35, vcc_lo, v9, v31
	v_sub_co_ci_u32_e64 v36, null, v10, v32, vcc_lo
	v_lshlrev_b64 v[9:10], 7, v[33:34]
	v_cmp_lt_i64_e64 s0, v[33:34], v[35:36]
	v_add_co_u32 v37, vcc_lo, s14, v9
	v_add_co_ci_u32_e64 v38, null, s15, v10, vcc_lo
	s_cbranch_scc1 .LBB179_25
; %bb.14:
	v_mov_b32_e32 v39, 0
	v_mov_b32_e32 v45, 0
	;; [unrolled: 1-line block ×16, first 2 shown]
	s_and_saveexec_b32 s6, s0
	s_cbranch_execz .LBB179_24
; %bb.15:
	v_or_b32_e32 v9, 64, v0
	v_not_b32_e32 v13, v55
	v_not_b32_e32 v11, v56
	v_mov_b32_e32 v41, 0
	v_mov_b32_e32 v47, 0
	v_sub_co_u32 v9, vcc_lo, v9, v31
	v_sub_co_ci_u32_e64 v10, null, 0, v32, vcc_lo
	v_mov_b32_e32 v51, 0
	v_add_co_u32 v9, vcc_lo, v9, v55
	v_add_co_ci_u32_e64 v10, null, v10, v56, vcc_lo
	v_sub_co_u32 v14, vcc_lo, v31, v0
	v_subrev_co_ci_u32_e64 v15, null, 0, v32, vcc_lo
	v_cmp_gt_i64_e32 vcc_lo, v[9:10], v[35:36]
	v_add_co_u32 v13, s1, v14, v13
	v_add_co_ci_u32_e64 v11, null, v15, v11, s1
	v_mov_b32_e32 v49, 0
	v_cndmask_b32_e32 v9, v35, v9, vcc_lo
	v_cndmask_b32_e32 v10, v36, v10, vcc_lo
	v_mov_b32_e32 v53, 0
	v_mov_b32_e32 v43, 0
	;; [unrolled: 1-line block ×3, first 2 shown]
	v_add_co_u32 v9, vcc_lo, v13, v9
	v_mov_b32_e32 v39, 0
	v_mov_b32_e32 v60, v38
	;; [unrolled: 1-line block ×8, first 2 shown]
	v_add_co_ci_u32_e64 v10, null, v11, v10, vcc_lo
	v_and_b32_e32 v11, 0xc0, v9
	v_mov_b32_e32 v54, 0
	v_mov_b32_e32 v44, 0
	;; [unrolled: 1-line block ×6, first 2 shown]
	s_mov_b32 s7, exec_lo
	v_cmpx_ne_u64_e32 0xc0, v[11:12]
	s_cbranch_execz .LBB179_19
; %bb.16:
	v_lshrrev_b32_e32 v13, 6, v9
	v_lshlrev_b64 v[11:12], 3, v[33:34]
	v_mov_b32_e32 v39, 0
	v_mov_b32_e32 v58, v34
	;; [unrolled: 1-line block ×3, first 2 shown]
	v_add_nc_u32_e32 v13, 1, v13
	v_mov_b32_e32 v43, 0
	v_add_co_u32 v11, vcc_lo, s12, v11
	v_mov_b32_e32 v53, 0
	v_and_b32_e32 v13, 3, v13
	v_mov_b32_e32 v49, 0
	v_mov_b32_e32 v51, 0
	v_mov_b32_e32 v47, 0
	v_mov_b32_e32 v41, 0
	v_sub_co_u32 v13, s1, 0, v13
	v_mov_b32_e32 v60, v38
	v_mov_b32_e32 v40, 0
	;; [unrolled: 1-line block ×5, first 2 shown]
	v_add_co_ci_u32_e64 v12, null, s13, v12, vcc_lo
	v_sub_co_ci_u32_e64 v14, null, 0, 0, s1
	v_mov_b32_e32 v54, 0
	v_mov_b32_e32 v50, 0
	;; [unrolled: 1-line block ×6, first 2 shown]
	s_mov_b32 s8, 0
.LBB179_17:                             ; =>This Inner Loop Header: Depth=1
	global_load_dwordx2 v[27:28], v[11:12], off
	s_clause 0x4
	global_load_dwordx4 v[15:18], v[59:60], off
	global_load_dwordx4 v[19:22], v[59:60], off offset:48
	global_load_dwordx4 v[23:26], v[59:60], off offset:32
	;; [unrolled: 1-line block ×4, first 2 shown]
	v_add_co_u32 v11, s1, 0x200, v11
	v_add_co_ci_u32_e64 v12, null, 0, v12, s1
	s_waitcnt vmcnt(5)
	v_sub_co_u32 v27, vcc_lo, v27, v31
	v_sub_co_ci_u32_e64 v28, null, v28, v32, vcc_lo
	s_waitcnt vmcnt(2)
	v_cvt_f64_f32_e32 v[97:98], v23
	v_cvt_f64_f32_e32 v[23:24], v24
	s_waitcnt vmcnt(0)
	v_cvt_f64_f32_e32 v[99:100], v65
	v_lshlrev_b64 v[27:28], 6, v[27:28]
	v_cvt_f64_f32_e32 v[65:66], v66
	v_cvt_f64_f32_e32 v[101:102], v61
	v_cvt_f64_f32_e32 v[61:62], v62
	v_cvt_f64_f32_e32 v[103:104], v25
	v_cvt_f64_f32_e32 v[25:26], v26
	v_add_co_u32 v27, vcc_lo, s2, v27
	v_add_co_ci_u32_e64 v28, null, s3, v28, vcc_lo
	v_cvt_f64_f32_e32 v[105:106], v67
	v_cvt_f64_f32_e32 v[67:68], v68
	;; [unrolled: 1-line block ×3, first 2 shown]
	s_clause 0x1
	global_load_dwordx4 v[69:72], v[27:28], off
	global_load_dwordx4 v[73:76], v[27:28], off offset:16
	s_clause 0x2
	global_load_dwordx4 v[77:80], v[59:60], off offset:16
	global_load_dwordx4 v[81:84], v[59:60], off offset:80
	;; [unrolled: 1-line block ×3, first 2 shown]
	s_clause 0x1
	global_load_dwordx4 v[89:92], v[27:28], off offset:32
	global_load_dwordx4 v[93:96], v[27:28], off offset:48
	v_cvt_f64_f32_e32 v[27:28], v15
	v_cvt_f64_f32_e32 v[15:16], v16
	;; [unrolled: 1-line block ×3, first 2 shown]
	v_add_co_u32 v59, vcc_lo, 0x2000, v59
	v_add_co_ci_u32_e64 v60, null, 0, v60, vcc_lo
	v_add_co_u32 v13, vcc_lo, v13, 1
	v_add_co_ci_u32_e64 v14, null, 0, v14, vcc_lo
	;; [unrolled: 2-line block ×3, first 2 shown]
	v_cmp_eq_u64_e32 vcc_lo, 0, v[13:14]
	s_or_b32 s8, vcc_lo, s8
	s_waitcnt vmcnt(6)
	v_fma_f64 v[45:46], v[27:28], v[69:70], v[45:46]
	v_fma_f64 v[39:40], v[15:16], v[69:70], v[39:40]
	;; [unrolled: 1-line block ×8, first 2 shown]
	v_cvt_f64_f32_e32 v[69:70], v17
	v_cvt_f64_f32_e32 v[17:18], v18
	v_fma_f64 v[15:16], -v[15:16], v[71:72], v[45:46]
	v_fma_f64 v[27:28], v[27:28], v[71:72], v[39:40]
	v_fma_f64 v[23:24], -v[23:24], v[71:72], v[53:54]
	v_fma_f64 v[39:40], v[97:98], v[71:72], v[43:44]
	;; [unrolled: 2-line block ×4, first 2 shown]
	s_waitcnt vmcnt(4)
	v_cvt_f64_f32_e32 v[49:50], v77
	v_cvt_f64_f32_e32 v[51:52], v78
	;; [unrolled: 1-line block ×4, first 2 shown]
	s_waitcnt vmcnt(3)
	v_cvt_f64_f32_e32 v[61:62], v81
	v_cvt_f64_f32_e32 v[65:66], v82
	s_waitcnt vmcnt(2)
	v_cvt_f64_f32_e32 v[71:72], v85
	v_cvt_f64_f32_e32 v[77:78], v88
	v_fma_f64 v[15:16], v[69:70], v[73:74], v[15:16]
	v_fma_f64 v[27:28], v[17:18], v[73:74], v[27:28]
	;; [unrolled: 1-line block ×8, first 2 shown]
	v_cvt_f64_f32_e32 v[73:74], v86
	v_fma_f64 v[15:16], -v[17:18], v[75:76], v[15:16]
	v_fma_f64 v[17:18], v[69:70], v[75:76], v[27:28]
	v_fma_f64 v[23:24], -v[25:26], v[75:76], v[23:24]
	v_fma_f64 v[25:26], v[103:104], v[75:76], v[39:40]
	v_fma_f64 v[27:28], -v[67:68], v[75:76], v[43:44]
	v_fma_f64 v[39:40], v[105:106], v[75:76], v[45:46]
	v_fma_f64 v[41:42], -v[63:64], v[75:76], v[41:42]
	v_fma_f64 v[43:44], v[107:108], v[75:76], v[47:48]
	v_cvt_f64_f32_e32 v[47:48], v79
	v_cvt_f64_f32_e32 v[45:46], v80
	v_cvt_f64_f32_e32 v[63:64], v21
	v_cvt_f64_f32_e32 v[21:22], v22
	v_cvt_f64_f32_e32 v[67:68], v83
	v_cvt_f64_f32_e32 v[69:70], v84
	v_cvt_f64_f32_e32 v[75:76], v87
	s_waitcnt vmcnt(1)
	v_fma_f64 v[15:16], v[49:50], v[89:90], v[15:16]
	v_fma_f64 v[17:18], v[51:52], v[89:90], v[17:18]
	;; [unrolled: 1-line block ×8, first 2 shown]
	v_fma_f64 v[15:16], -v[51:52], v[91:92], v[15:16]
	v_fma_f64 v[17:18], v[49:50], v[91:92], v[17:18]
	v_fma_f64 v[19:20], -v[19:20], v[91:92], v[23:24]
	v_fma_f64 v[23:24], v[53:54], v[91:92], v[25:26]
	;; [unrolled: 2-line block ×4, first 2 shown]
	s_waitcnt vmcnt(0)
	v_fma_f64 v[15:16], v[47:48], v[93:94], v[15:16]
	v_fma_f64 v[17:18], v[45:46], v[93:94], v[17:18]
	;; [unrolled: 1-line block ×8, first 2 shown]
	v_fma_f64 v[45:46], -v[45:46], v[95:96], v[15:16]
	v_fma_f64 v[39:40], v[47:48], v[95:96], v[17:18]
	v_fma_f64 v[53:54], -v[21:22], v[95:96], v[19:20]
	v_fma_f64 v[43:44], v[63:64], v[95:96], v[23:24]
	;; [unrolled: 2-line block ×4, first 2 shown]
	s_andn2_b32 exec_lo, exec_lo, s8
	s_cbranch_execnz .LBB179_17
; %bb.18:
	s_or_b32 exec_lo, exec_lo, s8
.LBB179_19:
	s_or_b32 exec_lo, exec_lo, s7
	s_mov_b32 s7, exec_lo
	v_cmpx_lt_u64_e32 0xbf, v[9:10]
	s_cbranch_execz .LBB179_23
; %bb.20:
	v_lshlrev_b64 v[9:10], 3, v[57:58]
	s_mov_b32 s8, 0
	v_add_co_u32 v9, vcc_lo, s12, v9
	v_add_co_ci_u32_e64 v10, null, s13, v10, vcc_lo
	v_add_co_u32 v61, vcc_lo, 0x400, v9
	v_add_co_ci_u32_e64 v62, null, 0, v10, vcc_lo
.LBB179_21:                             ; =>This Inner Loop Header: Depth=1
	s_clause 0x1
	global_load_dwordx2 v[25:26], v[61:62], off offset:-1024
	global_load_dwordx2 v[115:116], v[61:62], off offset:-512
	s_clause 0x3
	global_load_dwordx4 v[21:24], v[59:60], off
	global_load_dwordx4 v[17:20], v[59:60], off offset:32
	global_load_dwordx4 v[13:16], v[59:60], off offset:64
	;; [unrolled: 1-line block ×3, first 2 shown]
	s_clause 0x1
	global_load_dwordx2 v[63:64], v[61:62], off
	global_load_dwordx2 v[65:66], v[61:62], off offset:512
	s_waitcnt vmcnt(7)
	v_sub_co_u32 v25, vcc_lo, v25, v31
	v_sub_co_ci_u32_e64 v26, null, v26, v32, vcc_lo
	s_waitcnt vmcnt(5)
	v_cvt_f64_f32_e32 v[172:173], v21
	v_cvt_f64_f32_e32 v[21:22], v22
	s_waitcnt vmcnt(4)
	v_cvt_f64_f32_e32 v[176:177], v17
	v_lshlrev_b64 v[25:26], 6, v[25:26]
	v_cvt_f64_f32_e32 v[178:179], v18
	s_waitcnt vmcnt(3)
	v_cvt_f64_f32_e32 v[182:183], v13
	v_cvt_f64_f32_e32 v[13:14], v14
	s_waitcnt vmcnt(2)
	v_cvt_f64_f32_e32 v[184:185], v9
	v_cvt_f64_f32_e32 v[9:10], v10
	v_add_co_u32 v25, vcc_lo, s2, v25
	v_add_co_ci_u32_e64 v26, null, s3, v26, vcc_lo
	v_add_co_u32 v131, vcc_lo, 0x2000, v59
	v_add_co_ci_u32_e64 v132, null, 0, v60, vcc_lo
	s_clause 0x1
	global_load_dwordx4 v[67:70], v[25:26], off
	global_load_dwordx4 v[71:74], v[25:26], off offset:16
	s_clause 0x3
	global_load_dwordx4 v[75:78], v[59:60], off offset:16
	global_load_dwordx4 v[79:82], v[59:60], off offset:48
	;; [unrolled: 1-line block ×4, first 2 shown]
	s_clause 0x1
	global_load_dwordx4 v[91:94], v[25:26], off offset:32
	global_load_dwordx4 v[95:98], v[25:26], off offset:48
	s_clause 0x4
	global_load_dwordx4 v[99:102], v[131:132], off
	global_load_dwordx4 v[103:106], v[131:132], off offset:32
	global_load_dwordx4 v[107:110], v[131:132], off offset:64
	;; [unrolled: 1-line block ×4, first 2 shown]
	v_sub_co_u32 v115, vcc_lo, v115, v31
	v_sub_co_ci_u32_e64 v116, null, v116, v32, vcc_lo
	v_cvt_f64_f32_e32 v[180:181], v19
	v_cvt_f64_f32_e32 v[186:187], v20
	s_waitcnt vmcnt(14)
	v_sub_co_u32 v63, s1, v63, v31
	v_lshlrev_b64 v[115:116], 6, v[115:116]
	v_sub_co_ci_u32_e64 v64, null, v64, v32, s1
	v_cvt_f64_f32_e32 v[190:191], v12
	v_cvt_f64_f32_e32 v[174:175], v23
	;; [unrolled: 1-line block ×3, first 2 shown]
	v_add_co_u32 v167, vcc_lo, s2, v115
	v_add_co_ci_u32_e64 v168, null, s3, v116, vcc_lo
	s_clause 0x1
	global_load_dwordx4 v[115:118], v[167:168], off
	global_load_dwordx4 v[119:122], v[167:168], off offset:16
	s_clause 0x2
	global_load_dwordx4 v[123:126], v[131:132], off offset:16
	global_load_dwordx4 v[127:130], v[131:132], off offset:48
	;; [unrolled: 1-line block ×4, first 2 shown]
	v_add_co_u32 v169, vcc_lo, 0x4000, v59
	v_add_co_ci_u32_e64 v170, null, 0, v60, vcc_lo
	s_clause 0x6
	global_load_dwordx4 v[139:142], v[169:170], off
	global_load_dwordx4 v[143:146], v[169:170], off offset:48
	global_load_dwordx4 v[147:150], v[169:170], off offset:32
	;; [unrolled: 1-line block ×7, first 2 shown]
	v_cvt_f64_f32_e32 v[167:168], v11
	v_lshlrev_b64 v[11:12], 6, v[63:64]
	v_cvt_f64_f32_e32 v[188:189], v15
	v_add_co_u32 v171, vcc_lo, 0x6000, v59
	v_add_co_u32 v63, s1, s2, v11
	v_add_co_ci_u32_e64 v64, null, s3, v12, s1
	v_add_co_u32 v59, s1, 0x8000, v59
	s_waitcnt vmcnt(26)
	v_fma_f64 v[45:46], v[172:173], v[67:68], v[45:46]
	v_fma_f64 v[39:40], v[21:22], v[67:68], v[39:40]
	;; [unrolled: 1-line block ×8, first 2 shown]
	v_cvt_f64_f32_e32 v[67:68], v16
	s_waitcnt vmcnt(21)
	v_cvt_f64_f32_e32 v[192:193], v89
	v_cvt_f64_f32_e32 v[89:90], v90
	v_fma_f64 v[15:16], -v[21:22], v[69:70], v[45:46]
	v_fma_f64 v[21:22], v[172:173], v[69:70], v[39:40]
	v_fma_f64 v[39:40], -v[178:179], v[69:70], v[53:54]
	v_fma_f64 v[43:44], v[176:177], v[69:70], v[43:44]
	;; [unrolled: 2-line block ×4, first 2 shown]
	global_load_dwordx4 v[9:12], v[63:64], off
	v_cvt_f64_f32_e32 v[69:70], v75
	v_cvt_f64_f32_e32 v[176:177], v87
	;; [unrolled: 1-line block ×3, first 2 shown]
	v_add_co_ci_u32_e64 v172, null, 0, v60, vcc_lo
	v_cvt_f64_f32_e32 v[184:185], v77
	v_add_co_ci_u32_e64 v60, null, 0, v60, s1
	v_fma_f64 v[49:50], v[174:175], v[71:72], v[15:16]
	v_fma_f64 v[21:22], v[23:24], v[71:72], v[21:22]
	;; [unrolled: 1-line block ×8, first 2 shown]
	global_load_dwordx4 v[13:16], v[169:170], off offset:16
	v_cvt_f64_f32_e32 v[71:72], v76
	v_cvt_f64_f32_e32 v[75:76], v79
	;; [unrolled: 1-line block ×5, first 2 shown]
	v_fma_f64 v[49:50], -v[23:24], v[73:74], v[49:50]
	v_fma_f64 v[53:54], v[174:175], v[73:74], v[21:22]
	v_fma_f64 v[173:174], -v[186:187], v[73:74], v[39:40]
	v_fma_f64 v[178:179], v[180:181], v[73:74], v[43:44]
	;; [unrolled: 2-line block ×4, first 2 shown]
	s_clause 0x1
	global_load_dwordx4 v[21:24], v[171:172], off
	global_load_dwordx4 v[39:42], v[171:172], off offset:48
	global_load_dwordx4 v[43:46], v[63:64], off offset:16
	v_cvt_f64_f32_e32 v[186:187], v78
	v_cvt_f64_f32_e32 v[188:189], v81
	;; [unrolled: 1-line block ×5, first 2 shown]
	s_waitcnt vmcnt(25)
	v_fma_f64 v[73:74], v[69:70], v[91:92], v[49:50]
	v_fma_f64 v[167:168], v[71:72], v[91:92], v[53:54]
	;; [unrolled: 1-line block ×8, first 2 shown]
	s_clause 0x1
	global_load_dwordx4 v[47:50], v[171:172], off offset:32
	global_load_dwordx4 v[51:54], v[171:172], off offset:96
	v_fma_f64 v[194:195], -v[71:72], v[93:94], v[73:74]
	v_fma_f64 v[167:168], v[69:70], v[93:94], v[167:168]
	v_fma_f64 v[79:80], -v[79:80], v[93:94], v[173:174]
	v_fma_f64 v[173:174], v[75:76], v[93:94], v[178:179]
	;; [unrolled: 2-line block ×4, first 2 shown]
	s_clause 0x1
	global_load_dwordx4 v[67:70], v[171:172], off offset:80
	global_load_dwordx4 v[71:74], v[171:172], off offset:64
	;; [unrolled: 1-line block ×3, first 2 shown]
	s_waitcnt vmcnt(28)
	v_cvt_f64_f32_e32 v[175:176], v99
	v_cvt_f64_f32_e32 v[99:100], v100
	s_waitcnt vmcnt(27)
	v_cvt_f64_f32_e32 v[177:178], v103
	v_cvt_f64_f32_e32 v[103:104], v104
	;; [unrolled: 3-line block ×4, first 2 shown]
	v_fma_f64 v[93:94], v[184:185], v[95:96], v[194:195]
	v_fma_f64 v[167:168], v[186:187], v[95:96], v[167:168]
	v_fma_f64 v[79:80], v[188:189], v[95:96], v[79:80]
	v_fma_f64 v[173:174], v[81:82], v[95:96], v[173:174]
	v_fma_f64 v[83:84], v[190:191], v[95:96], v[83:84]
	v_fma_f64 v[169:170], v[85:86], v[95:96], v[169:170]
	v_fma_f64 v[87:88], v[192:193], v[95:96], v[87:88]
	v_fma_f64 v[91:92], v[89:90], v[95:96], v[91:92]
	v_sub_co_u32 v95, vcc_lo, v65, v31
	v_sub_co_ci_u32_e64 v96, null, v66, v32, vcc_lo
	global_load_dwordx4 v[63:66], v[63:64], off offset:48
	v_lshlrev_b64 v[95:96], 6, v[95:96]
	v_add_co_u32 v95, vcc_lo, s2, v95
	v_fma_f64 v[93:94], -v[186:187], v[97:98], v[93:94]
	v_fma_f64 v[167:168], v[184:185], v[97:98], v[167:168]
	v_fma_f64 v[79:80], -v[81:82], v[97:98], v[79:80]
	v_fma_f64 v[81:82], v[188:189], v[97:98], v[173:174]
	;; [unrolled: 2-line block ×4, first 2 shown]
	v_cvt_f64_f32_e32 v[91:92], v101
	v_cvt_f64_f32_e32 v[101:102], v102
	v_cvt_f64_f32_e32 v[169:170], v113
	v_cvt_f64_f32_e32 v[113:114], v114
	v_add_co_ci_u32_e64 v96, null, s3, v96, vcc_lo
	v_add_co_u32 v57, vcc_lo, 0x100, v57
	v_add_co_ci_u32_e64 v58, null, 0, v58, vcc_lo
	v_add_co_u32 v61, vcc_lo, 0x800, v61
	v_add_co_ci_u32_e64 v62, null, 0, v62, vcc_lo
	s_waitcnt vmcnt(24)
	v_fma_f64 v[93:94], v[175:176], v[115:116], v[93:94]
	v_fma_f64 v[97:98], v[99:100], v[115:116], v[167:168]
	;; [unrolled: 1-line block ×8, first 2 shown]
	v_cvt_f64_f32_e32 v[115:116], v105
	v_cvt_f64_f32_e32 v[105:106], v106
	;; [unrolled: 1-line block ×4, first 2 shown]
	v_cmp_ge_i64_e32 vcc_lo, v[57:58], v[35:36]
	s_or_b32 s8, vcc_lo, s8
	v_fma_f64 v[93:94], -v[99:100], v[117:118], v[93:94]
	v_fma_f64 v[97:98], v[175:176], v[117:118], v[97:98]
	v_fma_f64 v[99:100], -v[103:104], v[117:118], v[79:80]
	v_fma_f64 v[103:104], v[177:178], v[117:118], v[81:82]
	;; [unrolled: 2-line block ×4, first 2 shown]
	global_load_dwordx4 v[79:82], v[95:96], off
	s_waitcnt vmcnt(23)
	v_cvt_f64_f32_e32 v[107:108], v123
	v_cvt_f64_f32_e32 v[111:112], v124
	s_waitcnt vmcnt(22)
	v_cvt_f64_f32_e32 v[117:118], v127
	s_waitcnt vmcnt(21)
	v_cvt_f64_f32_e32 v[123:124], v131
	v_fma_f64 v[93:94], v[91:92], v[119:120], v[93:94]
	v_fma_f64 v[97:98], v[101:102], v[119:120], v[97:98]
	;; [unrolled: 1-line block ×8, first 2 shown]
	v_cvt_f64_f32_e32 v[119:120], v128
	v_cvt_f64_f32_e32 v[127:128], v132
	v_cvt_f64_f32_e32 v[131:132], v25
	v_cvt_f64_f32_e32 v[25:26], v26
	v_fma_f64 v[93:94], -v[101:102], v[121:122], v[93:94]
	v_fma_f64 v[91:92], v[91:92], v[121:122], v[97:98]
	v_fma_f64 v[97:98], -v[105:106], v[121:122], v[99:100]
	v_fma_f64 v[99:100], v[115:116], v[121:122], v[103:104]
	;; [unrolled: 2-line block ×4, first 2 shown]
	global_load_dwordx4 v[83:86], v[95:96], off offset:16
	global_load_dwordx4 v[87:90], v[171:172], off offset:16
	v_cvt_f64_f32_e32 v[121:122], v125
	v_cvt_f64_f32_e32 v[125:126], v126
	;; [unrolled: 1-line block ×5, first 2 shown]
	s_waitcnt vmcnt(22)
	v_fma_f64 v[113:114], v[107:108], v[135:136], v[93:94]
	v_fma_f64 v[115:116], v[111:112], v[135:136], v[91:92]
	;; [unrolled: 1-line block ×8, first 2 shown]
	global_load_dwordx4 v[91:94], v[171:172], off offset:112
	v_cvt_f64_f32_e32 v[135:136], v129
	v_cvt_f64_f32_e32 v[129:130], v130
	;; [unrolled: 1-line block ×3, first 2 shown]
	v_fma_f64 v[111:112], -v[111:112], v[137:138], v[113:114]
	v_fma_f64 v[107:108], v[107:108], v[137:138], v[115:116]
	v_fma_f64 v[97:98], -v[119:120], v[137:138], v[97:98]
	v_fma_f64 v[99:100], v[117:118], v[137:138], v[99:100]
	;; [unrolled: 2-line block ×4, first 2 shown]
	global_load_dwordx4 v[25:28], v[95:96], off offset:32
	s_waitcnt vmcnt(23)
	v_cvt_f64_f32_e32 v[113:114], v140
	s_waitcnt vmcnt(21)
	v_cvt_f64_f32_e32 v[115:116], v147
	v_cvt_f64_f32_e32 v[117:118], v148
	s_waitcnt vmcnt(17)
	v_cvt_f64_f32_e32 v[119:120], v163
	v_cvt_f64_f32_e32 v[123:124], v164
	;; [unrolled: 1-line block ×5, first 2 shown]
	s_waitcnt vmcnt(16)
	v_fma_f64 v[111:112], v[121:122], v[17:18], v[111:112]
	v_fma_f64 v[107:108], v[125:126], v[17:18], v[107:108]
	;; [unrolled: 1-line block ×8, first 2 shown]
	v_cvt_f64_f32_e32 v[109:110], v139
	v_cvt_f64_f32_e32 v[139:140], v158
	v_fma_f64 v[111:112], -v[125:126], v[19:20], v[111:112]
	v_fma_f64 v[107:108], v[121:122], v[19:20], v[107:108]
	v_fma_f64 v[97:98], -v[129:130], v[19:20], v[97:98]
	v_fma_f64 v[99:100], v[135:136], v[19:20], v[99:100]
	;; [unrolled: 2-line block ×4, first 2 shown]
	global_load_dwordx4 v[17:20], v[95:96], off offset:48
	v_cvt_f64_f32_e32 v[125:126], v149
	v_cvt_f64_f32_e32 v[129:130], v150
	;; [unrolled: 1-line block ×4, first 2 shown]
	s_waitcnt vmcnt(16)
	v_fma_f64 v[95:96], v[109:110], v[9:10], v[111:112]
	v_fma_f64 v[107:108], v[113:114], v[9:10], v[107:108]
	;; [unrolled: 1-line block ×8, first 2 shown]
	v_cvt_f64_f32_e32 v[111:112], v141
	v_cvt_f64_f32_e32 v[121:122], v142
	v_fma_f64 v[95:96], -v[113:114], v[11:12], v[95:96]
	v_fma_f64 v[107:108], v[109:110], v[11:12], v[107:108]
	v_fma_f64 v[97:98], -v[117:118], v[11:12], v[97:98]
	v_fma_f64 v[99:100], v[115:116], v[11:12], v[99:100]
	;; [unrolled: 2-line block ×4, first 2 shown]
	v_cvt_f64_f32_e32 v[109:110], v144
	v_cvt_f64_f32_e32 v[113:114], v159
	;; [unrolled: 1-line block ×7, first 2 shown]
	s_waitcnt vmcnt(12)
	v_fma_f64 v[11:12], v[111:112], v[43:44], v[95:96]
	v_fma_f64 v[95:96], v[121:122], v[43:44], v[107:108]
	;; [unrolled: 1-line block ×8, first 2 shown]
	v_cvt_f64_f32_e32 v[43:44], v13
	v_cvt_f64_f32_e32 v[13:14], v14
	;; [unrolled: 1-line block ×3, first 2 shown]
	v_fma_f64 v[11:12], -v[121:122], v[45:46], v[11:12]
	v_fma_f64 v[95:96], v[111:112], v[45:46], v[95:96]
	v_fma_f64 v[97:98], -v[129:130], v[45:46], v[97:98]
	v_fma_f64 v[99:100], v[125:126], v[45:46], v[99:100]
	;; [unrolled: 2-line block ×4, first 2 shown]
	v_cvt_f64_f32_e32 v[111:112], v146
	v_cvt_f64_f32_e32 v[121:122], v161
	;; [unrolled: 1-line block ×3, first 2 shown]
	s_waitcnt vmcnt(7)
	v_fma_f64 v[11:12], v[43:44], v[75:76], v[11:12]
	v_fma_f64 v[45:46], v[13:14], v[75:76], v[95:96]
	;; [unrolled: 1-line block ×8, first 2 shown]
	v_cvt_f64_f32_e32 v[75:76], v15
	v_cvt_f64_f32_e32 v[15:16], v16
	;; [unrolled: 1-line block ×3, first 2 shown]
	v_fma_f64 v[11:12], -v[13:14], v[77:78], v[11:12]
	v_fma_f64 v[13:14], v[43:44], v[77:78], v[45:46]
	v_fma_f64 v[43:44], -v[109:110], v[77:78], v[95:96]
	v_fma_f64 v[45:46], v[107:108], v[77:78], v[97:98]
	;; [unrolled: 2-line block ×4, first 2 shown]
	v_cvt_f64_f32_e32 v[101:102], v71
	v_cvt_f64_f32_e32 v[71:72], v72
	;; [unrolled: 1-line block ×4, first 2 shown]
	s_waitcnt vmcnt(6)
	v_fma_f64 v[11:12], v[75:76], v[63:64], v[11:12]
	v_fma_f64 v[13:14], v[15:16], v[63:64], v[13:14]
	;; [unrolled: 1-line block ×8, first 2 shown]
	v_cvt_f64_f32_e32 v[63:64], v21
	v_cvt_f64_f32_e32 v[21:22], v22
	;; [unrolled: 1-line block ×4, first 2 shown]
	v_fma_f64 v[11:12], -v[15:16], v[65:66], v[11:12]
	v_fma_f64 v[13:14], v[75:76], v[65:66], v[13:14]
	v_fma_f64 v[15:16], -v[111:112], v[65:66], v[43:44]
	v_fma_f64 v[43:44], v[105:106], v[65:66], v[45:46]
	;; [unrolled: 2-line block ×4, first 2 shown]
	v_cvt_f64_f32_e32 v[95:96], v73
	v_cvt_f64_f32_e32 v[73:74], v74
	v_cvt_f64_f32_e32 v[97:98], v53
	v_cvt_f64_f32_e32 v[53:54], v54
	s_waitcnt vmcnt(5)
	v_fma_f64 v[11:12], v[63:64], v[79:80], v[11:12]
	v_fma_f64 v[13:14], v[21:22], v[79:80], v[13:14]
	;; [unrolled: 1-line block ×8, first 2 shown]
	v_cvt_f64_f32_e32 v[77:78], v23
	v_cvt_f64_f32_e32 v[23:24], v24
	;; [unrolled: 1-line block ×4, first 2 shown]
	v_fma_f64 v[11:12], -v[21:22], v[81:82], v[11:12]
	v_fma_f64 v[13:14], v[63:64], v[81:82], v[13:14]
	v_fma_f64 v[15:16], -v[47:48], v[81:82], v[15:16]
	v_fma_f64 v[21:22], v[99:100], v[81:82], v[43:44]
	;; [unrolled: 2-line block ×4, first 2 shown]
	v_cvt_f64_f32_e32 v[65:66], v39
	v_cvt_f64_f32_e32 v[39:40], v40
	;; [unrolled: 1-line block ×4, first 2 shown]
	s_waitcnt vmcnt(3)
	v_cvt_f64_f32_e32 v[51:52], v87
	v_cvt_f64_f32_e32 v[63:64], v88
	v_fma_f64 v[11:12], v[77:78], v[83:84], v[11:12]
	v_fma_f64 v[13:14], v[23:24], v[83:84], v[13:14]
	v_fma_f64 v[15:16], v[79:80], v[83:84], v[15:16]
	v_fma_f64 v[21:22], v[49:50], v[83:84], v[21:22]
	v_fma_f64 v[43:44], v[95:96], v[83:84], v[43:44]
	v_fma_f64 v[45:46], v[73:74], v[83:84], v[45:46]
	v_fma_f64 v[47:48], v[97:98], v[83:84], v[47:48]
	v_fma_f64 v[9:10], v[53:54], v[83:84], v[9:10]
	s_waitcnt vmcnt(2)
	v_cvt_f64_f32_e32 v[75:76], v91
	v_cvt_f64_f32_e32 v[81:82], v92
	v_fma_f64 v[11:12], -v[23:24], v[85:86], v[11:12]
	v_fma_f64 v[13:14], v[77:78], v[85:86], v[13:14]
	v_fma_f64 v[15:16], -v[49:50], v[85:86], v[15:16]
	v_fma_f64 v[21:22], v[79:80], v[85:86], v[21:22]
	;; [unrolled: 2-line block ×4, first 2 shown]
	v_cvt_f64_f32_e32 v[47:48], v90
	v_cvt_f64_f32_e32 v[49:50], v41
	;; [unrolled: 1-line block ×7, first 2 shown]
	s_waitcnt vmcnt(1)
	v_fma_f64 v[11:12], v[51:52], v[25:26], v[11:12]
	v_fma_f64 v[13:14], v[63:64], v[25:26], v[13:14]
	;; [unrolled: 1-line block ×8, first 2 shown]
	v_cvt_f64_f32_e32 v[25:26], v89
	v_fma_f64 v[11:12], -v[63:64], v[27:28], v[11:12]
	v_fma_f64 v[13:14], v[51:52], v[27:28], v[13:14]
	v_fma_f64 v[15:16], -v[39:40], v[27:28], v[15:16]
	v_fma_f64 v[21:22], v[65:66], v[27:28], v[21:22]
	;; [unrolled: 2-line block ×4, first 2 shown]
	s_waitcnt vmcnt(0)
	v_fma_f64 v[11:12], v[25:26], v[17:18], v[11:12]
	v_fma_f64 v[13:14], v[47:48], v[17:18], v[13:14]
	;; [unrolled: 1-line block ×8, first 2 shown]
	v_fma_f64 v[45:46], -v[47:48], v[19:20], v[11:12]
	v_fma_f64 v[39:40], v[25:26], v[19:20], v[13:14]
	v_fma_f64 v[53:54], -v[41:42], v[19:20], v[15:16]
	v_fma_f64 v[43:44], v[49:50], v[19:20], v[21:22]
	;; [unrolled: 2-line block ×4, first 2 shown]
	s_andn2_b32 exec_lo, exec_lo, s8
	s_cbranch_execnz .LBB179_21
; %bb.22:
	s_or_b32 exec_lo, exec_lo, s8
.LBB179_23:
	s_or_b32 exec_lo, exec_lo, s7
.LBB179_24:
	s_or_b32 exec_lo, exec_lo, s6
	s_cbranch_execz .LBB179_26
	s_branch .LBB179_37
.LBB179_25:
                                        ; implicit-def: $vgpr39_vgpr40
                                        ; implicit-def: $vgpr45_vgpr46
                                        ; implicit-def: $vgpr43_vgpr44
                                        ; implicit-def: $vgpr53_vgpr54
                                        ; implicit-def: $vgpr49_vgpr50
                                        ; implicit-def: $vgpr51_vgpr52
                                        ; implicit-def: $vgpr47_vgpr48
                                        ; implicit-def: $vgpr41_vgpr42
.LBB179_26:
	v_mov_b32_e32 v39, 0
	v_mov_b32_e32 v45, 0
	;; [unrolled: 1-line block ×16, first 2 shown]
	s_and_saveexec_b32 s1, s0
	s_cbranch_execz .LBB179_36
; %bb.27:
	v_or_b32_e32 v9, 64, v0
	v_not_b32_e32 v13, v55
	v_sub_co_u32 v14, s0, v31, v0
	v_not_b32_e32 v11, v56
	v_sub_co_u32 v9, vcc_lo, v9, v31
	v_sub_co_ci_u32_e64 v10, null, 0, v32, vcc_lo
	v_subrev_co_ci_u32_e64 v15, null, 0, v32, s0
	v_add_co_u32 v9, vcc_lo, v9, v55
	v_add_co_ci_u32_e64 v10, null, v10, v56, vcc_lo
	v_add_co_u32 v13, s0, v14, v13
	v_add_co_ci_u32_e64 v11, null, v15, v11, s0
	v_cmp_gt_i64_e32 vcc_lo, v[9:10], v[35:36]
	v_mov_b32_e32 v41, 0
	v_mov_b32_e32 v47, 0
	;; [unrolled: 1-line block ×5, first 2 shown]
	v_cndmask_b32_e32 v9, v35, v9, vcc_lo
	v_cndmask_b32_e32 v10, v36, v10, vcc_lo
	v_mov_b32_e32 v43, 0
	v_mov_b32_e32 v45, 0
	;; [unrolled: 1-line block ×3, first 2 shown]
	v_add_co_u32 v9, vcc_lo, v13, v9
	v_mov_b32_e32 v12, 0
	v_mov_b32_e32 v42, 0
	;; [unrolled: 1-line block ×4, first 2 shown]
	v_add_co_ci_u32_e64 v10, null, v11, v10, vcc_lo
	v_and_b32_e32 v11, 0xc0, v9
	v_mov_b32_e32 v50, 0
	v_mov_b32_e32 v54, 0
	;; [unrolled: 1-line block ×5, first 2 shown]
	s_mov_b32 s6, exec_lo
	v_cmpx_ne_u64_e32 0xc0, v[11:12]
	s_cbranch_execz .LBB179_31
; %bb.28:
	v_lshrrev_b32_e32 v13, 6, v9
	v_lshlrev_b64 v[11:12], 3, v[33:34]
	v_mov_b32_e32 v39, 0
	v_mov_b32_e32 v45, 0
	;; [unrolled: 1-line block ×3, first 2 shown]
	v_add_nc_u32_e32 v13, 1, v13
	v_mov_b32_e32 v53, 0
	v_add_co_u32 v11, vcc_lo, s12, v11
	v_mov_b32_e32 v49, 0
	v_and_b32_e32 v13, 3, v13
	v_mov_b32_e32 v51, 0
	v_mov_b32_e32 v47, 0
	;; [unrolled: 1-line block ×4, first 2 shown]
	v_sub_co_u32 v13, s0, 0, v13
	v_mov_b32_e32 v46, 0
	v_mov_b32_e32 v44, 0
	v_add_co_ci_u32_e64 v12, null, s13, v12, vcc_lo
	v_mov_b32_e32 v54, 0
	v_mov_b32_e32 v50, 0
	;; [unrolled: 1-line block ×5, first 2 shown]
	v_sub_co_ci_u32_e64 v14, null, 0, 0, s0
	s_mov_b32 s7, 0
.LBB179_29:                             ; =>This Inner Loop Header: Depth=1
	global_load_dwordx2 v[23:24], v[11:12], off
	s_clause 0x1
	global_load_dwordx4 v[15:18], v[37:38], off offset:16
	global_load_dwordx4 v[19:22], v[37:38], off
	v_add_co_u32 v11, s0, 0x200, v11
	v_add_co_ci_u32_e64 v12, null, 0, v12, s0
	s_waitcnt vmcnt(2)
	v_sub_co_u32 v23, vcc_lo, v23, v31
	v_sub_co_ci_u32_e64 v24, null, v24, v32, vcc_lo
	s_waitcnt vmcnt(0)
	v_cvt_f64_f32_e32 v[91:92], v21
	v_cvt_f64_f32_e32 v[21:22], v22
	;; [unrolled: 1-line block ×3, first 2 shown]
	v_lshlrev_b64 v[23:24], 6, v[23:24]
	v_cvt_f64_f32_e32 v[15:16], v16
	v_cvt_f64_f32_e32 v[95:96], v17
	;; [unrolled: 1-line block ×3, first 2 shown]
	v_add_co_u32 v27, vcc_lo, s2, v23
	v_add_co_ci_u32_e64 v28, null, s3, v24, vcc_lo
	global_load_dwordx4 v[23:26], v[27:28], off
	s_clause 0x1
	global_load_dwordx4 v[55:58], v[37:38], off offset:32
	global_load_dwordx4 v[59:62], v[37:38], off offset:48
	global_load_dwordx4 v[63:66], v[27:28], off offset:16
	s_clause 0x1
	global_load_dwordx4 v[67:70], v[37:38], off offset:64
	global_load_dwordx4 v[71:74], v[37:38], off offset:80
	global_load_dwordx4 v[75:78], v[27:28], off offset:32
	;; [unrolled: 4-line block ×3, first 2 shown]
	v_cvt_f64_f32_e32 v[27:28], v19
	v_cvt_f64_f32_e32 v[19:20], v20
	v_add_co_u32 v37, vcc_lo, 0x2000, v37
	v_add_co_ci_u32_e64 v38, null, 0, v38, vcc_lo
	v_add_co_u32 v13, vcc_lo, v13, 1
	v_add_co_ci_u32_e64 v14, null, 0, v14, vcc_lo
	v_add_co_u32 v33, vcc_lo, v33, 64
	v_add_co_ci_u32_e64 v34, null, 0, v34, vcc_lo
	v_cmp_eq_u64_e32 vcc_lo, 0, v[13:14]
	s_or_b32 s7, vcc_lo, s7
	s_waitcnt vmcnt(9)
	v_fma_f64 v[45:46], v[27:28], v[23:24], v[45:46]
	v_fma_f64 v[39:40], v[19:20], v[23:24], v[39:40]
	v_fma_f64 v[53:54], v[91:92], v[23:24], v[53:54]
	v_fma_f64 v[43:44], v[21:22], v[23:24], v[43:44]
	v_fma_f64 v[51:52], v[93:94], v[23:24], v[51:52]
	v_fma_f64 v[49:50], v[15:16], v[23:24], v[49:50]
	v_fma_f64 v[41:42], v[95:96], v[23:24], v[41:42]
	v_fma_f64 v[23:24], v[17:18], v[23:24], v[47:48]
	s_waitcnt vmcnt(8)
	v_cvt_f64_f32_e32 v[47:48], v55
	v_cvt_f64_f32_e32 v[55:56], v56
	;; [unrolled: 1-line block ×4, first 2 shown]
	s_waitcnt vmcnt(7)
	v_cvt_f64_f32_e32 v[99:100], v59
	v_cvt_f64_f32_e32 v[59:60], v60
	;; [unrolled: 1-line block ×4, first 2 shown]
	v_fma_f64 v[19:20], -v[19:20], v[25:26], v[45:46]
	v_fma_f64 v[27:28], v[27:28], v[25:26], v[39:40]
	v_fma_f64 v[21:22], -v[21:22], v[25:26], v[53:54]
	v_fma_f64 v[39:40], v[91:92], v[25:26], v[43:44]
	;; [unrolled: 2-line block ×4, first 2 shown]
	s_waitcnt vmcnt(5)
	v_cvt_f64_f32_e32 v[41:42], v67
	v_cvt_f64_f32_e32 v[45:46], v69
	;; [unrolled: 1-line block ×3, first 2 shown]
	s_waitcnt vmcnt(4)
	v_cvt_f64_f32_e32 v[51:52], v71
	v_cvt_f64_f32_e32 v[53:54], v72
	s_waitcnt vmcnt(1)
	v_cvt_f64_f32_e32 v[69:70], v85
	v_cvt_f64_f32_e32 v[71:72], v86
	v_fma_f64 v[19:20], v[47:48], v[63:64], v[19:20]
	v_fma_f64 v[25:26], v[55:56], v[63:64], v[27:28]
	;; [unrolled: 1-line block ×8, first 2 shown]
	v_cvt_f64_f32_e32 v[43:44], v68
	v_cvt_f64_f32_e32 v[63:64], v73
	;; [unrolled: 1-line block ×3, first 2 shown]
	v_fma_f64 v[19:20], -v[55:56], v[65:66], v[19:20]
	v_fma_f64 v[25:26], v[47:48], v[65:66], v[25:26]
	v_fma_f64 v[21:22], -v[57:58], v[65:66], v[21:22]
	v_fma_f64 v[27:28], v[97:98], v[65:66], v[27:28]
	v_fma_f64 v[15:16], -v[59:60], v[65:66], v[15:16]
	v_fma_f64 v[39:40], v[99:100], v[65:66], v[39:40]
	v_fma_f64 v[17:18], -v[61:62], v[65:66], v[17:18]
	v_fma_f64 v[23:24], v[101:102], v[65:66], v[23:24]
	v_cvt_f64_f32_e32 v[47:48], v79
	v_cvt_f64_f32_e32 v[55:56], v80
	;; [unrolled: 1-line block ×6, first 2 shown]
	v_fma_f64 v[19:20], v[41:42], v[75:76], v[19:20]
	v_fma_f64 v[25:26], v[43:44], v[75:76], v[25:26]
	;; [unrolled: 1-line block ×8, first 2 shown]
	v_fma_f64 v[19:20], -v[43:44], v[77:78], v[19:20]
	v_fma_f64 v[25:26], v[41:42], v[77:78], v[25:26]
	v_fma_f64 v[21:22], -v[49:50], v[77:78], v[21:22]
	v_fma_f64 v[27:28], v[45:46], v[77:78], v[27:28]
	v_fma_f64 v[15:16], -v[53:54], v[77:78], v[15:16]
	v_fma_f64 v[39:40], v[51:52], v[77:78], v[39:40]
	v_fma_f64 v[17:18], -v[67:68], v[77:78], v[17:18]
	v_fma_f64 v[23:24], v[63:64], v[77:78], v[23:24]
	s_waitcnt vmcnt(0)
	v_fma_f64 v[19:20], v[47:48], v[87:88], v[19:20]
	v_fma_f64 v[25:26], v[55:56], v[87:88], v[25:26]
	;; [unrolled: 1-line block ×8, first 2 shown]
	v_fma_f64 v[45:46], -v[55:56], v[89:90], v[19:20]
	v_fma_f64 v[39:40], v[47:48], v[89:90], v[25:26]
	v_fma_f64 v[53:54], -v[59:60], v[89:90], v[21:22]
	v_fma_f64 v[43:44], v[57:58], v[89:90], v[27:28]
	;; [unrolled: 2-line block ×4, first 2 shown]
	s_andn2_b32 exec_lo, exec_lo, s7
	s_cbranch_execnz .LBB179_29
; %bb.30:
	s_or_b32 exec_lo, exec_lo, s7
.LBB179_31:
	s_or_b32 exec_lo, exec_lo, s6
	s_mov_b32 s6, exec_lo
	v_cmpx_lt_u64_e32 0xbf, v[9:10]
	s_cbranch_execz .LBB179_35
; %bb.32:
	v_lshlrev_b64 v[9:10], 3, v[33:34]
	s_mov_b32 s7, 0
	v_add_co_u32 v9, vcc_lo, s12, v9
	v_add_co_ci_u32_e64 v10, null, s13, v10, vcc_lo
	v_add_co_u32 v21, vcc_lo, 0x400, v9
	v_add_co_ci_u32_e64 v22, null, 0, v10, vcc_lo
.LBB179_33:                             ; =>This Inner Loop Header: Depth=1
	s_clause 0x1
	global_load_dwordx2 v[23:24], v[21:22], off offset:-1024
	global_load_dwordx2 v[27:28], v[21:22], off offset:-512
	s_clause 0x2
	global_load_dwordx4 v[17:20], v[37:38], off
	global_load_dwordx4 v[13:16], v[37:38], off offset:16
	global_load_dwordx4 v[9:12], v[37:38], off offset:32
	s_clause 0x1
	global_load_dwordx2 v[139:140], v[21:22], off
	global_load_dwordx2 v[141:142], v[21:22], off offset:512
	s_waitcnt vmcnt(6)
	v_sub_co_u32 v23, vcc_lo, v23, v31
	v_sub_co_ci_u32_e64 v24, null, v24, v32, vcc_lo
	s_waitcnt vmcnt(4)
	v_cvt_f64_f32_e32 v[147:148], v17
	v_cvt_f64_f32_e32 v[17:18], v18
	;; [unrolled: 1-line block ×3, first 2 shown]
	v_lshlrev_b64 v[23:24], 6, v[23:24]
	v_cvt_f64_f32_e32 v[19:20], v20
	s_waitcnt vmcnt(3)
	v_cvt_f64_f32_e32 v[151:152], v13
	v_cvt_f64_f32_e32 v[153:154], v14
	;; [unrolled: 1-line block ×4, first 2 shown]
	v_add_co_u32 v87, vcc_lo, s2, v23
	v_add_co_ci_u32_e64 v88, null, s3, v24, vcc_lo
	v_add_co_u32 v127, vcc_lo, 0x2000, v37
	v_add_co_ci_u32_e64 v128, null, 0, v38, vcc_lo
	global_load_dwordx4 v[23:26], v[87:88], off
	global_load_dwordx4 v[55:58], v[37:38], off offset:48
	global_load_dwordx4 v[59:62], v[87:88], off offset:16
	s_clause 0x1
	global_load_dwordx4 v[63:66], v[37:38], off offset:64
	global_load_dwordx4 v[67:70], v[37:38], off offset:80
	;; [unrolled: 1-line block ×3, first 2 shown]
	s_clause 0x2
	global_load_dwordx4 v[75:78], v[37:38], off offset:96
	global_load_dwordx4 v[79:82], v[37:38], off offset:112
	global_load_dwordx4 v[83:86], v[127:128], off
	global_load_dwordx4 v[87:90], v[87:88], off offset:48
	global_load_dwordx4 v[91:94], v[127:128], off offset:16
	v_sub_co_u32 v27, vcc_lo, v27, v31
	v_sub_co_ci_u32_e64 v28, null, v28, v32, vcc_lo
	s_waitcnt vmcnt(13)
	v_cvt_f64_f32_e32 v[159:160], v9
	v_cvt_f64_f32_e32 v[161:162], v10
	;; [unrolled: 1-line block ×3, first 2 shown]
	v_lshlrev_b64 v[27:28], 6, v[27:28]
	v_cvt_f64_f32_e32 v[165:166], v12
	v_add_co_u32 v27, vcc_lo, s2, v27
	v_add_co_ci_u32_e64 v28, null, s3, v28, vcc_lo
	global_load_dwordx4 v[95:98], v[27:28], off
	s_clause 0x1
	global_load_dwordx4 v[99:102], v[127:128], off offset:32
	global_load_dwordx4 v[103:106], v[127:128], off offset:48
	;; [unrolled: 1-line block ×3, first 2 shown]
	s_clause 0x1
	global_load_dwordx4 v[111:114], v[127:128], off offset:64
	global_load_dwordx4 v[115:118], v[127:128], off offset:80
	;; [unrolled: 1-line block ×3, first 2 shown]
	v_add_co_u32 v143, vcc_lo, 0x4000, v37
	v_add_co_ci_u32_e64 v144, null, 0, v38, vcc_lo
	s_clause 0x3
	global_load_dwordx4 v[123:126], v[127:128], off offset:96
	global_load_dwordx4 v[127:130], v[127:128], off offset:112
	global_load_dwordx4 v[131:134], v[143:144], off
	global_load_dwordx4 v[135:138], v[143:144], off offset:16
	global_load_dwordx4 v[9:12], v[27:28], off offset:48
	v_add_co_u32 v145, vcc_lo, 0x6000, v37
	v_add_co_ci_u32_e64 v146, null, 0, v38, vcc_lo
	s_waitcnt vmcnt(24)
	v_sub_co_u32 v139, vcc_lo, v139, v31
	v_sub_co_ci_u32_e64 v140, null, v140, v32, vcc_lo
	v_add_co_u32 v37, s0, 0x8000, v37
	v_add_co_ci_u32_e64 v38, null, 0, v38, s0
	s_waitcnt vmcnt(22)
	v_fma_f64 v[13:14], v[147:148], v[23:24], v[45:46]
	v_fma_f64 v[27:28], v[17:18], v[23:24], v[39:40]
	;; [unrolled: 1-line block ×8, first 2 shown]
	v_lshlrev_b64 v[53:54], 6, v[139:140]
	s_waitcnt vmcnt(21)
	v_cvt_f64_f32_e32 v[167:168], v55
	v_cvt_f64_f32_e32 v[55:56], v56
	;; [unrolled: 1-line block ×4, first 2 shown]
	s_waitcnt vmcnt(19)
	v_cvt_f64_f32_e32 v[51:52], v64
	v_add_co_u32 v139, vcc_lo, s2, v53
	v_add_co_ci_u32_e64 v140, null, s3, v54, vcc_lo
	v_sub_co_u32 v141, vcc_lo, v141, v31
	v_sub_co_ci_u32_e64 v142, null, v142, v32, vcc_lo
	v_fma_f64 v[47:48], -v[17:18], v[25:26], v[13:14]
	v_fma_f64 v[27:28], v[147:148], v[25:26], v[27:28]
	v_fma_f64 v[39:40], -v[19:20], v[25:26], v[39:40]
	v_fma_f64 v[43:44], v[149:150], v[25:26], v[43:44]
	v_cvt_f64_f32_e32 v[147:148], v63
	v_fma_f64 v[45:46], -v[153:154], v[25:26], v[45:46]
	v_fma_f64 v[49:50], v[151:152], v[25:26], v[49:50]
	v_fma_f64 v[41:42], -v[157:158], v[25:26], v[41:42]
	v_fma_f64 v[63:64], v[155:156], v[25:26], v[23:24]
	global_load_dwordx4 v[23:26], v[139:140], off
	s_clause 0x1
	global_load_dwordx4 v[13:16], v[143:144], off offset:32
	global_load_dwordx4 v[17:20], v[143:144], off offset:48
	s_waitcnt vmcnt(21)
	v_cvt_f64_f32_e32 v[155:156], v67
	v_cvt_f64_f32_e32 v[67:68], v68
	;; [unrolled: 1-line block ×4, first 2 shown]
	v_lshlrev_b64 v[141:142], 6, v[141:142]
	v_add_co_u32 v141, vcc_lo, s2, v141
	v_fma_f64 v[47:48], v[159:160], v[59:60], v[47:48]
	v_fma_f64 v[27:28], v[161:162], v[59:60], v[27:28]
	;; [unrolled: 1-line block ×8, first 2 shown]
	v_cvt_f64_f32_e32 v[63:64], v65
	v_cvt_f64_f32_e32 v[65:66], v66
	s_clause 0x1
	global_load_dwordx4 v[39:42], v[143:144], off offset:64
	global_load_dwordx4 v[43:46], v[143:144], off offset:80
	v_add_co_ci_u32_e64 v142, null, s3, v142, vcc_lo
	v_add_co_u32 v33, vcc_lo, 0x100, v33
	v_add_co_ci_u32_e64 v34, null, 0, v34, vcc_lo
	v_add_co_u32 v21, vcc_lo, 0x800, v21
	v_add_co_ci_u32_e64 v22, null, 0, v22, vcc_lo
	v_fma_f64 v[161:162], -v[161:162], v[61:62], v[47:48]
	v_fma_f64 v[27:28], v[159:160], v[61:62], v[27:28]
	v_fma_f64 v[53:54], -v[165:166], v[61:62], v[53:54]
	v_fma_f64 v[149:150], v[163:164], v[61:62], v[149:150]
	;; [unrolled: 2-line block ×4, first 2 shown]
	global_load_dwordx4 v[47:50], v[139:140], off offset:16
	s_waitcnt vmcnt(22)
	v_cvt_f64_f32_e32 v[153:154], v75
	v_cvt_f64_f32_e32 v[75:76], v76
	s_waitcnt vmcnt(21)
	v_cvt_f64_f32_e32 v[165:166], v79
	v_cvt_f64_f32_e32 v[79:80], v80
	;; [unrolled: 1-line block ×4, first 2 shown]
	v_cmp_ge_i64_e32 vcc_lo, v[33:34], v[35:36]
	s_or_b32 s7, vcc_lo, s7
	v_fma_f64 v[61:62], v[147:148], v[71:72], v[161:162]
	v_fma_f64 v[27:28], v[51:52], v[71:72], v[27:28]
	;; [unrolled: 1-line block ×8, first 2 shown]
	v_cvt_f64_f32_e32 v[71:72], v77
	v_cvt_f64_f32_e32 v[77:78], v78
	global_load_dwordx4 v[55:58], v[143:144], off offset:96
	v_fma_f64 v[169:170], -v[51:52], v[73:74], v[61:62]
	global_load_dwordx4 v[51:54], v[143:144], off offset:112
	v_fma_f64 v[27:28], v[147:148], v[73:74], v[27:28]
	v_fma_f64 v[65:66], -v[65:66], v[73:74], v[159:160]
	v_fma_f64 v[63:64], v[63:64], v[73:74], v[149:150]
	v_fma_f64 v[67:68], -v[67:68], v[73:74], v[161:162]
	;; [unrolled: 2-line block ×3, first 2 shown]
	v_fma_f64 v[73:74], v[157:158], v[73:74], v[59:60]
	global_load_dwordx4 v[59:62], v[139:140], off offset:32
	s_waitcnt vmcnt(23)
	v_cvt_f64_f32_e32 v[147:148], v83
	v_cvt_f64_f32_e32 v[83:84], v84
	s_waitcnt vmcnt(21)
	v_cvt_f64_f32_e32 v[161:162], v91
	v_cvt_f64_f32_e32 v[91:92], v92
	;; [unrolled: 1-line block ×4, first 2 shown]
	v_fma_f64 v[149:150], v[153:154], v[87:88], v[169:170]
	v_fma_f64 v[27:28], v[75:76], v[87:88], v[27:28]
	;; [unrolled: 1-line block ×8, first 2 shown]
	v_cvt_f64_f32_e32 v[87:88], v85
	v_cvt_f64_f32_e32 v[85:86], v86
	s_clause 0x1
	global_load_dwordx4 v[63:66], v[145:146], off
	global_load_dwordx4 v[67:70], v[145:146], off offset:16
	v_fma_f64 v[75:76], -v[75:76], v[89:90], v[149:150]
	v_fma_f64 v[27:28], v[153:154], v[89:90], v[27:28]
	v_fma_f64 v[77:78], -v[77:78], v[89:90], v[151:152]
	v_fma_f64 v[149:150], v[71:72], v[89:90], v[155:156]
	;; [unrolled: 2-line block ×4, first 2 shown]
	global_load_dwordx4 v[71:74], v[139:140], off offset:48
	s_waitcnt vmcnt(22)
	v_cvt_f64_f32_e32 v[151:152], v99
	s_waitcnt vmcnt(21)
	v_cvt_f64_f32_e32 v[153:154], v105
	v_cvt_f64_f32_e32 v[105:106], v106
	s_waitcnt vmcnt(18)
	v_cvt_f64_f32_e32 v[155:156], v115
	v_cvt_f64_f32_e32 v[115:116], v116
	;; [unrolled: 1-line block ×4, first 2 shown]
	v_fma_f64 v[75:76], v[147:148], v[95:96], v[75:76]
	v_fma_f64 v[27:28], v[83:84], v[95:96], v[27:28]
	;; [unrolled: 1-line block ×8, first 2 shown]
	v_cvt_f64_f32_e32 v[95:96], v100
	v_cvt_f64_f32_e32 v[99:100], v101
	;; [unrolled: 1-line block ×5, first 2 shown]
	v_fma_f64 v[83:84], -v[83:84], v[97:98], v[75:76]
	v_fma_f64 v[27:28], v[147:148], v[97:98], v[27:28]
	v_fma_f64 v[85:86], -v[85:86], v[97:98], v[77:78]
	v_fma_f64 v[87:88], v[87:88], v[97:98], v[139:140]
	;; [unrolled: 2-line block ×4, first 2 shown]
	global_load_dwordx4 v[75:78], v[141:142], off
	global_load_dwordx4 v[79:82], v[145:146], off offset:32
	v_cvt_f64_f32_e32 v[147:148], v113
	v_cvt_f64_f32_e32 v[113:114], v114
	v_fma_f64 v[97:98], v[151:152], v[107:108], v[83:84]
	v_fma_f64 v[27:28], v[95:96], v[107:108], v[27:28]
	;; [unrolled: 1-line block ×8, first 2 shown]
	global_load_dwordx4 v[83:86], v[145:146], off offset:48
	v_cvt_f64_f32_e32 v[107:108], v111
	v_cvt_f64_f32_e32 v[111:112], v112
	v_fma_f64 v[95:96], -v[95:96], v[109:110], v[97:98]
	v_fma_f64 v[27:28], v[151:152], v[109:110], v[27:28]
	v_fma_f64 v[97:98], -v[101:102], v[109:110], v[143:144]
	v_fma_f64 v[99:100], v[99:100], v[109:110], v[87:88]
	;; [unrolled: 2-line block ×4, first 2 shown]
	global_load_dwordx4 v[87:90], v[141:142], off offset:16
	global_load_dwordx4 v[91:94], v[145:146], off offset:64
	s_waitcnt vmcnt(21)
	v_cvt_f64_f32_e32 v[149:150], v125
	v_cvt_f64_f32_e32 v[125:126], v126
	s_waitcnt vmcnt(20)
	v_cvt_f64_f32_e32 v[151:152], v127
	v_cvt_f64_f32_e32 v[127:128], v128
	;; [unrolled: 1-line block ×4, first 2 shown]
	v_fma_f64 v[139:140], v[107:108], v[119:120], v[95:96]
	v_fma_f64 v[27:28], v[111:112], v[119:120], v[27:28]
	;; [unrolled: 1-line block ×8, first 2 shown]
	global_load_dwordx4 v[95:98], v[145:146], off offset:80
	v_cvt_f64_f32_e32 v[119:120], v123
	v_cvt_f64_f32_e32 v[123:124], v124
	v_fma_f64 v[111:112], -v[111:112], v[121:122], v[139:140]
	v_fma_f64 v[27:28], v[107:108], v[121:122], v[27:28]
	v_fma_f64 v[113:114], -v[113:114], v[121:122], v[143:144]
	v_fma_f64 v[139:140], v[147:148], v[121:122], v[99:100]
	;; [unrolled: 2-line block ×4, first 2 shown]
	s_clause 0x1
	global_load_dwordx4 v[99:102], v[141:142], off offset:32
	global_load_dwordx4 v[103:106], v[141:142], off offset:48
	;; [unrolled: 1-line block ×3, first 2 shown]
	s_waitcnt vmcnt(22)
	v_cvt_f64_f32_e32 v[155:156], v135
	v_cvt_f64_f32_e32 v[135:136], v136
	v_cvt_f64_f32_e32 v[157:158], v137
	v_cvt_f64_f32_e32 v[137:138], v138
	s_waitcnt vmcnt(21)
	v_fma_f64 v[141:142], v[119:120], v[9:10], v[111:112]
	v_fma_f64 v[27:28], v[123:124], v[9:10], v[27:28]
	v_fma_f64 v[147:148], v[149:150], v[9:10], v[113:114]
	v_fma_f64 v[139:140], v[125:126], v[9:10], v[139:140]
	v_fma_f64 v[115:116], v[151:152], v[9:10], v[115:116]
	v_fma_f64 v[143:144], v[127:128], v[9:10], v[143:144]
	v_fma_f64 v[117:118], v[153:154], v[9:10], v[117:118]
	v_fma_f64 v[9:10], v[129:130], v[9:10], v[121:122]
	global_load_dwordx4 v[111:114], v[145:146], off offset:112
	v_cvt_f64_f32_e32 v[121:122], v131
	v_cvt_f64_f32_e32 v[131:132], v132
	;; [unrolled: 1-line block ×4, first 2 shown]
	v_fma_f64 v[123:124], -v[123:124], v[11:12], v[141:142]
	v_fma_f64 v[27:28], v[119:120], v[11:12], v[27:28]
	v_fma_f64 v[119:120], -v[125:126], v[11:12], v[147:148]
	v_fma_f64 v[125:126], v[149:150], v[11:12], v[139:140]
	;; [unrolled: 2-line block ×4, first 2 shown]
	s_waitcnt vmcnt(19)
	v_cvt_f64_f32_e32 v[129:130], v17
	v_fma_f64 v[11:12], v[121:122], v[23:24], v[123:124]
	v_cvt_f64_f32_e32 v[17:18], v18
	v_fma_f64 v[27:28], v[131:132], v[23:24], v[27:28]
	v_fma_f64 v[119:120], v[145:146], v[23:24], v[119:120]
	;; [unrolled: 1-line block ×7, first 2 shown]
	v_cvt_f64_f32_e32 v[23:24], v13
	v_cvt_f64_f32_e32 v[13:14], v14
	;; [unrolled: 1-line block ×6, first 2 shown]
	v_fma_f64 v[11:12], -v[131:132], v[25:26], v[11:12]
	s_waitcnt vmcnt(17)
	v_cvt_f64_f32_e32 v[131:132], v45
	v_fma_f64 v[27:28], v[121:122], v[25:26], v[27:28]
	v_fma_f64 v[119:120], -v[133:134], v[25:26], v[119:120]
	v_fma_f64 v[121:122], v[145:146], v[25:26], v[123:124]
	v_fma_f64 v[115:116], -v[135:136], v[25:26], v[115:116]
	v_fma_f64 v[123:124], v[155:156], v[25:26], v[125:126]
	v_fma_f64 v[117:118], -v[137:138], v[25:26], v[117:118]
	v_fma_f64 v[9:10], v[157:158], v[25:26], v[9:10]
	v_cvt_f64_f32_e32 v[125:126], v43
	v_cvt_f64_f32_e32 v[43:44], v44
	;; [unrolled: 1-line block ×3, first 2 shown]
	s_waitcnt vmcnt(16)
	v_fma_f64 v[11:12], v[23:24], v[47:48], v[11:12]
	v_fma_f64 v[25:26], v[13:14], v[47:48], v[27:28]
	;; [unrolled: 1-line block ×8, first 2 shown]
	v_cvt_f64_f32_e32 v[47:48], v39
	v_cvt_f64_f32_e32 v[39:40], v40
	;; [unrolled: 1-line block ×4, first 2 shown]
	v_fma_f64 v[11:12], -v[13:14], v[49:50], v[11:12]
	v_fma_f64 v[13:14], v[23:24], v[49:50], v[25:26]
	v_fma_f64 v[15:16], -v[15:16], v[49:50], v[27:28]
	v_fma_f64 v[23:24], v[127:128], v[49:50], v[119:120]
	;; [unrolled: 2-line block ×4, first 2 shown]
	s_waitcnt vmcnt(15)
	v_cvt_f64_f32_e32 v[27:28], v55
	v_cvt_f64_f32_e32 v[49:50], v56
	v_cvt_f64_f32_e32 v[55:56], v57
	v_cvt_f64_f32_e32 v[57:58], v58
	s_waitcnt vmcnt(14)
	v_cvt_f64_f32_e32 v[115:116], v53
	v_cvt_f64_f32_e32 v[53:54], v54
	s_waitcnt vmcnt(13)
	v_fma_f64 v[11:12], v[47:48], v[59:60], v[11:12]
	v_fma_f64 v[13:14], v[39:40], v[59:60], v[13:14]
	;; [unrolled: 1-line block ×8, first 2 shown]
	v_cvt_f64_f32_e32 v[59:60], v51
	v_cvt_f64_f32_e32 v[51:52], v52
	v_fma_f64 v[11:12], -v[39:40], v[61:62], v[11:12]
	s_waitcnt vmcnt(12)
	v_cvt_f64_f32_e32 v[39:40], v63
	v_fma_f64 v[13:14], v[47:48], v[61:62], v[13:14]
	v_fma_f64 v[15:16], -v[41:42], v[61:62], v[15:16]
	v_fma_f64 v[23:24], v[123:124], v[61:62], v[23:24]
	v_fma_f64 v[17:18], -v[43:44], v[61:62], v[17:18]
	v_fma_f64 v[25:26], v[125:126], v[61:62], v[25:26]
	v_fma_f64 v[19:20], -v[45:46], v[61:62], v[19:20]
	v_fma_f64 v[9:10], v[131:132], v[61:62], v[9:10]
	v_cvt_f64_f32_e32 v[41:42], v64
	v_cvt_f64_f32_e32 v[43:44], v65
	;; [unrolled: 1-line block ×3, first 2 shown]
	s_waitcnt vmcnt(11)
	v_cvt_f64_f32_e32 v[47:48], v67
	v_cvt_f64_f32_e32 v[61:62], v68
	;; [unrolled: 1-line block ×4, first 2 shown]
	s_waitcnt vmcnt(10)
	v_fma_f64 v[11:12], v[27:28], v[71:72], v[11:12]
	v_fma_f64 v[13:14], v[49:50], v[71:72], v[13:14]
	;; [unrolled: 1-line block ×8, first 2 shown]
	v_fma_f64 v[11:12], -v[49:50], v[73:74], v[11:12]
	v_fma_f64 v[13:14], v[27:28], v[73:74], v[13:14]
	v_fma_f64 v[15:16], -v[57:58], v[73:74], v[15:16]
	v_fma_f64 v[23:24], v[55:56], v[73:74], v[23:24]
	;; [unrolled: 2-line block ×4, first 2 shown]
	s_waitcnt vmcnt(8)
	v_cvt_f64_f32_e32 v[27:28], v79
	v_fma_f64 v[11:12], v[39:40], v[75:76], v[11:12]
	v_cvt_f64_f32_e32 v[49:50], v80
	v_fma_f64 v[13:14], v[41:42], v[75:76], v[13:14]
	v_fma_f64 v[15:16], v[43:44], v[75:76], v[15:16]
	;; [unrolled: 1-line block ×7, first 2 shown]
	v_cvt_f64_f32_e32 v[51:52], v81
	v_cvt_f64_f32_e32 v[53:54], v82
	s_waitcnt vmcnt(7)
	v_cvt_f64_f32_e32 v[55:56], v83
	v_cvt_f64_f32_e32 v[57:58], v84
	;; [unrolled: 1-line block ×4, first 2 shown]
	v_fma_f64 v[11:12], -v[41:42], v[77:78], v[11:12]
	v_fma_f64 v[13:14], v[39:40], v[77:78], v[13:14]
	v_fma_f64 v[15:16], -v[45:46], v[77:78], v[15:16]
	v_fma_f64 v[23:24], v[43:44], v[77:78], v[23:24]
	;; [unrolled: 2-line block ×4, first 2 shown]
	s_waitcnt vmcnt(5)
	v_cvt_f64_f32_e32 v[39:40], v91
	v_cvt_f64_f32_e32 v[41:42], v92
	;; [unrolled: 1-line block ×4, first 2 shown]
	v_fma_f64 v[11:12], v[27:28], v[87:88], v[11:12]
	v_fma_f64 v[13:14], v[49:50], v[87:88], v[13:14]
	;; [unrolled: 1-line block ×8, first 2 shown]
	s_waitcnt vmcnt(4)
	v_cvt_f64_f32_e32 v[47:48], v95
	v_cvt_f64_f32_e32 v[61:62], v96
	;; [unrolled: 1-line block ×4, first 2 shown]
	v_fma_f64 v[11:12], -v[49:50], v[89:90], v[11:12]
	v_fma_f64 v[13:14], v[27:28], v[89:90], v[13:14]
	v_fma_f64 v[15:16], -v[53:54], v[89:90], v[15:16]
	v_fma_f64 v[23:24], v[51:52], v[89:90], v[23:24]
	;; [unrolled: 2-line block ×4, first 2 shown]
	s_waitcnt vmcnt(1)
	v_cvt_f64_f32_e32 v[27:28], v107
	v_cvt_f64_f32_e32 v[49:50], v108
	;; [unrolled: 1-line block ×4, first 2 shown]
	v_fma_f64 v[11:12], v[39:40], v[99:100], v[11:12]
	v_fma_f64 v[13:14], v[41:42], v[99:100], v[13:14]
	;; [unrolled: 1-line block ×8, first 2 shown]
	s_waitcnt vmcnt(0)
	v_cvt_f64_f32_e32 v[55:56], v111
	v_cvt_f64_f32_e32 v[57:58], v112
	;; [unrolled: 1-line block ×4, first 2 shown]
	v_fma_f64 v[11:12], -v[41:42], v[101:102], v[11:12]
	v_fma_f64 v[13:14], v[39:40], v[101:102], v[13:14]
	v_fma_f64 v[15:16], -v[45:46], v[101:102], v[15:16]
	v_fma_f64 v[23:24], v[43:44], v[101:102], v[23:24]
	;; [unrolled: 2-line block ×4, first 2 shown]
	v_fma_f64 v[11:12], v[27:28], v[103:104], v[11:12]
	v_fma_f64 v[13:14], v[49:50], v[103:104], v[13:14]
	;; [unrolled: 1-line block ×8, first 2 shown]
	v_fma_f64 v[45:46], -v[49:50], v[105:106], v[11:12]
	v_fma_f64 v[39:40], v[27:28], v[105:106], v[13:14]
	v_fma_f64 v[53:54], -v[53:54], v[105:106], v[15:16]
	v_fma_f64 v[43:44], v[51:52], v[105:106], v[23:24]
	;; [unrolled: 2-line block ×4, first 2 shown]
	s_andn2_b32 exec_lo, exec_lo, s7
	s_cbranch_execnz .LBB179_33
; %bb.34:
	s_or_b32 exec_lo, exec_lo, s7
.LBB179_35:
	s_or_b32 exec_lo, exec_lo, s6
.LBB179_36:
	s_or_b32 exec_lo, exec_lo, s1
.LBB179_37:
	v_mbcnt_lo_u32_b32 v55, -1, 0
	v_or_b32_e32 v9, 32, v55
	v_xor_b32_e32 v25, 16, v55
	v_cmp_gt_i32_e32 vcc_lo, 32, v9
	v_cndmask_b32_e32 v9, v55, v9, vcc_lo
	v_cmp_gt_i32_e32 vcc_lo, 32, v25
	v_lshlrev_b32_e32 v24, 2, v9
	v_cndmask_b32_e32 v25, v55, v25, vcc_lo
	ds_bpermute_b32 v9, v24, v45
	ds_bpermute_b32 v10, v24, v46
	;; [unrolled: 1-line block ×16, first 2 shown]
	s_waitcnt lgkmcnt(14)
	v_add_f64 v[9:10], v[45:46], v[9:10]
	s_waitcnt lgkmcnt(12)
	v_add_f64 v[11:12], v[39:40], v[11:12]
	s_waitcnt lgkmcnt(10)
	v_add_f64 v[13:14], v[53:54], v[13:14]
	s_waitcnt lgkmcnt(8)
	v_add_f64 v[15:16], v[43:44], v[15:16]
	s_waitcnt lgkmcnt(6)
	v_add_f64 v[17:18], v[51:52], v[17:18]
	s_waitcnt lgkmcnt(4)
	v_add_f64 v[19:20], v[49:50], v[19:20]
	s_waitcnt lgkmcnt(2)
	v_add_f64 v[21:22], v[41:42], v[21:22]
	v_lshlrev_b32_e32 v42, 2, v25
	s_waitcnt lgkmcnt(0)
	v_add_f64 v[23:24], v[47:48], v[23:24]
	ds_bpermute_b32 v25, v42, v9
	ds_bpermute_b32 v26, v42, v10
	ds_bpermute_b32 v27, v42, v11
	ds_bpermute_b32 v28, v42, v12
	ds_bpermute_b32 v31, v42, v13
	ds_bpermute_b32 v32, v42, v14
	ds_bpermute_b32 v33, v42, v15
	ds_bpermute_b32 v34, v42, v16
	ds_bpermute_b32 v35, v42, v17
	ds_bpermute_b32 v36, v42, v18
	ds_bpermute_b32 v37, v42, v19
	ds_bpermute_b32 v38, v42, v20
	ds_bpermute_b32 v39, v42, v21
	ds_bpermute_b32 v40, v42, v22
	ds_bpermute_b32 v41, v42, v23
	ds_bpermute_b32 v42, v42, v24
	s_waitcnt lgkmcnt(14)
	v_add_f64 v[9:10], v[9:10], v[25:26]
	v_xor_b32_e32 v25, 8, v55
	s_waitcnt lgkmcnt(12)
	v_add_f64 v[11:12], v[11:12], v[27:28]
	s_waitcnt lgkmcnt(10)
	v_add_f64 v[13:14], v[13:14], v[31:32]
	v_cmp_gt_i32_e32 vcc_lo, 32, v25
	s_waitcnt lgkmcnt(8)
	v_add_f64 v[15:16], v[15:16], v[33:34]
	s_waitcnt lgkmcnt(6)
	v_add_f64 v[17:18], v[17:18], v[35:36]
	s_waitcnt lgkmcnt(4)
	v_add_f64 v[19:20], v[19:20], v[37:38]
	v_cndmask_b32_e32 v25, v55, v25, vcc_lo
	s_waitcnt lgkmcnt(2)
	v_add_f64 v[21:22], v[21:22], v[39:40]
	s_waitcnt lgkmcnt(0)
	v_add_f64 v[23:24], v[23:24], v[41:42]
	v_lshlrev_b32_e32 v42, 2, v25
	ds_bpermute_b32 v25, v42, v9
	ds_bpermute_b32 v26, v42, v10
	ds_bpermute_b32 v27, v42, v11
	ds_bpermute_b32 v28, v42, v12
	ds_bpermute_b32 v31, v42, v13
	ds_bpermute_b32 v32, v42, v14
	ds_bpermute_b32 v33, v42, v15
	ds_bpermute_b32 v34, v42, v16
	ds_bpermute_b32 v35, v42, v17
	ds_bpermute_b32 v36, v42, v18
	ds_bpermute_b32 v37, v42, v19
	ds_bpermute_b32 v38, v42, v20
	ds_bpermute_b32 v39, v42, v21
	ds_bpermute_b32 v40, v42, v22
	ds_bpermute_b32 v41, v42, v23
	ds_bpermute_b32 v42, v42, v24
	s_waitcnt lgkmcnt(14)
	v_add_f64 v[9:10], v[9:10], v[25:26]
	v_xor_b32_e32 v25, 4, v55
	s_waitcnt lgkmcnt(12)
	v_add_f64 v[11:12], v[11:12], v[27:28]
	s_waitcnt lgkmcnt(10)
	v_add_f64 v[13:14], v[13:14], v[31:32]
	v_cmp_gt_i32_e32 vcc_lo, 32, v25
	s_waitcnt lgkmcnt(8)
	v_add_f64 v[15:16], v[15:16], v[33:34]
	s_waitcnt lgkmcnt(6)
	v_add_f64 v[17:18], v[17:18], v[35:36]
	s_waitcnt lgkmcnt(4)
	v_add_f64 v[19:20], v[19:20], v[37:38]
	v_cndmask_b32_e32 v25, v55, v25, vcc_lo
	s_waitcnt lgkmcnt(2)
	v_add_f64 v[21:22], v[21:22], v[39:40]
	s_waitcnt lgkmcnt(0)
	v_add_f64 v[23:24], v[23:24], v[41:42]
	v_lshlrev_b32_e32 v42, 2, v25
	;; [unrolled: 36-line block ×3, first 2 shown]
	ds_bpermute_b32 v23, v42, v9
	ds_bpermute_b32 v24, v42, v10
	;; [unrolled: 1-line block ×16, first 2 shown]
	s_waitcnt lgkmcnt(14)
	v_add_f64 v[9:10], v[9:10], v[23:24]
	s_waitcnt lgkmcnt(12)
	v_add_f64 v[27:28], v[11:12], v[27:28]
	s_waitcnt lgkmcnt(10)
	v_add_f64 v[11:12], v[13:14], v[31:32]
	v_xor_b32_e32 v31, 1, v55
	s_waitcnt lgkmcnt(8)
	v_add_f64 v[23:24], v[15:16], v[33:34]
	s_waitcnt lgkmcnt(6)
	v_add_f64 v[13:14], v[17:18], v[35:36]
	v_cmp_gt_i32_e32 vcc_lo, 32, v31
	s_waitcnt lgkmcnt(4)
	v_add_f64 v[17:18], v[19:20], v[37:38]
	s_waitcnt lgkmcnt(2)
	v_add_f64 v[15:16], v[21:22], v[39:40]
	;; [unrolled: 2-line block ×3, first 2 shown]
	v_cndmask_b32_e32 v31, v55, v31, vcc_lo
	v_cmp_eq_u32_e32 vcc_lo, 63, v0
	v_lshlrev_b32_e32 v36, 2, v31
	ds_bpermute_b32 v21, v36, v9
	ds_bpermute_b32 v22, v36, v10
	;; [unrolled: 1-line block ×16, first 2 shown]
	s_and_b32 exec_lo, exec_lo, vcc_lo
	s_cbranch_execz .LBB179_8
; %bb.38:
	s_waitcnt lgkmcnt(12)
	v_add_f64 v[27:28], v[27:28], v[41:42]
	s_waitcnt lgkmcnt(8)
	v_add_f64 v[23:24], v[23:24], v[39:40]
	s_waitcnt lgkmcnt(4)
	v_add_f64 v[17:18], v[17:18], v[37:38]
	s_waitcnt lgkmcnt(0)
	v_add_f64 v[19:20], v[19:20], v[35:36]
	v_add_f64 v[9:10], v[9:10], v[21:22]
	v_add_f64 v[11:12], v[11:12], v[25:26]
	;; [unrolled: 1-line block ×4, first 2 shown]
	v_cmp_eq_f64_e32 vcc_lo, 0, v[1:2]
	v_cmp_eq_f64_e64 s0, 0, v[3:4]
	s_load_dwordx2 s[2:3], s[4:5], 0x68
	v_mul_f64 v[13:14], v[27:28], -v[7:8]
	v_mul_f64 v[15:16], v[5:6], v[27:28]
	v_mul_f64 v[27:28], v[23:24], -v[7:8]
	v_mul_f64 v[23:24], v[5:6], v[23:24]
	;; [unrolled: 2-line block ×4, first 2 shown]
	s_and_b32 s0, vcc_lo, s0
	v_fma_f64 v[17:18], v[5:6], v[9:10], v[13:14]
	v_fma_f64 v[19:20], v[7:8], v[9:10], v[15:16]
	;; [unrolled: 1-line block ×8, first 2 shown]
	v_lshlrev_b64 v[21:22], 6, v[29:30]
	s_and_saveexec_b32 s1, s0
	s_xor_b32 s0, exec_lo, s1
	s_cbranch_execz .LBB179_40
; %bb.39:
	s_waitcnt lgkmcnt(0)
	v_add_co_u32 v0, vcc_lo, s2, v21
	v_add_co_ci_u32_e64 v1, null, s3, v22, vcc_lo
                                        ; implicit-def: $vgpr21_vgpr22
	global_store_dwordx4 v[0:1], v[17:20], off
	global_store_dwordx4 v[0:1], v[13:16], off offset:16
	global_store_dwordx4 v[0:1], v[9:12], off offset:32
	;; [unrolled: 1-line block ×3, first 2 shown]
                                        ; implicit-def: $vgpr3_vgpr4
                                        ; implicit-def: $vgpr17_vgpr18
                                        ; implicit-def: $vgpr13_vgpr14
                                        ; implicit-def: $vgpr9_vgpr10
                                        ; implicit-def: $vgpr5_vgpr6
.LBB179_40:
	s_andn2_saveexec_b32 s0, s0
	s_cbranch_execz .LBB179_8
; %bb.41:
	s_waitcnt lgkmcnt(0)
	v_add_co_u32 v37, vcc_lo, s2, v21
	v_add_co_ci_u32_e64 v38, null, s3, v22, vcc_lo
	s_clause 0x3
	global_load_dwordx4 v[21:24], v[37:38], off
	global_load_dwordx4 v[25:28], v[37:38], off offset:16
	global_load_dwordx4 v[29:32], v[37:38], off offset:32
	;; [unrolled: 1-line block ×3, first 2 shown]
	s_waitcnt vmcnt(3)
	v_fma_f64 v[17:18], v[1:2], v[21:22], v[17:18]
	v_fma_f64 v[19:20], v[3:4], v[21:22], v[19:20]
	s_waitcnt vmcnt(2)
	v_fma_f64 v[13:14], v[1:2], v[25:26], v[13:14]
	v_fma_f64 v[15:16], v[3:4], v[25:26], v[15:16]
	;; [unrolled: 3-line block ×4, first 2 shown]
	v_fma_f64 v[5:6], -v[3:4], v[23:24], v[17:18]
	v_fma_f64 v[7:8], v[1:2], v[23:24], v[19:20]
	v_fma_f64 v[9:10], -v[3:4], v[27:28], v[13:14]
	v_fma_f64 v[11:12], v[1:2], v[27:28], v[15:16]
	v_fma_f64 v[13:14], -v[3:4], v[31:32], v[21:22]
	v_fma_f64 v[15:16], v[1:2], v[31:32], v[25:26]
	v_fma_f64 v[17:18], -v[3:4], v[35:36], v[29:30]
	v_fma_f64 v[19:20], v[1:2], v[35:36], v[33:34]
	global_store_dwordx4 v[37:38], v[5:8], off
	global_store_dwordx4 v[37:38], v[9:12], off offset:16
	global_store_dwordx4 v[37:38], v[13:16], off offset:32
	;; [unrolled: 1-line block ×3, first 2 shown]
	s_endpgm
	.section	.rodata,"a",@progbits
	.p2align	6, 0x0
	.amdhsa_kernel _ZN9rocsparseL18bsrxmvn_4x4_kernelILj128ELj64E21rocsparse_complex_numIdEllS1_IfES2_S2_EEvT3_20rocsparse_direction_NS_24const_host_device_scalarIT1_EES4_PKS4_PKT2_SD_SA_PKT4_PKT5_S8_PT6_21rocsparse_index_base_b
		.amdhsa_group_segment_fixed_size 0
		.amdhsa_private_segment_fixed_size 0
		.amdhsa_kernarg_size 120
		.amdhsa_user_sgpr_count 6
		.amdhsa_user_sgpr_private_segment_buffer 1
		.amdhsa_user_sgpr_dispatch_ptr 0
		.amdhsa_user_sgpr_queue_ptr 0
		.amdhsa_user_sgpr_kernarg_segment_ptr 1
		.amdhsa_user_sgpr_dispatch_id 0
		.amdhsa_user_sgpr_flat_scratch_init 0
		.amdhsa_user_sgpr_private_segment_size 0
		.amdhsa_wavefront_size32 1
		.amdhsa_uses_dynamic_stack 0
		.amdhsa_system_sgpr_private_segment_wavefront_offset 0
		.amdhsa_system_sgpr_workgroup_id_x 1
		.amdhsa_system_sgpr_workgroup_id_y 0
		.amdhsa_system_sgpr_workgroup_id_z 0
		.amdhsa_system_sgpr_workgroup_info 0
		.amdhsa_system_vgpr_workitem_id 0
		.amdhsa_next_free_vgpr 196
		.amdhsa_next_free_sgpr 16
		.amdhsa_reserve_vcc 1
		.amdhsa_reserve_flat_scratch 0
		.amdhsa_float_round_mode_32 0
		.amdhsa_float_round_mode_16_64 0
		.amdhsa_float_denorm_mode_32 3
		.amdhsa_float_denorm_mode_16_64 3
		.amdhsa_dx10_clamp 1
		.amdhsa_ieee_mode 1
		.amdhsa_fp16_overflow 0
		.amdhsa_workgroup_processor_mode 1
		.amdhsa_memory_ordered 1
		.amdhsa_forward_progress 1
		.amdhsa_shared_vgpr_count 0
		.amdhsa_exception_fp_ieee_invalid_op 0
		.amdhsa_exception_fp_denorm_src 0
		.amdhsa_exception_fp_ieee_div_zero 0
		.amdhsa_exception_fp_ieee_overflow 0
		.amdhsa_exception_fp_ieee_underflow 0
		.amdhsa_exception_fp_ieee_inexact 0
		.amdhsa_exception_int_div_zero 0
	.end_amdhsa_kernel
	.section	.text._ZN9rocsparseL18bsrxmvn_4x4_kernelILj128ELj64E21rocsparse_complex_numIdEllS1_IfES2_S2_EEvT3_20rocsparse_direction_NS_24const_host_device_scalarIT1_EES4_PKS4_PKT2_SD_SA_PKT4_PKT5_S8_PT6_21rocsparse_index_base_b,"axG",@progbits,_ZN9rocsparseL18bsrxmvn_4x4_kernelILj128ELj64E21rocsparse_complex_numIdEllS1_IfES2_S2_EEvT3_20rocsparse_direction_NS_24const_host_device_scalarIT1_EES4_PKS4_PKT2_SD_SA_PKT4_PKT5_S8_PT6_21rocsparse_index_base_b,comdat
.Lfunc_end179:
	.size	_ZN9rocsparseL18bsrxmvn_4x4_kernelILj128ELj64E21rocsparse_complex_numIdEllS1_IfES2_S2_EEvT3_20rocsparse_direction_NS_24const_host_device_scalarIT1_EES4_PKS4_PKT2_SD_SA_PKT4_PKT5_S8_PT6_21rocsparse_index_base_b, .Lfunc_end179-_ZN9rocsparseL18bsrxmvn_4x4_kernelILj128ELj64E21rocsparse_complex_numIdEllS1_IfES2_S2_EEvT3_20rocsparse_direction_NS_24const_host_device_scalarIT1_EES4_PKS4_PKT2_SD_SA_PKT4_PKT5_S8_PT6_21rocsparse_index_base_b
                                        ; -- End function
	.set _ZN9rocsparseL18bsrxmvn_4x4_kernelILj128ELj64E21rocsparse_complex_numIdEllS1_IfES2_S2_EEvT3_20rocsparse_direction_NS_24const_host_device_scalarIT1_EES4_PKS4_PKT2_SD_SA_PKT4_PKT5_S8_PT6_21rocsparse_index_base_b.num_vgpr, 196
	.set _ZN9rocsparseL18bsrxmvn_4x4_kernelILj128ELj64E21rocsparse_complex_numIdEllS1_IfES2_S2_EEvT3_20rocsparse_direction_NS_24const_host_device_scalarIT1_EES4_PKS4_PKT2_SD_SA_PKT4_PKT5_S8_PT6_21rocsparse_index_base_b.num_agpr, 0
	.set _ZN9rocsparseL18bsrxmvn_4x4_kernelILj128ELj64E21rocsparse_complex_numIdEllS1_IfES2_S2_EEvT3_20rocsparse_direction_NS_24const_host_device_scalarIT1_EES4_PKS4_PKT2_SD_SA_PKT4_PKT5_S8_PT6_21rocsparse_index_base_b.numbered_sgpr, 16
	.set _ZN9rocsparseL18bsrxmvn_4x4_kernelILj128ELj64E21rocsparse_complex_numIdEllS1_IfES2_S2_EEvT3_20rocsparse_direction_NS_24const_host_device_scalarIT1_EES4_PKS4_PKT2_SD_SA_PKT4_PKT5_S8_PT6_21rocsparse_index_base_b.num_named_barrier, 0
	.set _ZN9rocsparseL18bsrxmvn_4x4_kernelILj128ELj64E21rocsparse_complex_numIdEllS1_IfES2_S2_EEvT3_20rocsparse_direction_NS_24const_host_device_scalarIT1_EES4_PKS4_PKT2_SD_SA_PKT4_PKT5_S8_PT6_21rocsparse_index_base_b.private_seg_size, 0
	.set _ZN9rocsparseL18bsrxmvn_4x4_kernelILj128ELj64E21rocsparse_complex_numIdEllS1_IfES2_S2_EEvT3_20rocsparse_direction_NS_24const_host_device_scalarIT1_EES4_PKS4_PKT2_SD_SA_PKT4_PKT5_S8_PT6_21rocsparse_index_base_b.uses_vcc, 1
	.set _ZN9rocsparseL18bsrxmvn_4x4_kernelILj128ELj64E21rocsparse_complex_numIdEllS1_IfES2_S2_EEvT3_20rocsparse_direction_NS_24const_host_device_scalarIT1_EES4_PKS4_PKT2_SD_SA_PKT4_PKT5_S8_PT6_21rocsparse_index_base_b.uses_flat_scratch, 0
	.set _ZN9rocsparseL18bsrxmvn_4x4_kernelILj128ELj64E21rocsparse_complex_numIdEllS1_IfES2_S2_EEvT3_20rocsparse_direction_NS_24const_host_device_scalarIT1_EES4_PKS4_PKT2_SD_SA_PKT4_PKT5_S8_PT6_21rocsparse_index_base_b.has_dyn_sized_stack, 0
	.set _ZN9rocsparseL18bsrxmvn_4x4_kernelILj128ELj64E21rocsparse_complex_numIdEllS1_IfES2_S2_EEvT3_20rocsparse_direction_NS_24const_host_device_scalarIT1_EES4_PKS4_PKT2_SD_SA_PKT4_PKT5_S8_PT6_21rocsparse_index_base_b.has_recursion, 0
	.set _ZN9rocsparseL18bsrxmvn_4x4_kernelILj128ELj64E21rocsparse_complex_numIdEllS1_IfES2_S2_EEvT3_20rocsparse_direction_NS_24const_host_device_scalarIT1_EES4_PKS4_PKT2_SD_SA_PKT4_PKT5_S8_PT6_21rocsparse_index_base_b.has_indirect_call, 0
	.section	.AMDGPU.csdata,"",@progbits
; Kernel info:
; codeLenInByte = 12272
; TotalNumSgprs: 18
; NumVgprs: 196
; ScratchSize: 0
; MemoryBound: 0
; FloatMode: 240
; IeeeMode: 1
; LDSByteSize: 0 bytes/workgroup (compile time only)
; SGPRBlocks: 0
; VGPRBlocks: 24
; NumSGPRsForWavesPerEU: 18
; NumVGPRsForWavesPerEU: 196
; Occupancy: 4
; WaveLimiterHint : 1
; COMPUTE_PGM_RSRC2:SCRATCH_EN: 0
; COMPUTE_PGM_RSRC2:USER_SGPR: 6
; COMPUTE_PGM_RSRC2:TRAP_HANDLER: 0
; COMPUTE_PGM_RSRC2:TGID_X_EN: 1
; COMPUTE_PGM_RSRC2:TGID_Y_EN: 0
; COMPUTE_PGM_RSRC2:TGID_Z_EN: 0
; COMPUTE_PGM_RSRC2:TIDIG_COMP_CNT: 0
	.section	.AMDGPU.gpr_maximums,"",@progbits
	.set amdgpu.max_num_vgpr, 0
	.set amdgpu.max_num_agpr, 0
	.set amdgpu.max_num_sgpr, 0
	.section	.AMDGPU.csdata,"",@progbits
	.type	__hip_cuid_c3a0251ad55d5d44,@object ; @__hip_cuid_c3a0251ad55d5d44
	.section	.bss,"aw",@nobits
	.globl	__hip_cuid_c3a0251ad55d5d44
__hip_cuid_c3a0251ad55d5d44:
	.byte	0                               ; 0x0
	.size	__hip_cuid_c3a0251ad55d5d44, 1

	.ident	"AMD clang version 22.0.0git (https://github.com/RadeonOpenCompute/llvm-project roc-7.2.4 26084 f58b06dce1f9c15707c5f808fd002e18c2accf7e)"
	.section	".note.GNU-stack","",@progbits
	.addrsig
	.addrsig_sym __hip_cuid_c3a0251ad55d5d44
	.amdgpu_metadata
---
amdhsa.kernels:
  - .args:
      - .offset:         0
        .size:           4
        .value_kind:     by_value
      - .offset:         4
        .size:           4
        .value_kind:     by_value
      - .offset:         8
        .size:           8
        .value_kind:     by_value
      - .offset:         16
        .size:           4
        .value_kind:     by_value
      - .actual_access:  read_only
        .address_space:  global
        .offset:         24
        .size:           8
        .value_kind:     global_buffer
      - .actual_access:  read_only
        .address_space:  global
        .offset:         32
        .size:           8
        .value_kind:     global_buffer
      - .actual_access:  read_only
        .address_space:  global
        .offset:         40
        .size:           8
        .value_kind:     global_buffer
      - .actual_access:  read_only
        .address_space:  global
        .offset:         48
        .size:           8
        .value_kind:     global_buffer
      - .actual_access:  read_only
        .address_space:  global
        .offset:         56
        .size:           8
        .value_kind:     global_buffer
      - .actual_access:  read_only
        .address_space:  global
        .offset:         64
        .size:           8
        .value_kind:     global_buffer
      - .offset:         72
        .size:           8
        .value_kind:     by_value
      - .address_space:  global
        .offset:         80
        .size:           8
        .value_kind:     global_buffer
      - .offset:         88
        .size:           4
        .value_kind:     by_value
      - .offset:         92
        .size:           1
        .value_kind:     by_value
    .group_segment_fixed_size: 0
    .kernarg_segment_align: 8
    .kernarg_segment_size: 96
    .language:       OpenCL C
    .language_version:
      - 2
      - 0
    .max_flat_workgroup_size: 128
    .name:           _ZN9rocsparseL18bsrxmvn_4x4_kernelILj128ELj4EfiifffEEvT3_20rocsparse_direction_NS_24const_host_device_scalarIT1_EES1_PKS1_PKT2_SA_S7_PKT4_PKT5_S5_PT6_21rocsparse_index_base_b
    .private_segment_fixed_size: 0
    .sgpr_count:     22
    .sgpr_spill_count: 0
    .symbol:         _ZN9rocsparseL18bsrxmvn_4x4_kernelILj128ELj4EfiifffEEvT3_20rocsparse_direction_NS_24const_host_device_scalarIT1_EES1_PKS1_PKT2_SA_S7_PKT4_PKT5_S5_PT6_21rocsparse_index_base_b.kd
    .uniform_work_group_size: 1
    .uses_dynamic_stack: false
    .vgpr_count:     66
    .vgpr_spill_count: 0
    .wavefront_size: 32
    .workgroup_processor_mode: 1
  - .args:
      - .offset:         0
        .size:           4
        .value_kind:     by_value
      - .offset:         4
        .size:           4
        .value_kind:     by_value
      - .offset:         8
        .size:           8
        .value_kind:     by_value
      - .offset:         16
        .size:           4
        .value_kind:     by_value
      - .actual_access:  read_only
        .address_space:  global
        .offset:         24
        .size:           8
        .value_kind:     global_buffer
      - .actual_access:  read_only
        .address_space:  global
        .offset:         32
        .size:           8
        .value_kind:     global_buffer
      - .actual_access:  read_only
        .address_space:  global
        .offset:         40
        .size:           8
        .value_kind:     global_buffer
      - .actual_access:  read_only
        .address_space:  global
        .offset:         48
        .size:           8
        .value_kind:     global_buffer
      - .actual_access:  read_only
        .address_space:  global
        .offset:         56
        .size:           8
        .value_kind:     global_buffer
      - .actual_access:  read_only
        .address_space:  global
        .offset:         64
        .size:           8
        .value_kind:     global_buffer
      - .offset:         72
        .size:           8
        .value_kind:     by_value
      - .address_space:  global
        .offset:         80
        .size:           8
        .value_kind:     global_buffer
      - .offset:         88
        .size:           4
        .value_kind:     by_value
      - .offset:         92
        .size:           1
        .value_kind:     by_value
    .group_segment_fixed_size: 0
    .kernarg_segment_align: 8
    .kernarg_segment_size: 96
    .language:       OpenCL C
    .language_version:
      - 2
      - 0
    .max_flat_workgroup_size: 128
    .name:           _ZN9rocsparseL18bsrxmvn_4x4_kernelILj128ELj8EfiifffEEvT3_20rocsparse_direction_NS_24const_host_device_scalarIT1_EES1_PKS1_PKT2_SA_S7_PKT4_PKT5_S5_PT6_21rocsparse_index_base_b
    .private_segment_fixed_size: 0
    .sgpr_count:     22
    .sgpr_spill_count: 0
    .symbol:         _ZN9rocsparseL18bsrxmvn_4x4_kernelILj128ELj8EfiifffEEvT3_20rocsparse_direction_NS_24const_host_device_scalarIT1_EES1_PKS1_PKT2_SA_S7_PKT4_PKT5_S5_PT6_21rocsparse_index_base_b.kd
    .uniform_work_group_size: 1
    .uses_dynamic_stack: false
    .vgpr_count:     66
    .vgpr_spill_count: 0
    .wavefront_size: 32
    .workgroup_processor_mode: 1
  - .args:
      - .offset:         0
        .size:           4
        .value_kind:     by_value
      - .offset:         4
        .size:           4
        .value_kind:     by_value
      - .offset:         8
        .size:           8
        .value_kind:     by_value
      - .offset:         16
        .size:           4
        .value_kind:     by_value
      - .actual_access:  read_only
        .address_space:  global
        .offset:         24
        .size:           8
        .value_kind:     global_buffer
      - .actual_access:  read_only
        .address_space:  global
        .offset:         32
        .size:           8
        .value_kind:     global_buffer
      - .actual_access:  read_only
        .address_space:  global
        .offset:         40
        .size:           8
        .value_kind:     global_buffer
      - .actual_access:  read_only
        .address_space:  global
        .offset:         48
        .size:           8
        .value_kind:     global_buffer
      - .actual_access:  read_only
        .address_space:  global
        .offset:         56
        .size:           8
        .value_kind:     global_buffer
      - .actual_access:  read_only
        .address_space:  global
        .offset:         64
        .size:           8
        .value_kind:     global_buffer
      - .offset:         72
        .size:           8
        .value_kind:     by_value
      - .address_space:  global
        .offset:         80
        .size:           8
        .value_kind:     global_buffer
      - .offset:         88
        .size:           4
        .value_kind:     by_value
      - .offset:         92
        .size:           1
        .value_kind:     by_value
    .group_segment_fixed_size: 0
    .kernarg_segment_align: 8
    .kernarg_segment_size: 96
    .language:       OpenCL C
    .language_version:
      - 2
      - 0
    .max_flat_workgroup_size: 128
    .name:           _ZN9rocsparseL18bsrxmvn_4x4_kernelILj128ELj16EfiifffEEvT3_20rocsparse_direction_NS_24const_host_device_scalarIT1_EES1_PKS1_PKT2_SA_S7_PKT4_PKT5_S5_PT6_21rocsparse_index_base_b
    .private_segment_fixed_size: 0
    .sgpr_count:     22
    .sgpr_spill_count: 0
    .symbol:         _ZN9rocsparseL18bsrxmvn_4x4_kernelILj128ELj16EfiifffEEvT3_20rocsparse_direction_NS_24const_host_device_scalarIT1_EES1_PKS1_PKT2_SA_S7_PKT4_PKT5_S5_PT6_21rocsparse_index_base_b.kd
    .uniform_work_group_size: 1
    .uses_dynamic_stack: false
    .vgpr_count:     66
    .vgpr_spill_count: 0
    .wavefront_size: 32
    .workgroup_processor_mode: 1
  - .args:
      - .offset:         0
        .size:           4
        .value_kind:     by_value
      - .offset:         4
        .size:           4
        .value_kind:     by_value
      - .offset:         8
        .size:           8
        .value_kind:     by_value
      - .offset:         16
        .size:           4
        .value_kind:     by_value
      - .actual_access:  read_only
        .address_space:  global
        .offset:         24
        .size:           8
        .value_kind:     global_buffer
      - .actual_access:  read_only
        .address_space:  global
        .offset:         32
        .size:           8
        .value_kind:     global_buffer
      - .actual_access:  read_only
        .address_space:  global
        .offset:         40
        .size:           8
        .value_kind:     global_buffer
      - .actual_access:  read_only
        .address_space:  global
        .offset:         48
        .size:           8
        .value_kind:     global_buffer
      - .actual_access:  read_only
        .address_space:  global
        .offset:         56
        .size:           8
        .value_kind:     global_buffer
      - .actual_access:  read_only
        .address_space:  global
        .offset:         64
        .size:           8
        .value_kind:     global_buffer
      - .offset:         72
        .size:           8
        .value_kind:     by_value
      - .address_space:  global
        .offset:         80
        .size:           8
        .value_kind:     global_buffer
      - .offset:         88
        .size:           4
        .value_kind:     by_value
      - .offset:         92
        .size:           1
        .value_kind:     by_value
    .group_segment_fixed_size: 0
    .kernarg_segment_align: 8
    .kernarg_segment_size: 96
    .language:       OpenCL C
    .language_version:
      - 2
      - 0
    .max_flat_workgroup_size: 128
    .name:           _ZN9rocsparseL18bsrxmvn_4x4_kernelILj128ELj32EfiifffEEvT3_20rocsparse_direction_NS_24const_host_device_scalarIT1_EES1_PKS1_PKT2_SA_S7_PKT4_PKT5_S5_PT6_21rocsparse_index_base_b
    .private_segment_fixed_size: 0
    .sgpr_count:     22
    .sgpr_spill_count: 0
    .symbol:         _ZN9rocsparseL18bsrxmvn_4x4_kernelILj128ELj32EfiifffEEvT3_20rocsparse_direction_NS_24const_host_device_scalarIT1_EES1_PKS1_PKT2_SA_S7_PKT4_PKT5_S5_PT6_21rocsparse_index_base_b.kd
    .uniform_work_group_size: 1
    .uses_dynamic_stack: false
    .vgpr_count:     66
    .vgpr_spill_count: 0
    .wavefront_size: 32
    .workgroup_processor_mode: 1
  - .args:
      - .offset:         0
        .size:           4
        .value_kind:     by_value
      - .offset:         4
        .size:           4
        .value_kind:     by_value
      - .offset:         8
        .size:           8
        .value_kind:     by_value
      - .offset:         16
        .size:           4
        .value_kind:     by_value
      - .actual_access:  read_only
        .address_space:  global
        .offset:         24
        .size:           8
        .value_kind:     global_buffer
      - .actual_access:  read_only
        .address_space:  global
        .offset:         32
        .size:           8
        .value_kind:     global_buffer
      - .actual_access:  read_only
        .address_space:  global
        .offset:         40
        .size:           8
        .value_kind:     global_buffer
      - .actual_access:  read_only
        .address_space:  global
        .offset:         48
        .size:           8
        .value_kind:     global_buffer
      - .actual_access:  read_only
        .address_space:  global
        .offset:         56
        .size:           8
        .value_kind:     global_buffer
      - .actual_access:  read_only
        .address_space:  global
        .offset:         64
        .size:           8
        .value_kind:     global_buffer
      - .offset:         72
        .size:           8
        .value_kind:     by_value
      - .address_space:  global
        .offset:         80
        .size:           8
        .value_kind:     global_buffer
      - .offset:         88
        .size:           4
        .value_kind:     by_value
      - .offset:         92
        .size:           1
        .value_kind:     by_value
    .group_segment_fixed_size: 0
    .kernarg_segment_align: 8
    .kernarg_segment_size: 96
    .language:       OpenCL C
    .language_version:
      - 2
      - 0
    .max_flat_workgroup_size: 128
    .name:           _ZN9rocsparseL18bsrxmvn_4x4_kernelILj128ELj64EfiifffEEvT3_20rocsparse_direction_NS_24const_host_device_scalarIT1_EES1_PKS1_PKT2_SA_S7_PKT4_PKT5_S5_PT6_21rocsparse_index_base_b
    .private_segment_fixed_size: 0
    .sgpr_count:     22
    .sgpr_spill_count: 0
    .symbol:         _ZN9rocsparseL18bsrxmvn_4x4_kernelILj128ELj64EfiifffEEvT3_20rocsparse_direction_NS_24const_host_device_scalarIT1_EES1_PKS1_PKT2_SA_S7_PKT4_PKT5_S5_PT6_21rocsparse_index_base_b.kd
    .uniform_work_group_size: 1
    .uses_dynamic_stack: false
    .vgpr_count:     66
    .vgpr_spill_count: 0
    .wavefront_size: 32
    .workgroup_processor_mode: 1
  - .args:
      - .offset:         0
        .size:           4
        .value_kind:     by_value
      - .offset:         4
        .size:           4
        .value_kind:     by_value
      - .offset:         8
        .size:           8
        .value_kind:     by_value
      - .offset:         16
        .size:           4
        .value_kind:     by_value
      - .actual_access:  read_only
        .address_space:  global
        .offset:         24
        .size:           8
        .value_kind:     global_buffer
      - .actual_access:  read_only
        .address_space:  global
        .offset:         32
        .size:           8
        .value_kind:     global_buffer
      - .actual_access:  read_only
        .address_space:  global
        .offset:         40
        .size:           8
        .value_kind:     global_buffer
      - .actual_access:  read_only
        .address_space:  global
        .offset:         48
        .size:           8
        .value_kind:     global_buffer
      - .actual_access:  read_only
        .address_space:  global
        .offset:         56
        .size:           8
        .value_kind:     global_buffer
      - .actual_access:  read_only
        .address_space:  global
        .offset:         64
        .size:           8
        .value_kind:     global_buffer
      - .offset:         72
        .size:           8
        .value_kind:     by_value
      - .address_space:  global
        .offset:         80
        .size:           8
        .value_kind:     global_buffer
      - .offset:         88
        .size:           4
        .value_kind:     by_value
      - .offset:         92
        .size:           1
        .value_kind:     by_value
    .group_segment_fixed_size: 0
    .kernarg_segment_align: 8
    .kernarg_segment_size: 96
    .language:       OpenCL C
    .language_version:
      - 2
      - 0
    .max_flat_workgroup_size: 128
    .name:           _ZN9rocsparseL18bsrxmvn_4x4_kernelILj128ELj4EdiidddEEvT3_20rocsparse_direction_NS_24const_host_device_scalarIT1_EES1_PKS1_PKT2_SA_S7_PKT4_PKT5_S5_PT6_21rocsparse_index_base_b
    .private_segment_fixed_size: 0
    .sgpr_count:     18
    .sgpr_spill_count: 0
    .symbol:         _ZN9rocsparseL18bsrxmvn_4x4_kernelILj128ELj4EdiidddEEvT3_20rocsparse_direction_NS_24const_host_device_scalarIT1_EES1_PKS1_PKT2_SA_S7_PKT4_PKT5_S5_PT6_21rocsparse_index_base_b.kd
    .uniform_work_group_size: 1
    .uses_dynamic_stack: false
    .vgpr_count:     122
    .vgpr_spill_count: 0
    .wavefront_size: 32
    .workgroup_processor_mode: 1
  - .args:
      - .offset:         0
        .size:           4
        .value_kind:     by_value
      - .offset:         4
        .size:           4
        .value_kind:     by_value
      - .offset:         8
        .size:           8
        .value_kind:     by_value
      - .offset:         16
        .size:           4
        .value_kind:     by_value
      - .actual_access:  read_only
        .address_space:  global
        .offset:         24
        .size:           8
        .value_kind:     global_buffer
      - .actual_access:  read_only
        .address_space:  global
        .offset:         32
        .size:           8
        .value_kind:     global_buffer
      - .actual_access:  read_only
        .address_space:  global
        .offset:         40
        .size:           8
        .value_kind:     global_buffer
      - .actual_access:  read_only
        .address_space:  global
        .offset:         48
        .size:           8
        .value_kind:     global_buffer
      - .actual_access:  read_only
        .address_space:  global
        .offset:         56
        .size:           8
        .value_kind:     global_buffer
      - .actual_access:  read_only
        .address_space:  global
        .offset:         64
        .size:           8
        .value_kind:     global_buffer
      - .offset:         72
        .size:           8
        .value_kind:     by_value
      - .address_space:  global
        .offset:         80
        .size:           8
        .value_kind:     global_buffer
      - .offset:         88
        .size:           4
        .value_kind:     by_value
      - .offset:         92
        .size:           1
        .value_kind:     by_value
    .group_segment_fixed_size: 0
    .kernarg_segment_align: 8
    .kernarg_segment_size: 96
    .language:       OpenCL C
    .language_version:
      - 2
      - 0
    .max_flat_workgroup_size: 128
    .name:           _ZN9rocsparseL18bsrxmvn_4x4_kernelILj128ELj8EdiidddEEvT3_20rocsparse_direction_NS_24const_host_device_scalarIT1_EES1_PKS1_PKT2_SA_S7_PKT4_PKT5_S5_PT6_21rocsparse_index_base_b
    .private_segment_fixed_size: 0
    .sgpr_count:     18
    .sgpr_spill_count: 0
    .symbol:         _ZN9rocsparseL18bsrxmvn_4x4_kernelILj128ELj8EdiidddEEvT3_20rocsparse_direction_NS_24const_host_device_scalarIT1_EES1_PKS1_PKT2_SA_S7_PKT4_PKT5_S5_PT6_21rocsparse_index_base_b.kd
    .uniform_work_group_size: 1
    .uses_dynamic_stack: false
    .vgpr_count:     121
    .vgpr_spill_count: 0
    .wavefront_size: 32
    .workgroup_processor_mode: 1
  - .args:
      - .offset:         0
        .size:           4
        .value_kind:     by_value
      - .offset:         4
        .size:           4
        .value_kind:     by_value
      - .offset:         8
        .size:           8
        .value_kind:     by_value
      - .offset:         16
        .size:           4
        .value_kind:     by_value
      - .actual_access:  read_only
        .address_space:  global
        .offset:         24
        .size:           8
        .value_kind:     global_buffer
      - .actual_access:  read_only
        .address_space:  global
        .offset:         32
        .size:           8
        .value_kind:     global_buffer
      - .actual_access:  read_only
        .address_space:  global
        .offset:         40
        .size:           8
        .value_kind:     global_buffer
      - .actual_access:  read_only
        .address_space:  global
        .offset:         48
        .size:           8
        .value_kind:     global_buffer
      - .actual_access:  read_only
        .address_space:  global
        .offset:         56
        .size:           8
        .value_kind:     global_buffer
      - .actual_access:  read_only
        .address_space:  global
        .offset:         64
        .size:           8
        .value_kind:     global_buffer
      - .offset:         72
        .size:           8
        .value_kind:     by_value
      - .address_space:  global
        .offset:         80
        .size:           8
        .value_kind:     global_buffer
      - .offset:         88
        .size:           4
        .value_kind:     by_value
      - .offset:         92
        .size:           1
        .value_kind:     by_value
    .group_segment_fixed_size: 0
    .kernarg_segment_align: 8
    .kernarg_segment_size: 96
    .language:       OpenCL C
    .language_version:
      - 2
      - 0
    .max_flat_workgroup_size: 128
    .name:           _ZN9rocsparseL18bsrxmvn_4x4_kernelILj128ELj16EdiidddEEvT3_20rocsparse_direction_NS_24const_host_device_scalarIT1_EES1_PKS1_PKT2_SA_S7_PKT4_PKT5_S5_PT6_21rocsparse_index_base_b
    .private_segment_fixed_size: 0
    .sgpr_count:     18
    .sgpr_spill_count: 0
    .symbol:         _ZN9rocsparseL18bsrxmvn_4x4_kernelILj128ELj16EdiidddEEvT3_20rocsparse_direction_NS_24const_host_device_scalarIT1_EES1_PKS1_PKT2_SA_S7_PKT4_PKT5_S5_PT6_21rocsparse_index_base_b.kd
    .uniform_work_group_size: 1
    .uses_dynamic_stack: false
    .vgpr_count:     122
    .vgpr_spill_count: 0
    .wavefront_size: 32
    .workgroup_processor_mode: 1
  - .args:
      - .offset:         0
        .size:           4
        .value_kind:     by_value
      - .offset:         4
        .size:           4
        .value_kind:     by_value
      - .offset:         8
        .size:           8
        .value_kind:     by_value
      - .offset:         16
        .size:           4
        .value_kind:     by_value
      - .actual_access:  read_only
        .address_space:  global
        .offset:         24
        .size:           8
        .value_kind:     global_buffer
      - .actual_access:  read_only
        .address_space:  global
        .offset:         32
        .size:           8
        .value_kind:     global_buffer
      - .actual_access:  read_only
        .address_space:  global
        .offset:         40
        .size:           8
        .value_kind:     global_buffer
      - .actual_access:  read_only
        .address_space:  global
        .offset:         48
        .size:           8
        .value_kind:     global_buffer
      - .actual_access:  read_only
        .address_space:  global
        .offset:         56
        .size:           8
        .value_kind:     global_buffer
      - .actual_access:  read_only
        .address_space:  global
        .offset:         64
        .size:           8
        .value_kind:     global_buffer
      - .offset:         72
        .size:           8
        .value_kind:     by_value
      - .address_space:  global
        .offset:         80
        .size:           8
        .value_kind:     global_buffer
      - .offset:         88
        .size:           4
        .value_kind:     by_value
      - .offset:         92
        .size:           1
        .value_kind:     by_value
    .group_segment_fixed_size: 0
    .kernarg_segment_align: 8
    .kernarg_segment_size: 96
    .language:       OpenCL C
    .language_version:
      - 2
      - 0
    .max_flat_workgroup_size: 128
    .name:           _ZN9rocsparseL18bsrxmvn_4x4_kernelILj128ELj32EdiidddEEvT3_20rocsparse_direction_NS_24const_host_device_scalarIT1_EES1_PKS1_PKT2_SA_S7_PKT4_PKT5_S5_PT6_21rocsparse_index_base_b
    .private_segment_fixed_size: 0
    .sgpr_count:     18
    .sgpr_spill_count: 0
    .symbol:         _ZN9rocsparseL18bsrxmvn_4x4_kernelILj128ELj32EdiidddEEvT3_20rocsparse_direction_NS_24const_host_device_scalarIT1_EES1_PKS1_PKT2_SA_S7_PKT4_PKT5_S5_PT6_21rocsparse_index_base_b.kd
    .uniform_work_group_size: 1
    .uses_dynamic_stack: false
    .vgpr_count:     122
    .vgpr_spill_count: 0
    .wavefront_size: 32
    .workgroup_processor_mode: 1
  - .args:
      - .offset:         0
        .size:           4
        .value_kind:     by_value
      - .offset:         4
        .size:           4
        .value_kind:     by_value
      - .offset:         8
        .size:           8
        .value_kind:     by_value
      - .offset:         16
        .size:           4
        .value_kind:     by_value
      - .actual_access:  read_only
        .address_space:  global
        .offset:         24
        .size:           8
        .value_kind:     global_buffer
      - .actual_access:  read_only
        .address_space:  global
        .offset:         32
        .size:           8
        .value_kind:     global_buffer
      - .actual_access:  read_only
        .address_space:  global
        .offset:         40
        .size:           8
        .value_kind:     global_buffer
      - .actual_access:  read_only
        .address_space:  global
        .offset:         48
        .size:           8
        .value_kind:     global_buffer
      - .actual_access:  read_only
        .address_space:  global
        .offset:         56
        .size:           8
        .value_kind:     global_buffer
      - .actual_access:  read_only
        .address_space:  global
        .offset:         64
        .size:           8
        .value_kind:     global_buffer
      - .offset:         72
        .size:           8
        .value_kind:     by_value
      - .address_space:  global
        .offset:         80
        .size:           8
        .value_kind:     global_buffer
      - .offset:         88
        .size:           4
        .value_kind:     by_value
      - .offset:         92
        .size:           1
        .value_kind:     by_value
    .group_segment_fixed_size: 0
    .kernarg_segment_align: 8
    .kernarg_segment_size: 96
    .language:       OpenCL C
    .language_version:
      - 2
      - 0
    .max_flat_workgroup_size: 128
    .name:           _ZN9rocsparseL18bsrxmvn_4x4_kernelILj128ELj64EdiidddEEvT3_20rocsparse_direction_NS_24const_host_device_scalarIT1_EES1_PKS1_PKT2_SA_S7_PKT4_PKT5_S5_PT6_21rocsparse_index_base_b
    .private_segment_fixed_size: 0
    .sgpr_count:     18
    .sgpr_spill_count: 0
    .symbol:         _ZN9rocsparseL18bsrxmvn_4x4_kernelILj128ELj64EdiidddEEvT3_20rocsparse_direction_NS_24const_host_device_scalarIT1_EES1_PKS1_PKT2_SA_S7_PKT4_PKT5_S5_PT6_21rocsparse_index_base_b.kd
    .uniform_work_group_size: 1
    .uses_dynamic_stack: false
    .vgpr_count:     122
    .vgpr_spill_count: 0
    .wavefront_size: 32
    .workgroup_processor_mode: 1
  - .args:
      - .offset:         0
        .size:           4
        .value_kind:     by_value
      - .offset:         4
        .size:           4
        .value_kind:     by_value
      - .offset:         8
        .size:           8
        .value_kind:     by_value
      - .offset:         16
        .size:           4
        .value_kind:     by_value
      - .actual_access:  read_only
        .address_space:  global
        .offset:         24
        .size:           8
        .value_kind:     global_buffer
      - .actual_access:  read_only
        .address_space:  global
        .offset:         32
        .size:           8
        .value_kind:     global_buffer
      - .actual_access:  read_only
        .address_space:  global
        .offset:         40
        .size:           8
        .value_kind:     global_buffer
      - .actual_access:  read_only
        .address_space:  global
        .offset:         48
        .size:           8
        .value_kind:     global_buffer
      - .actual_access:  read_only
        .address_space:  global
        .offset:         56
        .size:           8
        .value_kind:     global_buffer
      - .actual_access:  read_only
        .address_space:  global
        .offset:         64
        .size:           8
        .value_kind:     global_buffer
      - .offset:         72
        .size:           8
        .value_kind:     by_value
      - .address_space:  global
        .offset:         80
        .size:           8
        .value_kind:     global_buffer
      - .offset:         88
        .size:           4
        .value_kind:     by_value
      - .offset:         92
        .size:           1
        .value_kind:     by_value
    .group_segment_fixed_size: 0
    .kernarg_segment_align: 8
    .kernarg_segment_size: 96
    .language:       OpenCL C
    .language_version:
      - 2
      - 0
    .max_flat_workgroup_size: 128
    .name:           _ZN9rocsparseL18bsrxmvn_4x4_kernelILj128ELj4E21rocsparse_complex_numIfEiiS2_S2_S2_EEvT3_20rocsparse_direction_NS_24const_host_device_scalarIT1_EES3_PKS3_PKT2_SC_S9_PKT4_PKT5_S7_PT6_21rocsparse_index_base_b
    .private_segment_fixed_size: 0
    .sgpr_count:     18
    .sgpr_spill_count: 0
    .symbol:         _ZN9rocsparseL18bsrxmvn_4x4_kernelILj128ELj4E21rocsparse_complex_numIfEiiS2_S2_S2_EEvT3_20rocsparse_direction_NS_24const_host_device_scalarIT1_EES3_PKS3_PKT2_SC_S9_PKT4_PKT5_S7_PT6_21rocsparse_index_base_b.kd
    .uniform_work_group_size: 1
    .uses_dynamic_stack: false
    .vgpr_count:     120
    .vgpr_spill_count: 0
    .wavefront_size: 32
    .workgroup_processor_mode: 1
  - .args:
      - .offset:         0
        .size:           4
        .value_kind:     by_value
      - .offset:         4
        .size:           4
        .value_kind:     by_value
      - .offset:         8
        .size:           8
        .value_kind:     by_value
      - .offset:         16
        .size:           4
        .value_kind:     by_value
      - .actual_access:  read_only
        .address_space:  global
        .offset:         24
        .size:           8
        .value_kind:     global_buffer
      - .actual_access:  read_only
        .address_space:  global
        .offset:         32
        .size:           8
        .value_kind:     global_buffer
      - .actual_access:  read_only
        .address_space:  global
        .offset:         40
        .size:           8
        .value_kind:     global_buffer
      - .actual_access:  read_only
        .address_space:  global
        .offset:         48
        .size:           8
        .value_kind:     global_buffer
      - .actual_access:  read_only
        .address_space:  global
        .offset:         56
        .size:           8
        .value_kind:     global_buffer
      - .actual_access:  read_only
        .address_space:  global
        .offset:         64
        .size:           8
        .value_kind:     global_buffer
      - .offset:         72
        .size:           8
        .value_kind:     by_value
      - .address_space:  global
        .offset:         80
        .size:           8
        .value_kind:     global_buffer
      - .offset:         88
        .size:           4
        .value_kind:     by_value
      - .offset:         92
        .size:           1
        .value_kind:     by_value
    .group_segment_fixed_size: 0
    .kernarg_segment_align: 8
    .kernarg_segment_size: 96
    .language:       OpenCL C
    .language_version:
      - 2
      - 0
    .max_flat_workgroup_size: 128
    .name:           _ZN9rocsparseL18bsrxmvn_4x4_kernelILj128ELj8E21rocsparse_complex_numIfEiiS2_S2_S2_EEvT3_20rocsparse_direction_NS_24const_host_device_scalarIT1_EES3_PKS3_PKT2_SC_S9_PKT4_PKT5_S7_PT6_21rocsparse_index_base_b
    .private_segment_fixed_size: 0
    .sgpr_count:     18
    .sgpr_spill_count: 0
    .symbol:         _ZN9rocsparseL18bsrxmvn_4x4_kernelILj128ELj8E21rocsparse_complex_numIfEiiS2_S2_S2_EEvT3_20rocsparse_direction_NS_24const_host_device_scalarIT1_EES3_PKS3_PKT2_SC_S9_PKT4_PKT5_S7_PT6_21rocsparse_index_base_b.kd
    .uniform_work_group_size: 1
    .uses_dynamic_stack: false
    .vgpr_count:     118
    .vgpr_spill_count: 0
    .wavefront_size: 32
    .workgroup_processor_mode: 1
  - .args:
      - .offset:         0
        .size:           4
        .value_kind:     by_value
      - .offset:         4
        .size:           4
        .value_kind:     by_value
      - .offset:         8
        .size:           8
        .value_kind:     by_value
      - .offset:         16
        .size:           4
        .value_kind:     by_value
      - .actual_access:  read_only
        .address_space:  global
        .offset:         24
        .size:           8
        .value_kind:     global_buffer
      - .actual_access:  read_only
        .address_space:  global
        .offset:         32
        .size:           8
        .value_kind:     global_buffer
      - .actual_access:  read_only
        .address_space:  global
        .offset:         40
        .size:           8
        .value_kind:     global_buffer
      - .actual_access:  read_only
        .address_space:  global
        .offset:         48
        .size:           8
        .value_kind:     global_buffer
      - .actual_access:  read_only
        .address_space:  global
        .offset:         56
        .size:           8
        .value_kind:     global_buffer
      - .actual_access:  read_only
        .address_space:  global
        .offset:         64
        .size:           8
        .value_kind:     global_buffer
      - .offset:         72
        .size:           8
        .value_kind:     by_value
      - .address_space:  global
        .offset:         80
        .size:           8
        .value_kind:     global_buffer
      - .offset:         88
        .size:           4
        .value_kind:     by_value
      - .offset:         92
        .size:           1
        .value_kind:     by_value
    .group_segment_fixed_size: 0
    .kernarg_segment_align: 8
    .kernarg_segment_size: 96
    .language:       OpenCL C
    .language_version:
      - 2
      - 0
    .max_flat_workgroup_size: 128
    .name:           _ZN9rocsparseL18bsrxmvn_4x4_kernelILj128ELj16E21rocsparse_complex_numIfEiiS2_S2_S2_EEvT3_20rocsparse_direction_NS_24const_host_device_scalarIT1_EES3_PKS3_PKT2_SC_S9_PKT4_PKT5_S7_PT6_21rocsparse_index_base_b
    .private_segment_fixed_size: 0
    .sgpr_count:     18
    .sgpr_spill_count: 0
    .symbol:         _ZN9rocsparseL18bsrxmvn_4x4_kernelILj128ELj16E21rocsparse_complex_numIfEiiS2_S2_S2_EEvT3_20rocsparse_direction_NS_24const_host_device_scalarIT1_EES3_PKS3_PKT2_SC_S9_PKT4_PKT5_S7_PT6_21rocsparse_index_base_b.kd
    .uniform_work_group_size: 1
    .uses_dynamic_stack: false
    .vgpr_count:     119
    .vgpr_spill_count: 0
    .wavefront_size: 32
    .workgroup_processor_mode: 1
  - .args:
      - .offset:         0
        .size:           4
        .value_kind:     by_value
      - .offset:         4
        .size:           4
        .value_kind:     by_value
      - .offset:         8
        .size:           8
        .value_kind:     by_value
      - .offset:         16
        .size:           4
        .value_kind:     by_value
      - .actual_access:  read_only
        .address_space:  global
        .offset:         24
        .size:           8
        .value_kind:     global_buffer
      - .actual_access:  read_only
        .address_space:  global
        .offset:         32
        .size:           8
        .value_kind:     global_buffer
      - .actual_access:  read_only
        .address_space:  global
        .offset:         40
        .size:           8
        .value_kind:     global_buffer
      - .actual_access:  read_only
        .address_space:  global
        .offset:         48
        .size:           8
        .value_kind:     global_buffer
      - .actual_access:  read_only
        .address_space:  global
        .offset:         56
        .size:           8
        .value_kind:     global_buffer
      - .actual_access:  read_only
        .address_space:  global
        .offset:         64
        .size:           8
        .value_kind:     global_buffer
      - .offset:         72
        .size:           8
        .value_kind:     by_value
      - .address_space:  global
        .offset:         80
        .size:           8
        .value_kind:     global_buffer
      - .offset:         88
        .size:           4
        .value_kind:     by_value
      - .offset:         92
        .size:           1
        .value_kind:     by_value
    .group_segment_fixed_size: 0
    .kernarg_segment_align: 8
    .kernarg_segment_size: 96
    .language:       OpenCL C
    .language_version:
      - 2
      - 0
    .max_flat_workgroup_size: 128
    .name:           _ZN9rocsparseL18bsrxmvn_4x4_kernelILj128ELj32E21rocsparse_complex_numIfEiiS2_S2_S2_EEvT3_20rocsparse_direction_NS_24const_host_device_scalarIT1_EES3_PKS3_PKT2_SC_S9_PKT4_PKT5_S7_PT6_21rocsparse_index_base_b
    .private_segment_fixed_size: 0
    .sgpr_count:     18
    .sgpr_spill_count: 0
    .symbol:         _ZN9rocsparseL18bsrxmvn_4x4_kernelILj128ELj32E21rocsparse_complex_numIfEiiS2_S2_S2_EEvT3_20rocsparse_direction_NS_24const_host_device_scalarIT1_EES3_PKS3_PKT2_SC_S9_PKT4_PKT5_S7_PT6_21rocsparse_index_base_b.kd
    .uniform_work_group_size: 1
    .uses_dynamic_stack: false
    .vgpr_count:     119
    .vgpr_spill_count: 0
    .wavefront_size: 32
    .workgroup_processor_mode: 1
  - .args:
      - .offset:         0
        .size:           4
        .value_kind:     by_value
      - .offset:         4
        .size:           4
        .value_kind:     by_value
      - .offset:         8
        .size:           8
        .value_kind:     by_value
      - .offset:         16
        .size:           4
        .value_kind:     by_value
      - .actual_access:  read_only
        .address_space:  global
        .offset:         24
        .size:           8
        .value_kind:     global_buffer
      - .actual_access:  read_only
        .address_space:  global
        .offset:         32
        .size:           8
        .value_kind:     global_buffer
      - .actual_access:  read_only
        .address_space:  global
        .offset:         40
        .size:           8
        .value_kind:     global_buffer
      - .actual_access:  read_only
        .address_space:  global
        .offset:         48
        .size:           8
        .value_kind:     global_buffer
      - .actual_access:  read_only
        .address_space:  global
        .offset:         56
        .size:           8
        .value_kind:     global_buffer
      - .actual_access:  read_only
        .address_space:  global
        .offset:         64
        .size:           8
        .value_kind:     global_buffer
      - .offset:         72
        .size:           8
        .value_kind:     by_value
      - .address_space:  global
        .offset:         80
        .size:           8
        .value_kind:     global_buffer
      - .offset:         88
        .size:           4
        .value_kind:     by_value
      - .offset:         92
        .size:           1
        .value_kind:     by_value
    .group_segment_fixed_size: 0
    .kernarg_segment_align: 8
    .kernarg_segment_size: 96
    .language:       OpenCL C
    .language_version:
      - 2
      - 0
    .max_flat_workgroup_size: 128
    .name:           _ZN9rocsparseL18bsrxmvn_4x4_kernelILj128ELj64E21rocsparse_complex_numIfEiiS2_S2_S2_EEvT3_20rocsparse_direction_NS_24const_host_device_scalarIT1_EES3_PKS3_PKT2_SC_S9_PKT4_PKT5_S7_PT6_21rocsparse_index_base_b
    .private_segment_fixed_size: 0
    .sgpr_count:     18
    .sgpr_spill_count: 0
    .symbol:         _ZN9rocsparseL18bsrxmvn_4x4_kernelILj128ELj64E21rocsparse_complex_numIfEiiS2_S2_S2_EEvT3_20rocsparse_direction_NS_24const_host_device_scalarIT1_EES3_PKS3_PKT2_SC_S9_PKT4_PKT5_S7_PT6_21rocsparse_index_base_b.kd
    .uniform_work_group_size: 1
    .uses_dynamic_stack: false
    .vgpr_count:     119
    .vgpr_spill_count: 0
    .wavefront_size: 32
    .workgroup_processor_mode: 1
  - .args:
      - .offset:         0
        .size:           4
        .value_kind:     by_value
      - .offset:         4
        .size:           4
        .value_kind:     by_value
      - .offset:         8
        .size:           16
        .value_kind:     by_value
      - .offset:         24
        .size:           4
        .value_kind:     by_value
      - .actual_access:  read_only
        .address_space:  global
        .offset:         32
        .size:           8
        .value_kind:     global_buffer
      - .actual_access:  read_only
        .address_space:  global
        .offset:         40
        .size:           8
        .value_kind:     global_buffer
      - .actual_access:  read_only
        .address_space:  global
        .offset:         48
        .size:           8
        .value_kind:     global_buffer
      - .actual_access:  read_only
        .address_space:  global
        .offset:         56
        .size:           8
        .value_kind:     global_buffer
      - .actual_access:  read_only
        .address_space:  global
        .offset:         64
        .size:           8
        .value_kind:     global_buffer
      - .actual_access:  read_only
        .address_space:  global
        .offset:         72
        .size:           8
        .value_kind:     global_buffer
      - .offset:         80
        .size:           16
        .value_kind:     by_value
      - .address_space:  global
        .offset:         96
        .size:           8
        .value_kind:     global_buffer
      - .offset:         104
        .size:           4
        .value_kind:     by_value
      - .offset:         108
        .size:           1
        .value_kind:     by_value
    .group_segment_fixed_size: 0
    .kernarg_segment_align: 8
    .kernarg_segment_size: 112
    .language:       OpenCL C
    .language_version:
      - 2
      - 0
    .max_flat_workgroup_size: 128
    .name:           _ZN9rocsparseL18bsrxmvn_4x4_kernelILj128ELj4E21rocsparse_complex_numIdEiiS2_S2_S2_EEvT3_20rocsparse_direction_NS_24const_host_device_scalarIT1_EES3_PKS3_PKT2_SC_S9_PKT4_PKT5_S7_PT6_21rocsparse_index_base_b
    .private_segment_fixed_size: 0
    .sgpr_count:     18
    .sgpr_spill_count: 0
    .symbol:         _ZN9rocsparseL18bsrxmvn_4x4_kernelILj128ELj4E21rocsparse_complex_numIdEiiS2_S2_S2_EEvT3_20rocsparse_direction_NS_24const_host_device_scalarIT1_EES3_PKS3_PKT2_SC_S9_PKT4_PKT5_S7_PT6_21rocsparse_index_base_b.kd
    .uniform_work_group_size: 1
    .uses_dynamic_stack: false
    .vgpr_count:     158
    .vgpr_spill_count: 0
    .wavefront_size: 32
    .workgroup_processor_mode: 1
  - .args:
      - .offset:         0
        .size:           4
        .value_kind:     by_value
      - .offset:         4
        .size:           4
        .value_kind:     by_value
      - .offset:         8
        .size:           16
        .value_kind:     by_value
      - .offset:         24
        .size:           4
        .value_kind:     by_value
      - .actual_access:  read_only
        .address_space:  global
        .offset:         32
        .size:           8
        .value_kind:     global_buffer
      - .actual_access:  read_only
        .address_space:  global
        .offset:         40
        .size:           8
        .value_kind:     global_buffer
      - .actual_access:  read_only
        .address_space:  global
        .offset:         48
        .size:           8
        .value_kind:     global_buffer
      - .actual_access:  read_only
        .address_space:  global
        .offset:         56
        .size:           8
        .value_kind:     global_buffer
      - .actual_access:  read_only
        .address_space:  global
        .offset:         64
        .size:           8
        .value_kind:     global_buffer
      - .actual_access:  read_only
        .address_space:  global
        .offset:         72
        .size:           8
        .value_kind:     global_buffer
      - .offset:         80
        .size:           16
        .value_kind:     by_value
      - .address_space:  global
        .offset:         96
        .size:           8
        .value_kind:     global_buffer
      - .offset:         104
        .size:           4
        .value_kind:     by_value
      - .offset:         108
        .size:           1
        .value_kind:     by_value
    .group_segment_fixed_size: 0
    .kernarg_segment_align: 8
    .kernarg_segment_size: 112
    .language:       OpenCL C
    .language_version:
      - 2
      - 0
    .max_flat_workgroup_size: 128
    .name:           _ZN9rocsparseL18bsrxmvn_4x4_kernelILj128ELj8E21rocsparse_complex_numIdEiiS2_S2_S2_EEvT3_20rocsparse_direction_NS_24const_host_device_scalarIT1_EES3_PKS3_PKT2_SC_S9_PKT4_PKT5_S7_PT6_21rocsparse_index_base_b
    .private_segment_fixed_size: 0
    .sgpr_count:     18
    .sgpr_spill_count: 0
    .symbol:         _ZN9rocsparseL18bsrxmvn_4x4_kernelILj128ELj8E21rocsparse_complex_numIdEiiS2_S2_S2_EEvT3_20rocsparse_direction_NS_24const_host_device_scalarIT1_EES3_PKS3_PKT2_SC_S9_PKT4_PKT5_S7_PT6_21rocsparse_index_base_b.kd
    .uniform_work_group_size: 1
    .uses_dynamic_stack: false
    .vgpr_count:     162
    .vgpr_spill_count: 0
    .wavefront_size: 32
    .workgroup_processor_mode: 1
  - .args:
      - .offset:         0
        .size:           4
        .value_kind:     by_value
      - .offset:         4
        .size:           4
        .value_kind:     by_value
      - .offset:         8
        .size:           16
        .value_kind:     by_value
      - .offset:         24
        .size:           4
        .value_kind:     by_value
      - .actual_access:  read_only
        .address_space:  global
        .offset:         32
        .size:           8
        .value_kind:     global_buffer
      - .actual_access:  read_only
        .address_space:  global
        .offset:         40
        .size:           8
        .value_kind:     global_buffer
      - .actual_access:  read_only
        .address_space:  global
        .offset:         48
        .size:           8
        .value_kind:     global_buffer
      - .actual_access:  read_only
        .address_space:  global
        .offset:         56
        .size:           8
        .value_kind:     global_buffer
      - .actual_access:  read_only
        .address_space:  global
        .offset:         64
        .size:           8
        .value_kind:     global_buffer
      - .actual_access:  read_only
        .address_space:  global
        .offset:         72
        .size:           8
        .value_kind:     global_buffer
      - .offset:         80
        .size:           16
        .value_kind:     by_value
      - .address_space:  global
        .offset:         96
        .size:           8
        .value_kind:     global_buffer
      - .offset:         104
        .size:           4
        .value_kind:     by_value
      - .offset:         108
        .size:           1
        .value_kind:     by_value
    .group_segment_fixed_size: 0
    .kernarg_segment_align: 8
    .kernarg_segment_size: 112
    .language:       OpenCL C
    .language_version:
      - 2
      - 0
    .max_flat_workgroup_size: 128
    .name:           _ZN9rocsparseL18bsrxmvn_4x4_kernelILj128ELj16E21rocsparse_complex_numIdEiiS2_S2_S2_EEvT3_20rocsparse_direction_NS_24const_host_device_scalarIT1_EES3_PKS3_PKT2_SC_S9_PKT4_PKT5_S7_PT6_21rocsparse_index_base_b
    .private_segment_fixed_size: 0
    .sgpr_count:     18
    .sgpr_spill_count: 0
    .symbol:         _ZN9rocsparseL18bsrxmvn_4x4_kernelILj128ELj16E21rocsparse_complex_numIdEiiS2_S2_S2_EEvT3_20rocsparse_direction_NS_24const_host_device_scalarIT1_EES3_PKS3_PKT2_SC_S9_PKT4_PKT5_S7_PT6_21rocsparse_index_base_b.kd
    .uniform_work_group_size: 1
    .uses_dynamic_stack: false
    .vgpr_count:     160
    .vgpr_spill_count: 0
    .wavefront_size: 32
    .workgroup_processor_mode: 1
  - .args:
      - .offset:         0
        .size:           4
        .value_kind:     by_value
      - .offset:         4
        .size:           4
        .value_kind:     by_value
      - .offset:         8
        .size:           16
        .value_kind:     by_value
      - .offset:         24
        .size:           4
        .value_kind:     by_value
      - .actual_access:  read_only
        .address_space:  global
        .offset:         32
        .size:           8
        .value_kind:     global_buffer
      - .actual_access:  read_only
        .address_space:  global
        .offset:         40
        .size:           8
        .value_kind:     global_buffer
      - .actual_access:  read_only
        .address_space:  global
        .offset:         48
        .size:           8
        .value_kind:     global_buffer
      - .actual_access:  read_only
        .address_space:  global
        .offset:         56
        .size:           8
        .value_kind:     global_buffer
      - .actual_access:  read_only
        .address_space:  global
        .offset:         64
        .size:           8
        .value_kind:     global_buffer
      - .actual_access:  read_only
        .address_space:  global
        .offset:         72
        .size:           8
        .value_kind:     global_buffer
      - .offset:         80
        .size:           16
        .value_kind:     by_value
      - .address_space:  global
        .offset:         96
        .size:           8
        .value_kind:     global_buffer
      - .offset:         104
        .size:           4
        .value_kind:     by_value
      - .offset:         108
        .size:           1
        .value_kind:     by_value
    .group_segment_fixed_size: 0
    .kernarg_segment_align: 8
    .kernarg_segment_size: 112
    .language:       OpenCL C
    .language_version:
      - 2
      - 0
    .max_flat_workgroup_size: 128
    .name:           _ZN9rocsparseL18bsrxmvn_4x4_kernelILj128ELj32E21rocsparse_complex_numIdEiiS2_S2_S2_EEvT3_20rocsparse_direction_NS_24const_host_device_scalarIT1_EES3_PKS3_PKT2_SC_S9_PKT4_PKT5_S7_PT6_21rocsparse_index_base_b
    .private_segment_fixed_size: 0
    .sgpr_count:     18
    .sgpr_spill_count: 0
    .symbol:         _ZN9rocsparseL18bsrxmvn_4x4_kernelILj128ELj32E21rocsparse_complex_numIdEiiS2_S2_S2_EEvT3_20rocsparse_direction_NS_24const_host_device_scalarIT1_EES3_PKS3_PKT2_SC_S9_PKT4_PKT5_S7_PT6_21rocsparse_index_base_b.kd
    .uniform_work_group_size: 1
    .uses_dynamic_stack: false
    .vgpr_count:     160
    .vgpr_spill_count: 0
    .wavefront_size: 32
    .workgroup_processor_mode: 1
  - .args:
      - .offset:         0
        .size:           4
        .value_kind:     by_value
      - .offset:         4
        .size:           4
        .value_kind:     by_value
      - .offset:         8
        .size:           16
        .value_kind:     by_value
      - .offset:         24
        .size:           4
        .value_kind:     by_value
      - .actual_access:  read_only
        .address_space:  global
        .offset:         32
        .size:           8
        .value_kind:     global_buffer
      - .actual_access:  read_only
        .address_space:  global
        .offset:         40
        .size:           8
        .value_kind:     global_buffer
      - .actual_access:  read_only
        .address_space:  global
        .offset:         48
        .size:           8
        .value_kind:     global_buffer
      - .actual_access:  read_only
        .address_space:  global
        .offset:         56
        .size:           8
        .value_kind:     global_buffer
      - .actual_access:  read_only
        .address_space:  global
        .offset:         64
        .size:           8
        .value_kind:     global_buffer
      - .actual_access:  read_only
        .address_space:  global
        .offset:         72
        .size:           8
        .value_kind:     global_buffer
      - .offset:         80
        .size:           16
        .value_kind:     by_value
      - .address_space:  global
        .offset:         96
        .size:           8
        .value_kind:     global_buffer
      - .offset:         104
        .size:           4
        .value_kind:     by_value
      - .offset:         108
        .size:           1
        .value_kind:     by_value
    .group_segment_fixed_size: 0
    .kernarg_segment_align: 8
    .kernarg_segment_size: 112
    .language:       OpenCL C
    .language_version:
      - 2
      - 0
    .max_flat_workgroup_size: 128
    .name:           _ZN9rocsparseL18bsrxmvn_4x4_kernelILj128ELj64E21rocsparse_complex_numIdEiiS2_S2_S2_EEvT3_20rocsparse_direction_NS_24const_host_device_scalarIT1_EES3_PKS3_PKT2_SC_S9_PKT4_PKT5_S7_PT6_21rocsparse_index_base_b
    .private_segment_fixed_size: 0
    .sgpr_count:     18
    .sgpr_spill_count: 0
    .symbol:         _ZN9rocsparseL18bsrxmvn_4x4_kernelILj128ELj64E21rocsparse_complex_numIdEiiS2_S2_S2_EEvT3_20rocsparse_direction_NS_24const_host_device_scalarIT1_EES3_PKS3_PKT2_SC_S9_PKT4_PKT5_S7_PT6_21rocsparse_index_base_b.kd
    .uniform_work_group_size: 1
    .uses_dynamic_stack: false
    .vgpr_count:     160
    .vgpr_spill_count: 0
    .wavefront_size: 32
    .workgroup_processor_mode: 1
  - .args:
      - .offset:         0
        .size:           4
        .value_kind:     by_value
      - .offset:         4
        .size:           4
        .value_kind:     by_value
      - .offset:         8
        .size:           8
        .value_kind:     by_value
      - .offset:         16
        .size:           4
        .value_kind:     by_value
      - .actual_access:  read_only
        .address_space:  global
        .offset:         24
        .size:           8
        .value_kind:     global_buffer
      - .actual_access:  read_only
        .address_space:  global
        .offset:         32
        .size:           8
        .value_kind:     global_buffer
      - .actual_access:  read_only
        .address_space:  global
        .offset:         40
        .size:           8
        .value_kind:     global_buffer
      - .actual_access:  read_only
        .address_space:  global
        .offset:         48
        .size:           8
        .value_kind:     global_buffer
      - .actual_access:  read_only
        .address_space:  global
        .offset:         56
        .size:           8
        .value_kind:     global_buffer
      - .actual_access:  read_only
        .address_space:  global
        .offset:         64
        .size:           8
        .value_kind:     global_buffer
      - .offset:         72
        .size:           8
        .value_kind:     by_value
      - .address_space:  global
        .offset:         80
        .size:           8
        .value_kind:     global_buffer
      - .offset:         88
        .size:           4
        .value_kind:     by_value
      - .offset:         92
        .size:           1
        .value_kind:     by_value
    .group_segment_fixed_size: 0
    .kernarg_segment_align: 8
    .kernarg_segment_size: 96
    .language:       OpenCL C
    .language_version:
      - 2
      - 0
    .max_flat_workgroup_size: 128
    .name:           _ZN9rocsparseL18bsrxmvn_4x4_kernelILj128ELj4EflifffEEvT3_20rocsparse_direction_NS_24const_host_device_scalarIT1_EES1_PKS1_PKT2_SA_S7_PKT4_PKT5_S5_PT6_21rocsparse_index_base_b
    .private_segment_fixed_size: 0
    .sgpr_count:     22
    .sgpr_spill_count: 0
    .symbol:         _ZN9rocsparseL18bsrxmvn_4x4_kernelILj128ELj4EflifffEEvT3_20rocsparse_direction_NS_24const_host_device_scalarIT1_EES1_PKS1_PKT2_SA_S7_PKT4_PKT5_S5_PT6_21rocsparse_index_base_b.kd
    .uniform_work_group_size: 1
    .uses_dynamic_stack: false
    .vgpr_count:     67
    .vgpr_spill_count: 0
    .wavefront_size: 32
    .workgroup_processor_mode: 1
  - .args:
      - .offset:         0
        .size:           4
        .value_kind:     by_value
      - .offset:         4
        .size:           4
        .value_kind:     by_value
      - .offset:         8
        .size:           8
        .value_kind:     by_value
      - .offset:         16
        .size:           4
        .value_kind:     by_value
      - .actual_access:  read_only
        .address_space:  global
        .offset:         24
        .size:           8
        .value_kind:     global_buffer
      - .actual_access:  read_only
        .address_space:  global
        .offset:         32
        .size:           8
        .value_kind:     global_buffer
      - .actual_access:  read_only
        .address_space:  global
        .offset:         40
        .size:           8
        .value_kind:     global_buffer
      - .actual_access:  read_only
        .address_space:  global
        .offset:         48
        .size:           8
        .value_kind:     global_buffer
      - .actual_access:  read_only
        .address_space:  global
        .offset:         56
        .size:           8
        .value_kind:     global_buffer
      - .actual_access:  read_only
        .address_space:  global
        .offset:         64
        .size:           8
        .value_kind:     global_buffer
      - .offset:         72
        .size:           8
        .value_kind:     by_value
      - .address_space:  global
        .offset:         80
        .size:           8
        .value_kind:     global_buffer
      - .offset:         88
        .size:           4
        .value_kind:     by_value
      - .offset:         92
        .size:           1
        .value_kind:     by_value
    .group_segment_fixed_size: 0
    .kernarg_segment_align: 8
    .kernarg_segment_size: 96
    .language:       OpenCL C
    .language_version:
      - 2
      - 0
    .max_flat_workgroup_size: 128
    .name:           _ZN9rocsparseL18bsrxmvn_4x4_kernelILj128ELj8EflifffEEvT3_20rocsparse_direction_NS_24const_host_device_scalarIT1_EES1_PKS1_PKT2_SA_S7_PKT4_PKT5_S5_PT6_21rocsparse_index_base_b
    .private_segment_fixed_size: 0
    .sgpr_count:     22
    .sgpr_spill_count: 0
    .symbol:         _ZN9rocsparseL18bsrxmvn_4x4_kernelILj128ELj8EflifffEEvT3_20rocsparse_direction_NS_24const_host_device_scalarIT1_EES1_PKS1_PKT2_SA_S7_PKT4_PKT5_S5_PT6_21rocsparse_index_base_b.kd
    .uniform_work_group_size: 1
    .uses_dynamic_stack: false
    .vgpr_count:     67
    .vgpr_spill_count: 0
    .wavefront_size: 32
    .workgroup_processor_mode: 1
  - .args:
      - .offset:         0
        .size:           4
        .value_kind:     by_value
      - .offset:         4
        .size:           4
        .value_kind:     by_value
      - .offset:         8
        .size:           8
        .value_kind:     by_value
      - .offset:         16
        .size:           4
        .value_kind:     by_value
      - .actual_access:  read_only
        .address_space:  global
        .offset:         24
        .size:           8
        .value_kind:     global_buffer
      - .actual_access:  read_only
        .address_space:  global
        .offset:         32
        .size:           8
        .value_kind:     global_buffer
      - .actual_access:  read_only
        .address_space:  global
        .offset:         40
        .size:           8
        .value_kind:     global_buffer
      - .actual_access:  read_only
        .address_space:  global
        .offset:         48
        .size:           8
        .value_kind:     global_buffer
      - .actual_access:  read_only
        .address_space:  global
        .offset:         56
        .size:           8
        .value_kind:     global_buffer
      - .actual_access:  read_only
        .address_space:  global
        .offset:         64
        .size:           8
        .value_kind:     global_buffer
      - .offset:         72
        .size:           8
        .value_kind:     by_value
      - .address_space:  global
        .offset:         80
        .size:           8
        .value_kind:     global_buffer
      - .offset:         88
        .size:           4
        .value_kind:     by_value
      - .offset:         92
        .size:           1
        .value_kind:     by_value
    .group_segment_fixed_size: 0
    .kernarg_segment_align: 8
    .kernarg_segment_size: 96
    .language:       OpenCL C
    .language_version:
      - 2
      - 0
    .max_flat_workgroup_size: 128
    .name:           _ZN9rocsparseL18bsrxmvn_4x4_kernelILj128ELj16EflifffEEvT3_20rocsparse_direction_NS_24const_host_device_scalarIT1_EES1_PKS1_PKT2_SA_S7_PKT4_PKT5_S5_PT6_21rocsparse_index_base_b
    .private_segment_fixed_size: 0
    .sgpr_count:     22
    .sgpr_spill_count: 0
    .symbol:         _ZN9rocsparseL18bsrxmvn_4x4_kernelILj128ELj16EflifffEEvT3_20rocsparse_direction_NS_24const_host_device_scalarIT1_EES1_PKS1_PKT2_SA_S7_PKT4_PKT5_S5_PT6_21rocsparse_index_base_b.kd
    .uniform_work_group_size: 1
    .uses_dynamic_stack: false
    .vgpr_count:     67
    .vgpr_spill_count: 0
    .wavefront_size: 32
    .workgroup_processor_mode: 1
  - .args:
      - .offset:         0
        .size:           4
        .value_kind:     by_value
      - .offset:         4
        .size:           4
        .value_kind:     by_value
      - .offset:         8
        .size:           8
        .value_kind:     by_value
      - .offset:         16
        .size:           4
        .value_kind:     by_value
      - .actual_access:  read_only
        .address_space:  global
        .offset:         24
        .size:           8
        .value_kind:     global_buffer
      - .actual_access:  read_only
        .address_space:  global
        .offset:         32
        .size:           8
        .value_kind:     global_buffer
      - .actual_access:  read_only
        .address_space:  global
        .offset:         40
        .size:           8
        .value_kind:     global_buffer
      - .actual_access:  read_only
        .address_space:  global
        .offset:         48
        .size:           8
        .value_kind:     global_buffer
      - .actual_access:  read_only
        .address_space:  global
        .offset:         56
        .size:           8
        .value_kind:     global_buffer
      - .actual_access:  read_only
        .address_space:  global
        .offset:         64
        .size:           8
        .value_kind:     global_buffer
      - .offset:         72
        .size:           8
        .value_kind:     by_value
      - .address_space:  global
        .offset:         80
        .size:           8
        .value_kind:     global_buffer
      - .offset:         88
        .size:           4
        .value_kind:     by_value
      - .offset:         92
        .size:           1
        .value_kind:     by_value
    .group_segment_fixed_size: 0
    .kernarg_segment_align: 8
    .kernarg_segment_size: 96
    .language:       OpenCL C
    .language_version:
      - 2
      - 0
    .max_flat_workgroup_size: 128
    .name:           _ZN9rocsparseL18bsrxmvn_4x4_kernelILj128ELj32EflifffEEvT3_20rocsparse_direction_NS_24const_host_device_scalarIT1_EES1_PKS1_PKT2_SA_S7_PKT4_PKT5_S5_PT6_21rocsparse_index_base_b
    .private_segment_fixed_size: 0
    .sgpr_count:     22
    .sgpr_spill_count: 0
    .symbol:         _ZN9rocsparseL18bsrxmvn_4x4_kernelILj128ELj32EflifffEEvT3_20rocsparse_direction_NS_24const_host_device_scalarIT1_EES1_PKS1_PKT2_SA_S7_PKT4_PKT5_S5_PT6_21rocsparse_index_base_b.kd
    .uniform_work_group_size: 1
    .uses_dynamic_stack: false
    .vgpr_count:     68
    .vgpr_spill_count: 0
    .wavefront_size: 32
    .workgroup_processor_mode: 1
  - .args:
      - .offset:         0
        .size:           4
        .value_kind:     by_value
      - .offset:         4
        .size:           4
        .value_kind:     by_value
      - .offset:         8
        .size:           8
        .value_kind:     by_value
      - .offset:         16
        .size:           4
        .value_kind:     by_value
      - .actual_access:  read_only
        .address_space:  global
        .offset:         24
        .size:           8
        .value_kind:     global_buffer
      - .actual_access:  read_only
        .address_space:  global
        .offset:         32
        .size:           8
        .value_kind:     global_buffer
      - .actual_access:  read_only
        .address_space:  global
        .offset:         40
        .size:           8
        .value_kind:     global_buffer
      - .actual_access:  read_only
        .address_space:  global
        .offset:         48
        .size:           8
        .value_kind:     global_buffer
      - .actual_access:  read_only
        .address_space:  global
        .offset:         56
        .size:           8
        .value_kind:     global_buffer
      - .actual_access:  read_only
        .address_space:  global
        .offset:         64
        .size:           8
        .value_kind:     global_buffer
      - .offset:         72
        .size:           8
        .value_kind:     by_value
      - .address_space:  global
        .offset:         80
        .size:           8
        .value_kind:     global_buffer
      - .offset:         88
        .size:           4
        .value_kind:     by_value
      - .offset:         92
        .size:           1
        .value_kind:     by_value
    .group_segment_fixed_size: 0
    .kernarg_segment_align: 8
    .kernarg_segment_size: 96
    .language:       OpenCL C
    .language_version:
      - 2
      - 0
    .max_flat_workgroup_size: 128
    .name:           _ZN9rocsparseL18bsrxmvn_4x4_kernelILj128ELj64EflifffEEvT3_20rocsparse_direction_NS_24const_host_device_scalarIT1_EES1_PKS1_PKT2_SA_S7_PKT4_PKT5_S5_PT6_21rocsparse_index_base_b
    .private_segment_fixed_size: 0
    .sgpr_count:     22
    .sgpr_spill_count: 0
    .symbol:         _ZN9rocsparseL18bsrxmvn_4x4_kernelILj128ELj64EflifffEEvT3_20rocsparse_direction_NS_24const_host_device_scalarIT1_EES1_PKS1_PKT2_SA_S7_PKT4_PKT5_S5_PT6_21rocsparse_index_base_b.kd
    .uniform_work_group_size: 1
    .uses_dynamic_stack: false
    .vgpr_count:     68
    .vgpr_spill_count: 0
    .wavefront_size: 32
    .workgroup_processor_mode: 1
  - .args:
      - .offset:         0
        .size:           4
        .value_kind:     by_value
      - .offset:         4
        .size:           4
        .value_kind:     by_value
      - .offset:         8
        .size:           8
        .value_kind:     by_value
      - .offset:         16
        .size:           4
        .value_kind:     by_value
      - .actual_access:  read_only
        .address_space:  global
        .offset:         24
        .size:           8
        .value_kind:     global_buffer
      - .actual_access:  read_only
        .address_space:  global
        .offset:         32
        .size:           8
        .value_kind:     global_buffer
      - .actual_access:  read_only
        .address_space:  global
        .offset:         40
        .size:           8
        .value_kind:     global_buffer
      - .actual_access:  read_only
        .address_space:  global
        .offset:         48
        .size:           8
        .value_kind:     global_buffer
      - .actual_access:  read_only
        .address_space:  global
        .offset:         56
        .size:           8
        .value_kind:     global_buffer
      - .actual_access:  read_only
        .address_space:  global
        .offset:         64
        .size:           8
        .value_kind:     global_buffer
      - .offset:         72
        .size:           8
        .value_kind:     by_value
      - .address_space:  global
        .offset:         80
        .size:           8
        .value_kind:     global_buffer
      - .offset:         88
        .size:           4
        .value_kind:     by_value
      - .offset:         92
        .size:           1
        .value_kind:     by_value
    .group_segment_fixed_size: 0
    .kernarg_segment_align: 8
    .kernarg_segment_size: 96
    .language:       OpenCL C
    .language_version:
      - 2
      - 0
    .max_flat_workgroup_size: 128
    .name:           _ZN9rocsparseL18bsrxmvn_4x4_kernelILj128ELj4EdlidddEEvT3_20rocsparse_direction_NS_24const_host_device_scalarIT1_EES1_PKS1_PKT2_SA_S7_PKT4_PKT5_S5_PT6_21rocsparse_index_base_b
    .private_segment_fixed_size: 0
    .sgpr_count:     18
    .sgpr_spill_count: 0
    .symbol:         _ZN9rocsparseL18bsrxmvn_4x4_kernelILj128ELj4EdlidddEEvT3_20rocsparse_direction_NS_24const_host_device_scalarIT1_EES1_PKS1_PKT2_SA_S7_PKT4_PKT5_S5_PT6_21rocsparse_index_base_b.kd
    .uniform_work_group_size: 1
    .uses_dynamic_stack: false
    .vgpr_count:     140
    .vgpr_spill_count: 0
    .wavefront_size: 32
    .workgroup_processor_mode: 1
  - .args:
      - .offset:         0
        .size:           4
        .value_kind:     by_value
      - .offset:         4
        .size:           4
        .value_kind:     by_value
      - .offset:         8
        .size:           8
        .value_kind:     by_value
      - .offset:         16
        .size:           4
        .value_kind:     by_value
      - .actual_access:  read_only
        .address_space:  global
        .offset:         24
        .size:           8
        .value_kind:     global_buffer
      - .actual_access:  read_only
        .address_space:  global
        .offset:         32
        .size:           8
        .value_kind:     global_buffer
      - .actual_access:  read_only
        .address_space:  global
        .offset:         40
        .size:           8
        .value_kind:     global_buffer
      - .actual_access:  read_only
        .address_space:  global
        .offset:         48
        .size:           8
        .value_kind:     global_buffer
      - .actual_access:  read_only
        .address_space:  global
        .offset:         56
        .size:           8
        .value_kind:     global_buffer
      - .actual_access:  read_only
        .address_space:  global
        .offset:         64
        .size:           8
        .value_kind:     global_buffer
      - .offset:         72
        .size:           8
        .value_kind:     by_value
      - .address_space:  global
        .offset:         80
        .size:           8
        .value_kind:     global_buffer
      - .offset:         88
        .size:           4
        .value_kind:     by_value
      - .offset:         92
        .size:           1
        .value_kind:     by_value
    .group_segment_fixed_size: 0
    .kernarg_segment_align: 8
    .kernarg_segment_size: 96
    .language:       OpenCL C
    .language_version:
      - 2
      - 0
    .max_flat_workgroup_size: 128
    .name:           _ZN9rocsparseL18bsrxmvn_4x4_kernelILj128ELj8EdlidddEEvT3_20rocsparse_direction_NS_24const_host_device_scalarIT1_EES1_PKS1_PKT2_SA_S7_PKT4_PKT5_S5_PT6_21rocsparse_index_base_b
    .private_segment_fixed_size: 0
    .sgpr_count:     18
    .sgpr_spill_count: 0
    .symbol:         _ZN9rocsparseL18bsrxmvn_4x4_kernelILj128ELj8EdlidddEEvT3_20rocsparse_direction_NS_24const_host_device_scalarIT1_EES1_PKS1_PKT2_SA_S7_PKT4_PKT5_S5_PT6_21rocsparse_index_base_b.kd
    .uniform_work_group_size: 1
    .uses_dynamic_stack: false
    .vgpr_count:     138
    .vgpr_spill_count: 0
    .wavefront_size: 32
    .workgroup_processor_mode: 1
  - .args:
      - .offset:         0
        .size:           4
        .value_kind:     by_value
      - .offset:         4
        .size:           4
        .value_kind:     by_value
      - .offset:         8
        .size:           8
        .value_kind:     by_value
      - .offset:         16
        .size:           4
        .value_kind:     by_value
      - .actual_access:  read_only
        .address_space:  global
        .offset:         24
        .size:           8
        .value_kind:     global_buffer
      - .actual_access:  read_only
        .address_space:  global
        .offset:         32
        .size:           8
        .value_kind:     global_buffer
      - .actual_access:  read_only
        .address_space:  global
        .offset:         40
        .size:           8
        .value_kind:     global_buffer
      - .actual_access:  read_only
        .address_space:  global
        .offset:         48
        .size:           8
        .value_kind:     global_buffer
      - .actual_access:  read_only
        .address_space:  global
        .offset:         56
        .size:           8
        .value_kind:     global_buffer
      - .actual_access:  read_only
        .address_space:  global
        .offset:         64
        .size:           8
        .value_kind:     global_buffer
      - .offset:         72
        .size:           8
        .value_kind:     by_value
      - .address_space:  global
        .offset:         80
        .size:           8
        .value_kind:     global_buffer
      - .offset:         88
        .size:           4
        .value_kind:     by_value
      - .offset:         92
        .size:           1
        .value_kind:     by_value
    .group_segment_fixed_size: 0
    .kernarg_segment_align: 8
    .kernarg_segment_size: 96
    .language:       OpenCL C
    .language_version:
      - 2
      - 0
    .max_flat_workgroup_size: 128
    .name:           _ZN9rocsparseL18bsrxmvn_4x4_kernelILj128ELj16EdlidddEEvT3_20rocsparse_direction_NS_24const_host_device_scalarIT1_EES1_PKS1_PKT2_SA_S7_PKT4_PKT5_S5_PT6_21rocsparse_index_base_b
    .private_segment_fixed_size: 0
    .sgpr_count:     18
    .sgpr_spill_count: 0
    .symbol:         _ZN9rocsparseL18bsrxmvn_4x4_kernelILj128ELj16EdlidddEEvT3_20rocsparse_direction_NS_24const_host_device_scalarIT1_EES1_PKS1_PKT2_SA_S7_PKT4_PKT5_S5_PT6_21rocsparse_index_base_b.kd
    .uniform_work_group_size: 1
    .uses_dynamic_stack: false
    .vgpr_count:     139
    .vgpr_spill_count: 0
    .wavefront_size: 32
    .workgroup_processor_mode: 1
  - .args:
      - .offset:         0
        .size:           4
        .value_kind:     by_value
      - .offset:         4
        .size:           4
        .value_kind:     by_value
      - .offset:         8
        .size:           8
        .value_kind:     by_value
      - .offset:         16
        .size:           4
        .value_kind:     by_value
      - .actual_access:  read_only
        .address_space:  global
        .offset:         24
        .size:           8
        .value_kind:     global_buffer
      - .actual_access:  read_only
        .address_space:  global
        .offset:         32
        .size:           8
        .value_kind:     global_buffer
      - .actual_access:  read_only
        .address_space:  global
        .offset:         40
        .size:           8
        .value_kind:     global_buffer
      - .actual_access:  read_only
        .address_space:  global
        .offset:         48
        .size:           8
        .value_kind:     global_buffer
      - .actual_access:  read_only
        .address_space:  global
        .offset:         56
        .size:           8
        .value_kind:     global_buffer
      - .actual_access:  read_only
        .address_space:  global
        .offset:         64
        .size:           8
        .value_kind:     global_buffer
      - .offset:         72
        .size:           8
        .value_kind:     by_value
      - .address_space:  global
        .offset:         80
        .size:           8
        .value_kind:     global_buffer
      - .offset:         88
        .size:           4
        .value_kind:     by_value
      - .offset:         92
        .size:           1
        .value_kind:     by_value
    .group_segment_fixed_size: 0
    .kernarg_segment_align: 8
    .kernarg_segment_size: 96
    .language:       OpenCL C
    .language_version:
      - 2
      - 0
    .max_flat_workgroup_size: 128
    .name:           _ZN9rocsparseL18bsrxmvn_4x4_kernelILj128ELj32EdlidddEEvT3_20rocsparse_direction_NS_24const_host_device_scalarIT1_EES1_PKS1_PKT2_SA_S7_PKT4_PKT5_S5_PT6_21rocsparse_index_base_b
    .private_segment_fixed_size: 0
    .sgpr_count:     18
    .sgpr_spill_count: 0
    .symbol:         _ZN9rocsparseL18bsrxmvn_4x4_kernelILj128ELj32EdlidddEEvT3_20rocsparse_direction_NS_24const_host_device_scalarIT1_EES1_PKS1_PKT2_SA_S7_PKT4_PKT5_S5_PT6_21rocsparse_index_base_b.kd
    .uniform_work_group_size: 1
    .uses_dynamic_stack: false
    .vgpr_count:     139
    .vgpr_spill_count: 0
    .wavefront_size: 32
    .workgroup_processor_mode: 1
  - .args:
      - .offset:         0
        .size:           4
        .value_kind:     by_value
      - .offset:         4
        .size:           4
        .value_kind:     by_value
      - .offset:         8
        .size:           8
        .value_kind:     by_value
      - .offset:         16
        .size:           4
        .value_kind:     by_value
      - .actual_access:  read_only
        .address_space:  global
        .offset:         24
        .size:           8
        .value_kind:     global_buffer
      - .actual_access:  read_only
        .address_space:  global
        .offset:         32
        .size:           8
        .value_kind:     global_buffer
      - .actual_access:  read_only
        .address_space:  global
        .offset:         40
        .size:           8
        .value_kind:     global_buffer
      - .actual_access:  read_only
        .address_space:  global
        .offset:         48
        .size:           8
        .value_kind:     global_buffer
      - .actual_access:  read_only
        .address_space:  global
        .offset:         56
        .size:           8
        .value_kind:     global_buffer
      - .actual_access:  read_only
        .address_space:  global
        .offset:         64
        .size:           8
        .value_kind:     global_buffer
      - .offset:         72
        .size:           8
        .value_kind:     by_value
      - .address_space:  global
        .offset:         80
        .size:           8
        .value_kind:     global_buffer
      - .offset:         88
        .size:           4
        .value_kind:     by_value
      - .offset:         92
        .size:           1
        .value_kind:     by_value
    .group_segment_fixed_size: 0
    .kernarg_segment_align: 8
    .kernarg_segment_size: 96
    .language:       OpenCL C
    .language_version:
      - 2
      - 0
    .max_flat_workgroup_size: 128
    .name:           _ZN9rocsparseL18bsrxmvn_4x4_kernelILj128ELj64EdlidddEEvT3_20rocsparse_direction_NS_24const_host_device_scalarIT1_EES1_PKS1_PKT2_SA_S7_PKT4_PKT5_S5_PT6_21rocsparse_index_base_b
    .private_segment_fixed_size: 0
    .sgpr_count:     18
    .sgpr_spill_count: 0
    .symbol:         _ZN9rocsparseL18bsrxmvn_4x4_kernelILj128ELj64EdlidddEEvT3_20rocsparse_direction_NS_24const_host_device_scalarIT1_EES1_PKS1_PKT2_SA_S7_PKT4_PKT5_S5_PT6_21rocsparse_index_base_b.kd
    .uniform_work_group_size: 1
    .uses_dynamic_stack: false
    .vgpr_count:     139
    .vgpr_spill_count: 0
    .wavefront_size: 32
    .workgroup_processor_mode: 1
  - .args:
      - .offset:         0
        .size:           4
        .value_kind:     by_value
      - .offset:         4
        .size:           4
        .value_kind:     by_value
      - .offset:         8
        .size:           8
        .value_kind:     by_value
      - .offset:         16
        .size:           4
        .value_kind:     by_value
      - .actual_access:  read_only
        .address_space:  global
        .offset:         24
        .size:           8
        .value_kind:     global_buffer
      - .actual_access:  read_only
        .address_space:  global
        .offset:         32
        .size:           8
        .value_kind:     global_buffer
      - .actual_access:  read_only
        .address_space:  global
        .offset:         40
        .size:           8
        .value_kind:     global_buffer
      - .actual_access:  read_only
        .address_space:  global
        .offset:         48
        .size:           8
        .value_kind:     global_buffer
      - .actual_access:  read_only
        .address_space:  global
        .offset:         56
        .size:           8
        .value_kind:     global_buffer
      - .actual_access:  read_only
        .address_space:  global
        .offset:         64
        .size:           8
        .value_kind:     global_buffer
      - .offset:         72
        .size:           8
        .value_kind:     by_value
      - .address_space:  global
        .offset:         80
        .size:           8
        .value_kind:     global_buffer
      - .offset:         88
        .size:           4
        .value_kind:     by_value
      - .offset:         92
        .size:           1
        .value_kind:     by_value
    .group_segment_fixed_size: 0
    .kernarg_segment_align: 8
    .kernarg_segment_size: 96
    .language:       OpenCL C
    .language_version:
      - 2
      - 0
    .max_flat_workgroup_size: 128
    .name:           _ZN9rocsparseL18bsrxmvn_4x4_kernelILj128ELj4E21rocsparse_complex_numIfEliS2_S2_S2_EEvT3_20rocsparse_direction_NS_24const_host_device_scalarIT1_EES3_PKS3_PKT2_SC_S9_PKT4_PKT5_S7_PT6_21rocsparse_index_base_b
    .private_segment_fixed_size: 0
    .sgpr_count:     18
    .sgpr_spill_count: 0
    .symbol:         _ZN9rocsparseL18bsrxmvn_4x4_kernelILj128ELj4E21rocsparse_complex_numIfEliS2_S2_S2_EEvT3_20rocsparse_direction_NS_24const_host_device_scalarIT1_EES3_PKS3_PKT2_SC_S9_PKT4_PKT5_S7_PT6_21rocsparse_index_base_b.kd
    .uniform_work_group_size: 1
    .uses_dynamic_stack: false
    .vgpr_count:     138
    .vgpr_spill_count: 0
    .wavefront_size: 32
    .workgroup_processor_mode: 1
  - .args:
      - .offset:         0
        .size:           4
        .value_kind:     by_value
      - .offset:         4
        .size:           4
        .value_kind:     by_value
      - .offset:         8
        .size:           8
        .value_kind:     by_value
      - .offset:         16
        .size:           4
        .value_kind:     by_value
      - .actual_access:  read_only
        .address_space:  global
        .offset:         24
        .size:           8
        .value_kind:     global_buffer
      - .actual_access:  read_only
        .address_space:  global
        .offset:         32
        .size:           8
        .value_kind:     global_buffer
      - .actual_access:  read_only
        .address_space:  global
        .offset:         40
        .size:           8
        .value_kind:     global_buffer
      - .actual_access:  read_only
        .address_space:  global
        .offset:         48
        .size:           8
        .value_kind:     global_buffer
      - .actual_access:  read_only
        .address_space:  global
        .offset:         56
        .size:           8
        .value_kind:     global_buffer
      - .actual_access:  read_only
        .address_space:  global
        .offset:         64
        .size:           8
        .value_kind:     global_buffer
      - .offset:         72
        .size:           8
        .value_kind:     by_value
      - .address_space:  global
        .offset:         80
        .size:           8
        .value_kind:     global_buffer
      - .offset:         88
        .size:           4
        .value_kind:     by_value
      - .offset:         92
        .size:           1
        .value_kind:     by_value
    .group_segment_fixed_size: 0
    .kernarg_segment_align: 8
    .kernarg_segment_size: 96
    .language:       OpenCL C
    .language_version:
      - 2
      - 0
    .max_flat_workgroup_size: 128
    .name:           _ZN9rocsparseL18bsrxmvn_4x4_kernelILj128ELj8E21rocsparse_complex_numIfEliS2_S2_S2_EEvT3_20rocsparse_direction_NS_24const_host_device_scalarIT1_EES3_PKS3_PKT2_SC_S9_PKT4_PKT5_S7_PT6_21rocsparse_index_base_b
    .private_segment_fixed_size: 0
    .sgpr_count:     18
    .sgpr_spill_count: 0
    .symbol:         _ZN9rocsparseL18bsrxmvn_4x4_kernelILj128ELj8E21rocsparse_complex_numIfEliS2_S2_S2_EEvT3_20rocsparse_direction_NS_24const_host_device_scalarIT1_EES3_PKS3_PKT2_SC_S9_PKT4_PKT5_S7_PT6_21rocsparse_index_base_b.kd
    .uniform_work_group_size: 1
    .uses_dynamic_stack: false
    .vgpr_count:     138
    .vgpr_spill_count: 0
    .wavefront_size: 32
    .workgroup_processor_mode: 1
  - .args:
      - .offset:         0
        .size:           4
        .value_kind:     by_value
      - .offset:         4
        .size:           4
        .value_kind:     by_value
      - .offset:         8
        .size:           8
        .value_kind:     by_value
      - .offset:         16
        .size:           4
        .value_kind:     by_value
      - .actual_access:  read_only
        .address_space:  global
        .offset:         24
        .size:           8
        .value_kind:     global_buffer
      - .actual_access:  read_only
        .address_space:  global
        .offset:         32
        .size:           8
        .value_kind:     global_buffer
      - .actual_access:  read_only
        .address_space:  global
        .offset:         40
        .size:           8
        .value_kind:     global_buffer
      - .actual_access:  read_only
        .address_space:  global
        .offset:         48
        .size:           8
        .value_kind:     global_buffer
      - .actual_access:  read_only
        .address_space:  global
        .offset:         56
        .size:           8
        .value_kind:     global_buffer
      - .actual_access:  read_only
        .address_space:  global
        .offset:         64
        .size:           8
        .value_kind:     global_buffer
      - .offset:         72
        .size:           8
        .value_kind:     by_value
      - .address_space:  global
        .offset:         80
        .size:           8
        .value_kind:     global_buffer
      - .offset:         88
        .size:           4
        .value_kind:     by_value
      - .offset:         92
        .size:           1
        .value_kind:     by_value
    .group_segment_fixed_size: 0
    .kernarg_segment_align: 8
    .kernarg_segment_size: 96
    .language:       OpenCL C
    .language_version:
      - 2
      - 0
    .max_flat_workgroup_size: 128
    .name:           _ZN9rocsparseL18bsrxmvn_4x4_kernelILj128ELj16E21rocsparse_complex_numIfEliS2_S2_S2_EEvT3_20rocsparse_direction_NS_24const_host_device_scalarIT1_EES3_PKS3_PKT2_SC_S9_PKT4_PKT5_S7_PT6_21rocsparse_index_base_b
    .private_segment_fixed_size: 0
    .sgpr_count:     18
    .sgpr_spill_count: 0
    .symbol:         _ZN9rocsparseL18bsrxmvn_4x4_kernelILj128ELj16E21rocsparse_complex_numIfEliS2_S2_S2_EEvT3_20rocsparse_direction_NS_24const_host_device_scalarIT1_EES3_PKS3_PKT2_SC_S9_PKT4_PKT5_S7_PT6_21rocsparse_index_base_b.kd
    .uniform_work_group_size: 1
    .uses_dynamic_stack: false
    .vgpr_count:     139
    .vgpr_spill_count: 0
    .wavefront_size: 32
    .workgroup_processor_mode: 1
  - .args:
      - .offset:         0
        .size:           4
        .value_kind:     by_value
      - .offset:         4
        .size:           4
        .value_kind:     by_value
      - .offset:         8
        .size:           8
        .value_kind:     by_value
      - .offset:         16
        .size:           4
        .value_kind:     by_value
      - .actual_access:  read_only
        .address_space:  global
        .offset:         24
        .size:           8
        .value_kind:     global_buffer
      - .actual_access:  read_only
        .address_space:  global
        .offset:         32
        .size:           8
        .value_kind:     global_buffer
      - .actual_access:  read_only
        .address_space:  global
        .offset:         40
        .size:           8
        .value_kind:     global_buffer
      - .actual_access:  read_only
        .address_space:  global
        .offset:         48
        .size:           8
        .value_kind:     global_buffer
      - .actual_access:  read_only
        .address_space:  global
        .offset:         56
        .size:           8
        .value_kind:     global_buffer
      - .actual_access:  read_only
        .address_space:  global
        .offset:         64
        .size:           8
        .value_kind:     global_buffer
      - .offset:         72
        .size:           8
        .value_kind:     by_value
      - .address_space:  global
        .offset:         80
        .size:           8
        .value_kind:     global_buffer
      - .offset:         88
        .size:           4
        .value_kind:     by_value
      - .offset:         92
        .size:           1
        .value_kind:     by_value
    .group_segment_fixed_size: 0
    .kernarg_segment_align: 8
    .kernarg_segment_size: 96
    .language:       OpenCL C
    .language_version:
      - 2
      - 0
    .max_flat_workgroup_size: 128
    .name:           _ZN9rocsparseL18bsrxmvn_4x4_kernelILj128ELj32E21rocsparse_complex_numIfEliS2_S2_S2_EEvT3_20rocsparse_direction_NS_24const_host_device_scalarIT1_EES3_PKS3_PKT2_SC_S9_PKT4_PKT5_S7_PT6_21rocsparse_index_base_b
    .private_segment_fixed_size: 0
    .sgpr_count:     18
    .sgpr_spill_count: 0
    .symbol:         _ZN9rocsparseL18bsrxmvn_4x4_kernelILj128ELj32E21rocsparse_complex_numIfEliS2_S2_S2_EEvT3_20rocsparse_direction_NS_24const_host_device_scalarIT1_EES3_PKS3_PKT2_SC_S9_PKT4_PKT5_S7_PT6_21rocsparse_index_base_b.kd
    .uniform_work_group_size: 1
    .uses_dynamic_stack: false
    .vgpr_count:     139
    .vgpr_spill_count: 0
    .wavefront_size: 32
    .workgroup_processor_mode: 1
  - .args:
      - .offset:         0
        .size:           4
        .value_kind:     by_value
      - .offset:         4
        .size:           4
        .value_kind:     by_value
      - .offset:         8
        .size:           8
        .value_kind:     by_value
      - .offset:         16
        .size:           4
        .value_kind:     by_value
      - .actual_access:  read_only
        .address_space:  global
        .offset:         24
        .size:           8
        .value_kind:     global_buffer
      - .actual_access:  read_only
        .address_space:  global
        .offset:         32
        .size:           8
        .value_kind:     global_buffer
      - .actual_access:  read_only
        .address_space:  global
        .offset:         40
        .size:           8
        .value_kind:     global_buffer
      - .actual_access:  read_only
        .address_space:  global
        .offset:         48
        .size:           8
        .value_kind:     global_buffer
      - .actual_access:  read_only
        .address_space:  global
        .offset:         56
        .size:           8
        .value_kind:     global_buffer
      - .actual_access:  read_only
        .address_space:  global
        .offset:         64
        .size:           8
        .value_kind:     global_buffer
      - .offset:         72
        .size:           8
        .value_kind:     by_value
      - .address_space:  global
        .offset:         80
        .size:           8
        .value_kind:     global_buffer
      - .offset:         88
        .size:           4
        .value_kind:     by_value
      - .offset:         92
        .size:           1
        .value_kind:     by_value
    .group_segment_fixed_size: 0
    .kernarg_segment_align: 8
    .kernarg_segment_size: 96
    .language:       OpenCL C
    .language_version:
      - 2
      - 0
    .max_flat_workgroup_size: 128
    .name:           _ZN9rocsparseL18bsrxmvn_4x4_kernelILj128ELj64E21rocsparse_complex_numIfEliS2_S2_S2_EEvT3_20rocsparse_direction_NS_24const_host_device_scalarIT1_EES3_PKS3_PKT2_SC_S9_PKT4_PKT5_S7_PT6_21rocsparse_index_base_b
    .private_segment_fixed_size: 0
    .sgpr_count:     18
    .sgpr_spill_count: 0
    .symbol:         _ZN9rocsparseL18bsrxmvn_4x4_kernelILj128ELj64E21rocsparse_complex_numIfEliS2_S2_S2_EEvT3_20rocsparse_direction_NS_24const_host_device_scalarIT1_EES3_PKS3_PKT2_SC_S9_PKT4_PKT5_S7_PT6_21rocsparse_index_base_b.kd
    .uniform_work_group_size: 1
    .uses_dynamic_stack: false
    .vgpr_count:     139
    .vgpr_spill_count: 0
    .wavefront_size: 32
    .workgroup_processor_mode: 1
  - .args:
      - .offset:         0
        .size:           4
        .value_kind:     by_value
      - .offset:         4
        .size:           4
        .value_kind:     by_value
      - .offset:         8
        .size:           16
        .value_kind:     by_value
      - .offset:         24
        .size:           4
        .value_kind:     by_value
      - .actual_access:  read_only
        .address_space:  global
        .offset:         32
        .size:           8
        .value_kind:     global_buffer
      - .actual_access:  read_only
        .address_space:  global
        .offset:         40
        .size:           8
        .value_kind:     global_buffer
      - .actual_access:  read_only
        .address_space:  global
        .offset:         48
        .size:           8
        .value_kind:     global_buffer
      - .actual_access:  read_only
        .address_space:  global
        .offset:         56
        .size:           8
        .value_kind:     global_buffer
      - .actual_access:  read_only
        .address_space:  global
        .offset:         64
        .size:           8
        .value_kind:     global_buffer
      - .actual_access:  read_only
        .address_space:  global
        .offset:         72
        .size:           8
        .value_kind:     global_buffer
      - .offset:         80
        .size:           16
        .value_kind:     by_value
      - .address_space:  global
        .offset:         96
        .size:           8
        .value_kind:     global_buffer
      - .offset:         104
        .size:           4
        .value_kind:     by_value
      - .offset:         108
        .size:           1
        .value_kind:     by_value
    .group_segment_fixed_size: 0
    .kernarg_segment_align: 8
    .kernarg_segment_size: 112
    .language:       OpenCL C
    .language_version:
      - 2
      - 0
    .max_flat_workgroup_size: 128
    .name:           _ZN9rocsparseL18bsrxmvn_4x4_kernelILj128ELj4E21rocsparse_complex_numIdEliS2_S2_S2_EEvT3_20rocsparse_direction_NS_24const_host_device_scalarIT1_EES3_PKS3_PKT2_SC_S9_PKT4_PKT5_S7_PT6_21rocsparse_index_base_b
    .private_segment_fixed_size: 0
    .sgpr_count:     18
    .sgpr_spill_count: 0
    .symbol:         _ZN9rocsparseL18bsrxmvn_4x4_kernelILj128ELj4E21rocsparse_complex_numIdEliS2_S2_S2_EEvT3_20rocsparse_direction_NS_24const_host_device_scalarIT1_EES3_PKS3_PKT2_SC_S9_PKT4_PKT5_S7_PT6_21rocsparse_index_base_b.kd
    .uniform_work_group_size: 1
    .uses_dynamic_stack: false
    .vgpr_count:     178
    .vgpr_spill_count: 0
    .wavefront_size: 32
    .workgroup_processor_mode: 1
  - .args:
      - .offset:         0
        .size:           4
        .value_kind:     by_value
      - .offset:         4
        .size:           4
        .value_kind:     by_value
      - .offset:         8
        .size:           16
        .value_kind:     by_value
      - .offset:         24
        .size:           4
        .value_kind:     by_value
      - .actual_access:  read_only
        .address_space:  global
        .offset:         32
        .size:           8
        .value_kind:     global_buffer
      - .actual_access:  read_only
        .address_space:  global
        .offset:         40
        .size:           8
        .value_kind:     global_buffer
      - .actual_access:  read_only
        .address_space:  global
        .offset:         48
        .size:           8
        .value_kind:     global_buffer
      - .actual_access:  read_only
        .address_space:  global
        .offset:         56
        .size:           8
        .value_kind:     global_buffer
      - .actual_access:  read_only
        .address_space:  global
        .offset:         64
        .size:           8
        .value_kind:     global_buffer
      - .actual_access:  read_only
        .address_space:  global
        .offset:         72
        .size:           8
        .value_kind:     global_buffer
      - .offset:         80
        .size:           16
        .value_kind:     by_value
      - .address_space:  global
        .offset:         96
        .size:           8
        .value_kind:     global_buffer
      - .offset:         104
        .size:           4
        .value_kind:     by_value
      - .offset:         108
        .size:           1
        .value_kind:     by_value
    .group_segment_fixed_size: 0
    .kernarg_segment_align: 8
    .kernarg_segment_size: 112
    .language:       OpenCL C
    .language_version:
      - 2
      - 0
    .max_flat_workgroup_size: 128
    .name:           _ZN9rocsparseL18bsrxmvn_4x4_kernelILj128ELj8E21rocsparse_complex_numIdEliS2_S2_S2_EEvT3_20rocsparse_direction_NS_24const_host_device_scalarIT1_EES3_PKS3_PKT2_SC_S9_PKT4_PKT5_S7_PT6_21rocsparse_index_base_b
    .private_segment_fixed_size: 0
    .sgpr_count:     18
    .sgpr_spill_count: 0
    .symbol:         _ZN9rocsparseL18bsrxmvn_4x4_kernelILj128ELj8E21rocsparse_complex_numIdEliS2_S2_S2_EEvT3_20rocsparse_direction_NS_24const_host_device_scalarIT1_EES3_PKS3_PKT2_SC_S9_PKT4_PKT5_S7_PT6_21rocsparse_index_base_b.kd
    .uniform_work_group_size: 1
    .uses_dynamic_stack: false
    .vgpr_count:     178
    .vgpr_spill_count: 0
    .wavefront_size: 32
    .workgroup_processor_mode: 1
  - .args:
      - .offset:         0
        .size:           4
        .value_kind:     by_value
      - .offset:         4
        .size:           4
        .value_kind:     by_value
      - .offset:         8
        .size:           16
        .value_kind:     by_value
      - .offset:         24
        .size:           4
        .value_kind:     by_value
      - .actual_access:  read_only
        .address_space:  global
        .offset:         32
        .size:           8
        .value_kind:     global_buffer
      - .actual_access:  read_only
        .address_space:  global
        .offset:         40
        .size:           8
        .value_kind:     global_buffer
      - .actual_access:  read_only
        .address_space:  global
        .offset:         48
        .size:           8
        .value_kind:     global_buffer
      - .actual_access:  read_only
        .address_space:  global
        .offset:         56
        .size:           8
        .value_kind:     global_buffer
      - .actual_access:  read_only
        .address_space:  global
        .offset:         64
        .size:           8
        .value_kind:     global_buffer
      - .actual_access:  read_only
        .address_space:  global
        .offset:         72
        .size:           8
        .value_kind:     global_buffer
      - .offset:         80
        .size:           16
        .value_kind:     by_value
      - .address_space:  global
        .offset:         96
        .size:           8
        .value_kind:     global_buffer
      - .offset:         104
        .size:           4
        .value_kind:     by_value
      - .offset:         108
        .size:           1
        .value_kind:     by_value
    .group_segment_fixed_size: 0
    .kernarg_segment_align: 8
    .kernarg_segment_size: 112
    .language:       OpenCL C
    .language_version:
      - 2
      - 0
    .max_flat_workgroup_size: 128
    .name:           _ZN9rocsparseL18bsrxmvn_4x4_kernelILj128ELj16E21rocsparse_complex_numIdEliS2_S2_S2_EEvT3_20rocsparse_direction_NS_24const_host_device_scalarIT1_EES3_PKS3_PKT2_SC_S9_PKT4_PKT5_S7_PT6_21rocsparse_index_base_b
    .private_segment_fixed_size: 0
    .sgpr_count:     18
    .sgpr_spill_count: 0
    .symbol:         _ZN9rocsparseL18bsrxmvn_4x4_kernelILj128ELj16E21rocsparse_complex_numIdEliS2_S2_S2_EEvT3_20rocsparse_direction_NS_24const_host_device_scalarIT1_EES3_PKS3_PKT2_SC_S9_PKT4_PKT5_S7_PT6_21rocsparse_index_base_b.kd
    .uniform_work_group_size: 1
    .uses_dynamic_stack: false
    .vgpr_count:     178
    .vgpr_spill_count: 0
    .wavefront_size: 32
    .workgroup_processor_mode: 1
  - .args:
      - .offset:         0
        .size:           4
        .value_kind:     by_value
      - .offset:         4
        .size:           4
        .value_kind:     by_value
      - .offset:         8
        .size:           16
        .value_kind:     by_value
      - .offset:         24
        .size:           4
        .value_kind:     by_value
      - .actual_access:  read_only
        .address_space:  global
        .offset:         32
        .size:           8
        .value_kind:     global_buffer
      - .actual_access:  read_only
        .address_space:  global
        .offset:         40
        .size:           8
        .value_kind:     global_buffer
      - .actual_access:  read_only
        .address_space:  global
        .offset:         48
        .size:           8
        .value_kind:     global_buffer
      - .actual_access:  read_only
        .address_space:  global
        .offset:         56
        .size:           8
        .value_kind:     global_buffer
      - .actual_access:  read_only
        .address_space:  global
        .offset:         64
        .size:           8
        .value_kind:     global_buffer
      - .actual_access:  read_only
        .address_space:  global
        .offset:         72
        .size:           8
        .value_kind:     global_buffer
      - .offset:         80
        .size:           16
        .value_kind:     by_value
      - .address_space:  global
        .offset:         96
        .size:           8
        .value_kind:     global_buffer
      - .offset:         104
        .size:           4
        .value_kind:     by_value
      - .offset:         108
        .size:           1
        .value_kind:     by_value
    .group_segment_fixed_size: 0
    .kernarg_segment_align: 8
    .kernarg_segment_size: 112
    .language:       OpenCL C
    .language_version:
      - 2
      - 0
    .max_flat_workgroup_size: 128
    .name:           _ZN9rocsparseL18bsrxmvn_4x4_kernelILj128ELj32E21rocsparse_complex_numIdEliS2_S2_S2_EEvT3_20rocsparse_direction_NS_24const_host_device_scalarIT1_EES3_PKS3_PKT2_SC_S9_PKT4_PKT5_S7_PT6_21rocsparse_index_base_b
    .private_segment_fixed_size: 0
    .sgpr_count:     18
    .sgpr_spill_count: 0
    .symbol:         _ZN9rocsparseL18bsrxmvn_4x4_kernelILj128ELj32E21rocsparse_complex_numIdEliS2_S2_S2_EEvT3_20rocsparse_direction_NS_24const_host_device_scalarIT1_EES3_PKS3_PKT2_SC_S9_PKT4_PKT5_S7_PT6_21rocsparse_index_base_b.kd
    .uniform_work_group_size: 1
    .uses_dynamic_stack: false
    .vgpr_count:     178
    .vgpr_spill_count: 0
    .wavefront_size: 32
    .workgroup_processor_mode: 1
  - .args:
      - .offset:         0
        .size:           4
        .value_kind:     by_value
      - .offset:         4
        .size:           4
        .value_kind:     by_value
      - .offset:         8
        .size:           16
        .value_kind:     by_value
      - .offset:         24
        .size:           4
        .value_kind:     by_value
      - .actual_access:  read_only
        .address_space:  global
        .offset:         32
        .size:           8
        .value_kind:     global_buffer
      - .actual_access:  read_only
        .address_space:  global
        .offset:         40
        .size:           8
        .value_kind:     global_buffer
      - .actual_access:  read_only
        .address_space:  global
        .offset:         48
        .size:           8
        .value_kind:     global_buffer
      - .actual_access:  read_only
        .address_space:  global
        .offset:         56
        .size:           8
        .value_kind:     global_buffer
      - .actual_access:  read_only
        .address_space:  global
        .offset:         64
        .size:           8
        .value_kind:     global_buffer
      - .actual_access:  read_only
        .address_space:  global
        .offset:         72
        .size:           8
        .value_kind:     global_buffer
      - .offset:         80
        .size:           16
        .value_kind:     by_value
      - .address_space:  global
        .offset:         96
        .size:           8
        .value_kind:     global_buffer
      - .offset:         104
        .size:           4
        .value_kind:     by_value
      - .offset:         108
        .size:           1
        .value_kind:     by_value
    .group_segment_fixed_size: 0
    .kernarg_segment_align: 8
    .kernarg_segment_size: 112
    .language:       OpenCL C
    .language_version:
      - 2
      - 0
    .max_flat_workgroup_size: 128
    .name:           _ZN9rocsparseL18bsrxmvn_4x4_kernelILj128ELj64E21rocsparse_complex_numIdEliS2_S2_S2_EEvT3_20rocsparse_direction_NS_24const_host_device_scalarIT1_EES3_PKS3_PKT2_SC_S9_PKT4_PKT5_S7_PT6_21rocsparse_index_base_b
    .private_segment_fixed_size: 0
    .sgpr_count:     18
    .sgpr_spill_count: 0
    .symbol:         _ZN9rocsparseL18bsrxmvn_4x4_kernelILj128ELj64E21rocsparse_complex_numIdEliS2_S2_S2_EEvT3_20rocsparse_direction_NS_24const_host_device_scalarIT1_EES3_PKS3_PKT2_SC_S9_PKT4_PKT5_S7_PT6_21rocsparse_index_base_b.kd
    .uniform_work_group_size: 1
    .uses_dynamic_stack: false
    .vgpr_count:     178
    .vgpr_spill_count: 0
    .wavefront_size: 32
    .workgroup_processor_mode: 1
  - .args:
      - .offset:         0
        .size:           8
        .value_kind:     by_value
      - .offset:         8
        .size:           4
        .value_kind:     by_value
      - .offset:         16
        .size:           8
        .value_kind:     by_value
      - .offset:         24
        .size:           8
        .value_kind:     by_value
      - .actual_access:  read_only
        .address_space:  global
        .offset:         32
        .size:           8
        .value_kind:     global_buffer
      - .actual_access:  read_only
        .address_space:  global
        .offset:         40
        .size:           8
        .value_kind:     global_buffer
      - .actual_access:  read_only
        .address_space:  global
        .offset:         48
        .size:           8
        .value_kind:     global_buffer
      - .actual_access:  read_only
        .address_space:  global
        .offset:         56
        .size:           8
        .value_kind:     global_buffer
      - .actual_access:  read_only
        .address_space:  global
        .offset:         64
        .size:           8
        .value_kind:     global_buffer
      - .actual_access:  read_only
        .address_space:  global
        .offset:         72
        .size:           8
        .value_kind:     global_buffer
      - .offset:         80
        .size:           8
        .value_kind:     by_value
      - .address_space:  global
        .offset:         88
        .size:           8
        .value_kind:     global_buffer
      - .offset:         96
        .size:           4
        .value_kind:     by_value
      - .offset:         100
        .size:           1
        .value_kind:     by_value
    .group_segment_fixed_size: 0
    .kernarg_segment_align: 8
    .kernarg_segment_size: 104
    .language:       OpenCL C
    .language_version:
      - 2
      - 0
    .max_flat_workgroup_size: 128
    .name:           _ZN9rocsparseL18bsrxmvn_4x4_kernelILj128ELj4EfllfffEEvT3_20rocsparse_direction_NS_24const_host_device_scalarIT1_EES1_PKS1_PKT2_SA_S7_PKT4_PKT5_S5_PT6_21rocsparse_index_base_b
    .private_segment_fixed_size: 0
    .sgpr_count:     22
    .sgpr_spill_count: 0
    .symbol:         _ZN9rocsparseL18bsrxmvn_4x4_kernelILj128ELj4EfllfffEEvT3_20rocsparse_direction_NS_24const_host_device_scalarIT1_EES1_PKS1_PKT2_SA_S7_PKT4_PKT5_S5_PT6_21rocsparse_index_base_b.kd
    .uniform_work_group_size: 1
    .uses_dynamic_stack: false
    .vgpr_count:     68
    .vgpr_spill_count: 0
    .wavefront_size: 32
    .workgroup_processor_mode: 1
  - .args:
      - .offset:         0
        .size:           8
        .value_kind:     by_value
      - .offset:         8
        .size:           4
        .value_kind:     by_value
      - .offset:         16
        .size:           8
        .value_kind:     by_value
      - .offset:         24
        .size:           8
        .value_kind:     by_value
      - .actual_access:  read_only
        .address_space:  global
        .offset:         32
        .size:           8
        .value_kind:     global_buffer
      - .actual_access:  read_only
        .address_space:  global
        .offset:         40
        .size:           8
        .value_kind:     global_buffer
      - .actual_access:  read_only
        .address_space:  global
        .offset:         48
        .size:           8
        .value_kind:     global_buffer
      - .actual_access:  read_only
        .address_space:  global
        .offset:         56
        .size:           8
        .value_kind:     global_buffer
      - .actual_access:  read_only
        .address_space:  global
        .offset:         64
        .size:           8
        .value_kind:     global_buffer
      - .actual_access:  read_only
        .address_space:  global
        .offset:         72
        .size:           8
        .value_kind:     global_buffer
      - .offset:         80
        .size:           8
        .value_kind:     by_value
      - .address_space:  global
        .offset:         88
        .size:           8
        .value_kind:     global_buffer
      - .offset:         96
        .size:           4
        .value_kind:     by_value
      - .offset:         100
        .size:           1
        .value_kind:     by_value
    .group_segment_fixed_size: 0
    .kernarg_segment_align: 8
    .kernarg_segment_size: 104
    .language:       OpenCL C
    .language_version:
      - 2
      - 0
    .max_flat_workgroup_size: 128
    .name:           _ZN9rocsparseL18bsrxmvn_4x4_kernelILj128ELj8EfllfffEEvT3_20rocsparse_direction_NS_24const_host_device_scalarIT1_EES1_PKS1_PKT2_SA_S7_PKT4_PKT5_S5_PT6_21rocsparse_index_base_b
    .private_segment_fixed_size: 0
    .sgpr_count:     22
    .sgpr_spill_count: 0
    .symbol:         _ZN9rocsparseL18bsrxmvn_4x4_kernelILj128ELj8EfllfffEEvT3_20rocsparse_direction_NS_24const_host_device_scalarIT1_EES1_PKS1_PKT2_SA_S7_PKT4_PKT5_S5_PT6_21rocsparse_index_base_b.kd
    .uniform_work_group_size: 1
    .uses_dynamic_stack: false
    .vgpr_count:     68
    .vgpr_spill_count: 0
    .wavefront_size: 32
    .workgroup_processor_mode: 1
  - .args:
      - .offset:         0
        .size:           8
        .value_kind:     by_value
      - .offset:         8
        .size:           4
        .value_kind:     by_value
      - .offset:         16
        .size:           8
        .value_kind:     by_value
      - .offset:         24
        .size:           8
        .value_kind:     by_value
      - .actual_access:  read_only
        .address_space:  global
        .offset:         32
        .size:           8
        .value_kind:     global_buffer
      - .actual_access:  read_only
        .address_space:  global
        .offset:         40
        .size:           8
        .value_kind:     global_buffer
      - .actual_access:  read_only
        .address_space:  global
        .offset:         48
        .size:           8
        .value_kind:     global_buffer
      - .actual_access:  read_only
        .address_space:  global
        .offset:         56
        .size:           8
        .value_kind:     global_buffer
      - .actual_access:  read_only
        .address_space:  global
        .offset:         64
        .size:           8
        .value_kind:     global_buffer
      - .actual_access:  read_only
        .address_space:  global
        .offset:         72
        .size:           8
        .value_kind:     global_buffer
      - .offset:         80
        .size:           8
        .value_kind:     by_value
      - .address_space:  global
        .offset:         88
        .size:           8
        .value_kind:     global_buffer
      - .offset:         96
        .size:           4
        .value_kind:     by_value
      - .offset:         100
        .size:           1
        .value_kind:     by_value
    .group_segment_fixed_size: 0
    .kernarg_segment_align: 8
    .kernarg_segment_size: 104
    .language:       OpenCL C
    .language_version:
      - 2
      - 0
    .max_flat_workgroup_size: 128
    .name:           _ZN9rocsparseL18bsrxmvn_4x4_kernelILj128ELj16EfllfffEEvT3_20rocsparse_direction_NS_24const_host_device_scalarIT1_EES1_PKS1_PKT2_SA_S7_PKT4_PKT5_S5_PT6_21rocsparse_index_base_b
    .private_segment_fixed_size: 0
    .sgpr_count:     22
    .sgpr_spill_count: 0
    .symbol:         _ZN9rocsparseL18bsrxmvn_4x4_kernelILj128ELj16EfllfffEEvT3_20rocsparse_direction_NS_24const_host_device_scalarIT1_EES1_PKS1_PKT2_SA_S7_PKT4_PKT5_S5_PT6_21rocsparse_index_base_b.kd
    .uniform_work_group_size: 1
    .uses_dynamic_stack: false
    .vgpr_count:     70
    .vgpr_spill_count: 0
    .wavefront_size: 32
    .workgroup_processor_mode: 1
  - .args:
      - .offset:         0
        .size:           8
        .value_kind:     by_value
      - .offset:         8
        .size:           4
        .value_kind:     by_value
      - .offset:         16
        .size:           8
        .value_kind:     by_value
      - .offset:         24
        .size:           8
        .value_kind:     by_value
      - .actual_access:  read_only
        .address_space:  global
        .offset:         32
        .size:           8
        .value_kind:     global_buffer
      - .actual_access:  read_only
        .address_space:  global
        .offset:         40
        .size:           8
        .value_kind:     global_buffer
      - .actual_access:  read_only
        .address_space:  global
        .offset:         48
        .size:           8
        .value_kind:     global_buffer
      - .actual_access:  read_only
        .address_space:  global
        .offset:         56
        .size:           8
        .value_kind:     global_buffer
      - .actual_access:  read_only
        .address_space:  global
        .offset:         64
        .size:           8
        .value_kind:     global_buffer
      - .actual_access:  read_only
        .address_space:  global
        .offset:         72
        .size:           8
        .value_kind:     global_buffer
      - .offset:         80
        .size:           8
        .value_kind:     by_value
      - .address_space:  global
        .offset:         88
        .size:           8
        .value_kind:     global_buffer
      - .offset:         96
        .size:           4
        .value_kind:     by_value
      - .offset:         100
        .size:           1
        .value_kind:     by_value
    .group_segment_fixed_size: 0
    .kernarg_segment_align: 8
    .kernarg_segment_size: 104
    .language:       OpenCL C
    .language_version:
      - 2
      - 0
    .max_flat_workgroup_size: 128
    .name:           _ZN9rocsparseL18bsrxmvn_4x4_kernelILj128ELj32EfllfffEEvT3_20rocsparse_direction_NS_24const_host_device_scalarIT1_EES1_PKS1_PKT2_SA_S7_PKT4_PKT5_S5_PT6_21rocsparse_index_base_b
    .private_segment_fixed_size: 0
    .sgpr_count:     22
    .sgpr_spill_count: 0
    .symbol:         _ZN9rocsparseL18bsrxmvn_4x4_kernelILj128ELj32EfllfffEEvT3_20rocsparse_direction_NS_24const_host_device_scalarIT1_EES1_PKS1_PKT2_SA_S7_PKT4_PKT5_S5_PT6_21rocsparse_index_base_b.kd
    .uniform_work_group_size: 1
    .uses_dynamic_stack: false
    .vgpr_count:     70
    .vgpr_spill_count: 0
    .wavefront_size: 32
    .workgroup_processor_mode: 1
  - .args:
      - .offset:         0
        .size:           8
        .value_kind:     by_value
      - .offset:         8
        .size:           4
        .value_kind:     by_value
      - .offset:         16
        .size:           8
        .value_kind:     by_value
      - .offset:         24
        .size:           8
        .value_kind:     by_value
      - .actual_access:  read_only
        .address_space:  global
        .offset:         32
        .size:           8
        .value_kind:     global_buffer
      - .actual_access:  read_only
        .address_space:  global
        .offset:         40
        .size:           8
        .value_kind:     global_buffer
      - .actual_access:  read_only
        .address_space:  global
        .offset:         48
        .size:           8
        .value_kind:     global_buffer
      - .actual_access:  read_only
        .address_space:  global
        .offset:         56
        .size:           8
        .value_kind:     global_buffer
      - .actual_access:  read_only
        .address_space:  global
        .offset:         64
        .size:           8
        .value_kind:     global_buffer
      - .actual_access:  read_only
        .address_space:  global
        .offset:         72
        .size:           8
        .value_kind:     global_buffer
      - .offset:         80
        .size:           8
        .value_kind:     by_value
      - .address_space:  global
        .offset:         88
        .size:           8
        .value_kind:     global_buffer
      - .offset:         96
        .size:           4
        .value_kind:     by_value
      - .offset:         100
        .size:           1
        .value_kind:     by_value
    .group_segment_fixed_size: 0
    .kernarg_segment_align: 8
    .kernarg_segment_size: 104
    .language:       OpenCL C
    .language_version:
      - 2
      - 0
    .max_flat_workgroup_size: 128
    .name:           _ZN9rocsparseL18bsrxmvn_4x4_kernelILj128ELj64EfllfffEEvT3_20rocsparse_direction_NS_24const_host_device_scalarIT1_EES1_PKS1_PKT2_SA_S7_PKT4_PKT5_S5_PT6_21rocsparse_index_base_b
    .private_segment_fixed_size: 0
    .sgpr_count:     22
    .sgpr_spill_count: 0
    .symbol:         _ZN9rocsparseL18bsrxmvn_4x4_kernelILj128ELj64EfllfffEEvT3_20rocsparse_direction_NS_24const_host_device_scalarIT1_EES1_PKS1_PKT2_SA_S7_PKT4_PKT5_S5_PT6_21rocsparse_index_base_b.kd
    .uniform_work_group_size: 1
    .uses_dynamic_stack: false
    .vgpr_count:     70
    .vgpr_spill_count: 0
    .wavefront_size: 32
    .workgroup_processor_mode: 1
  - .args:
      - .offset:         0
        .size:           8
        .value_kind:     by_value
      - .offset:         8
        .size:           4
        .value_kind:     by_value
      - .offset:         16
        .size:           8
        .value_kind:     by_value
      - .offset:         24
        .size:           8
        .value_kind:     by_value
      - .actual_access:  read_only
        .address_space:  global
        .offset:         32
        .size:           8
        .value_kind:     global_buffer
      - .actual_access:  read_only
        .address_space:  global
        .offset:         40
        .size:           8
        .value_kind:     global_buffer
      - .actual_access:  read_only
        .address_space:  global
        .offset:         48
        .size:           8
        .value_kind:     global_buffer
      - .actual_access:  read_only
        .address_space:  global
        .offset:         56
        .size:           8
        .value_kind:     global_buffer
      - .actual_access:  read_only
        .address_space:  global
        .offset:         64
        .size:           8
        .value_kind:     global_buffer
      - .actual_access:  read_only
        .address_space:  global
        .offset:         72
        .size:           8
        .value_kind:     global_buffer
      - .offset:         80
        .size:           8
        .value_kind:     by_value
      - .address_space:  global
        .offset:         88
        .size:           8
        .value_kind:     global_buffer
      - .offset:         96
        .size:           4
        .value_kind:     by_value
      - .offset:         100
        .size:           1
        .value_kind:     by_value
    .group_segment_fixed_size: 0
    .kernarg_segment_align: 8
    .kernarg_segment_size: 104
    .language:       OpenCL C
    .language_version:
      - 2
      - 0
    .max_flat_workgroup_size: 128
    .name:           _ZN9rocsparseL18bsrxmvn_4x4_kernelILj128ELj4EdlldddEEvT3_20rocsparse_direction_NS_24const_host_device_scalarIT1_EES1_PKS1_PKT2_SA_S7_PKT4_PKT5_S5_PT6_21rocsparse_index_base_b
    .private_segment_fixed_size: 0
    .sgpr_count:     18
    .sgpr_spill_count: 0
    .symbol:         _ZN9rocsparseL18bsrxmvn_4x4_kernelILj128ELj4EdlldddEEvT3_20rocsparse_direction_NS_24const_host_device_scalarIT1_EES1_PKS1_PKT2_SA_S7_PKT4_PKT5_S5_PT6_21rocsparse_index_base_b.kd
    .uniform_work_group_size: 1
    .uses_dynamic_stack: false
    .vgpr_count:     141
    .vgpr_spill_count: 0
    .wavefront_size: 32
    .workgroup_processor_mode: 1
  - .args:
      - .offset:         0
        .size:           8
        .value_kind:     by_value
      - .offset:         8
        .size:           4
        .value_kind:     by_value
      - .offset:         16
        .size:           8
        .value_kind:     by_value
      - .offset:         24
        .size:           8
        .value_kind:     by_value
      - .actual_access:  read_only
        .address_space:  global
        .offset:         32
        .size:           8
        .value_kind:     global_buffer
      - .actual_access:  read_only
        .address_space:  global
        .offset:         40
        .size:           8
        .value_kind:     global_buffer
      - .actual_access:  read_only
        .address_space:  global
        .offset:         48
        .size:           8
        .value_kind:     global_buffer
      - .actual_access:  read_only
        .address_space:  global
        .offset:         56
        .size:           8
        .value_kind:     global_buffer
      - .actual_access:  read_only
        .address_space:  global
        .offset:         64
        .size:           8
        .value_kind:     global_buffer
      - .actual_access:  read_only
        .address_space:  global
        .offset:         72
        .size:           8
        .value_kind:     global_buffer
      - .offset:         80
        .size:           8
        .value_kind:     by_value
      - .address_space:  global
        .offset:         88
        .size:           8
        .value_kind:     global_buffer
      - .offset:         96
        .size:           4
        .value_kind:     by_value
      - .offset:         100
        .size:           1
        .value_kind:     by_value
    .group_segment_fixed_size: 0
    .kernarg_segment_align: 8
    .kernarg_segment_size: 104
    .language:       OpenCL C
    .language_version:
      - 2
      - 0
    .max_flat_workgroup_size: 128
    .name:           _ZN9rocsparseL18bsrxmvn_4x4_kernelILj128ELj8EdlldddEEvT3_20rocsparse_direction_NS_24const_host_device_scalarIT1_EES1_PKS1_PKT2_SA_S7_PKT4_PKT5_S5_PT6_21rocsparse_index_base_b
    .private_segment_fixed_size: 0
    .sgpr_count:     18
    .sgpr_spill_count: 0
    .symbol:         _ZN9rocsparseL18bsrxmvn_4x4_kernelILj128ELj8EdlldddEEvT3_20rocsparse_direction_NS_24const_host_device_scalarIT1_EES1_PKS1_PKT2_SA_S7_PKT4_PKT5_S5_PT6_21rocsparse_index_base_b.kd
    .uniform_work_group_size: 1
    .uses_dynamic_stack: false
    .vgpr_count:     141
    .vgpr_spill_count: 0
    .wavefront_size: 32
    .workgroup_processor_mode: 1
  - .args:
      - .offset:         0
        .size:           8
        .value_kind:     by_value
      - .offset:         8
        .size:           4
        .value_kind:     by_value
      - .offset:         16
        .size:           8
        .value_kind:     by_value
      - .offset:         24
        .size:           8
        .value_kind:     by_value
      - .actual_access:  read_only
        .address_space:  global
        .offset:         32
        .size:           8
        .value_kind:     global_buffer
      - .actual_access:  read_only
        .address_space:  global
        .offset:         40
        .size:           8
        .value_kind:     global_buffer
      - .actual_access:  read_only
        .address_space:  global
        .offset:         48
        .size:           8
        .value_kind:     global_buffer
      - .actual_access:  read_only
        .address_space:  global
        .offset:         56
        .size:           8
        .value_kind:     global_buffer
      - .actual_access:  read_only
        .address_space:  global
        .offset:         64
        .size:           8
        .value_kind:     global_buffer
      - .actual_access:  read_only
        .address_space:  global
        .offset:         72
        .size:           8
        .value_kind:     global_buffer
      - .offset:         80
        .size:           8
        .value_kind:     by_value
      - .address_space:  global
        .offset:         88
        .size:           8
        .value_kind:     global_buffer
      - .offset:         96
        .size:           4
        .value_kind:     by_value
      - .offset:         100
        .size:           1
        .value_kind:     by_value
    .group_segment_fixed_size: 0
    .kernarg_segment_align: 8
    .kernarg_segment_size: 104
    .language:       OpenCL C
    .language_version:
      - 2
      - 0
    .max_flat_workgroup_size: 128
    .name:           _ZN9rocsparseL18bsrxmvn_4x4_kernelILj128ELj16EdlldddEEvT3_20rocsparse_direction_NS_24const_host_device_scalarIT1_EES1_PKS1_PKT2_SA_S7_PKT4_PKT5_S5_PT6_21rocsparse_index_base_b
    .private_segment_fixed_size: 0
    .sgpr_count:     18
    .sgpr_spill_count: 0
    .symbol:         _ZN9rocsparseL18bsrxmvn_4x4_kernelILj128ELj16EdlldddEEvT3_20rocsparse_direction_NS_24const_host_device_scalarIT1_EES1_PKS1_PKT2_SA_S7_PKT4_PKT5_S5_PT6_21rocsparse_index_base_b.kd
    .uniform_work_group_size: 1
    .uses_dynamic_stack: false
    .vgpr_count:     141
    .vgpr_spill_count: 0
    .wavefront_size: 32
    .workgroup_processor_mode: 1
  - .args:
      - .offset:         0
        .size:           8
        .value_kind:     by_value
      - .offset:         8
        .size:           4
        .value_kind:     by_value
      - .offset:         16
        .size:           8
        .value_kind:     by_value
      - .offset:         24
        .size:           8
        .value_kind:     by_value
      - .actual_access:  read_only
        .address_space:  global
        .offset:         32
        .size:           8
        .value_kind:     global_buffer
      - .actual_access:  read_only
        .address_space:  global
        .offset:         40
        .size:           8
        .value_kind:     global_buffer
      - .actual_access:  read_only
        .address_space:  global
        .offset:         48
        .size:           8
        .value_kind:     global_buffer
      - .actual_access:  read_only
        .address_space:  global
        .offset:         56
        .size:           8
        .value_kind:     global_buffer
      - .actual_access:  read_only
        .address_space:  global
        .offset:         64
        .size:           8
        .value_kind:     global_buffer
      - .actual_access:  read_only
        .address_space:  global
        .offset:         72
        .size:           8
        .value_kind:     global_buffer
      - .offset:         80
        .size:           8
        .value_kind:     by_value
      - .address_space:  global
        .offset:         88
        .size:           8
        .value_kind:     global_buffer
      - .offset:         96
        .size:           4
        .value_kind:     by_value
      - .offset:         100
        .size:           1
        .value_kind:     by_value
    .group_segment_fixed_size: 0
    .kernarg_segment_align: 8
    .kernarg_segment_size: 104
    .language:       OpenCL C
    .language_version:
      - 2
      - 0
    .max_flat_workgroup_size: 128
    .name:           _ZN9rocsparseL18bsrxmvn_4x4_kernelILj128ELj32EdlldddEEvT3_20rocsparse_direction_NS_24const_host_device_scalarIT1_EES1_PKS1_PKT2_SA_S7_PKT4_PKT5_S5_PT6_21rocsparse_index_base_b
    .private_segment_fixed_size: 0
    .sgpr_count:     18
    .sgpr_spill_count: 0
    .symbol:         _ZN9rocsparseL18bsrxmvn_4x4_kernelILj128ELj32EdlldddEEvT3_20rocsparse_direction_NS_24const_host_device_scalarIT1_EES1_PKS1_PKT2_SA_S7_PKT4_PKT5_S5_PT6_21rocsparse_index_base_b.kd
    .uniform_work_group_size: 1
    .uses_dynamic_stack: false
    .vgpr_count:     141
    .vgpr_spill_count: 0
    .wavefront_size: 32
    .workgroup_processor_mode: 1
  - .args:
      - .offset:         0
        .size:           8
        .value_kind:     by_value
      - .offset:         8
        .size:           4
        .value_kind:     by_value
      - .offset:         16
        .size:           8
        .value_kind:     by_value
      - .offset:         24
        .size:           8
        .value_kind:     by_value
      - .actual_access:  read_only
        .address_space:  global
        .offset:         32
        .size:           8
        .value_kind:     global_buffer
      - .actual_access:  read_only
        .address_space:  global
        .offset:         40
        .size:           8
        .value_kind:     global_buffer
      - .actual_access:  read_only
        .address_space:  global
        .offset:         48
        .size:           8
        .value_kind:     global_buffer
      - .actual_access:  read_only
        .address_space:  global
        .offset:         56
        .size:           8
        .value_kind:     global_buffer
      - .actual_access:  read_only
        .address_space:  global
        .offset:         64
        .size:           8
        .value_kind:     global_buffer
      - .actual_access:  read_only
        .address_space:  global
        .offset:         72
        .size:           8
        .value_kind:     global_buffer
      - .offset:         80
        .size:           8
        .value_kind:     by_value
      - .address_space:  global
        .offset:         88
        .size:           8
        .value_kind:     global_buffer
      - .offset:         96
        .size:           4
        .value_kind:     by_value
      - .offset:         100
        .size:           1
        .value_kind:     by_value
    .group_segment_fixed_size: 0
    .kernarg_segment_align: 8
    .kernarg_segment_size: 104
    .language:       OpenCL C
    .language_version:
      - 2
      - 0
    .max_flat_workgroup_size: 128
    .name:           _ZN9rocsparseL18bsrxmvn_4x4_kernelILj128ELj64EdlldddEEvT3_20rocsparse_direction_NS_24const_host_device_scalarIT1_EES1_PKS1_PKT2_SA_S7_PKT4_PKT5_S5_PT6_21rocsparse_index_base_b
    .private_segment_fixed_size: 0
    .sgpr_count:     18
    .sgpr_spill_count: 0
    .symbol:         _ZN9rocsparseL18bsrxmvn_4x4_kernelILj128ELj64EdlldddEEvT3_20rocsparse_direction_NS_24const_host_device_scalarIT1_EES1_PKS1_PKT2_SA_S7_PKT4_PKT5_S5_PT6_21rocsparse_index_base_b.kd
    .uniform_work_group_size: 1
    .uses_dynamic_stack: false
    .vgpr_count:     141
    .vgpr_spill_count: 0
    .wavefront_size: 32
    .workgroup_processor_mode: 1
  - .args:
      - .offset:         0
        .size:           8
        .value_kind:     by_value
      - .offset:         8
        .size:           4
        .value_kind:     by_value
      - .offset:         16
        .size:           8
        .value_kind:     by_value
      - .offset:         24
        .size:           8
        .value_kind:     by_value
      - .actual_access:  read_only
        .address_space:  global
        .offset:         32
        .size:           8
        .value_kind:     global_buffer
      - .actual_access:  read_only
        .address_space:  global
        .offset:         40
        .size:           8
        .value_kind:     global_buffer
      - .actual_access:  read_only
        .address_space:  global
        .offset:         48
        .size:           8
        .value_kind:     global_buffer
      - .actual_access:  read_only
        .address_space:  global
        .offset:         56
        .size:           8
        .value_kind:     global_buffer
      - .actual_access:  read_only
        .address_space:  global
        .offset:         64
        .size:           8
        .value_kind:     global_buffer
      - .actual_access:  read_only
        .address_space:  global
        .offset:         72
        .size:           8
        .value_kind:     global_buffer
      - .offset:         80
        .size:           8
        .value_kind:     by_value
      - .address_space:  global
        .offset:         88
        .size:           8
        .value_kind:     global_buffer
      - .offset:         96
        .size:           4
        .value_kind:     by_value
      - .offset:         100
        .size:           1
        .value_kind:     by_value
    .group_segment_fixed_size: 0
    .kernarg_segment_align: 8
    .kernarg_segment_size: 104
    .language:       OpenCL C
    .language_version:
      - 2
      - 0
    .max_flat_workgroup_size: 128
    .name:           _ZN9rocsparseL18bsrxmvn_4x4_kernelILj128ELj4E21rocsparse_complex_numIfEllS2_S2_S2_EEvT3_20rocsparse_direction_NS_24const_host_device_scalarIT1_EES3_PKS3_PKT2_SC_S9_PKT4_PKT5_S7_PT6_21rocsparse_index_base_b
    .private_segment_fixed_size: 0
    .sgpr_count:     18
    .sgpr_spill_count: 0
    .symbol:         _ZN9rocsparseL18bsrxmvn_4x4_kernelILj128ELj4E21rocsparse_complex_numIfEllS2_S2_S2_EEvT3_20rocsparse_direction_NS_24const_host_device_scalarIT1_EES3_PKS3_PKT2_SC_S9_PKT4_PKT5_S7_PT6_21rocsparse_index_base_b.kd
    .uniform_work_group_size: 1
    .uses_dynamic_stack: false
    .vgpr_count:     137
    .vgpr_spill_count: 0
    .wavefront_size: 32
    .workgroup_processor_mode: 1
  - .args:
      - .offset:         0
        .size:           8
        .value_kind:     by_value
      - .offset:         8
        .size:           4
        .value_kind:     by_value
      - .offset:         16
        .size:           8
        .value_kind:     by_value
      - .offset:         24
        .size:           8
        .value_kind:     by_value
      - .actual_access:  read_only
        .address_space:  global
        .offset:         32
        .size:           8
        .value_kind:     global_buffer
      - .actual_access:  read_only
        .address_space:  global
        .offset:         40
        .size:           8
        .value_kind:     global_buffer
      - .actual_access:  read_only
        .address_space:  global
        .offset:         48
        .size:           8
        .value_kind:     global_buffer
      - .actual_access:  read_only
        .address_space:  global
        .offset:         56
        .size:           8
        .value_kind:     global_buffer
      - .actual_access:  read_only
        .address_space:  global
        .offset:         64
        .size:           8
        .value_kind:     global_buffer
      - .actual_access:  read_only
        .address_space:  global
        .offset:         72
        .size:           8
        .value_kind:     global_buffer
      - .offset:         80
        .size:           8
        .value_kind:     by_value
      - .address_space:  global
        .offset:         88
        .size:           8
        .value_kind:     global_buffer
      - .offset:         96
        .size:           4
        .value_kind:     by_value
      - .offset:         100
        .size:           1
        .value_kind:     by_value
    .group_segment_fixed_size: 0
    .kernarg_segment_align: 8
    .kernarg_segment_size: 104
    .language:       OpenCL C
    .language_version:
      - 2
      - 0
    .max_flat_workgroup_size: 128
    .name:           _ZN9rocsparseL18bsrxmvn_4x4_kernelILj128ELj8E21rocsparse_complex_numIfEllS2_S2_S2_EEvT3_20rocsparse_direction_NS_24const_host_device_scalarIT1_EES3_PKS3_PKT2_SC_S9_PKT4_PKT5_S7_PT6_21rocsparse_index_base_b
    .private_segment_fixed_size: 0
    .sgpr_count:     18
    .sgpr_spill_count: 0
    .symbol:         _ZN9rocsparseL18bsrxmvn_4x4_kernelILj128ELj8E21rocsparse_complex_numIfEllS2_S2_S2_EEvT3_20rocsparse_direction_NS_24const_host_device_scalarIT1_EES3_PKS3_PKT2_SC_S9_PKT4_PKT5_S7_PT6_21rocsparse_index_base_b.kd
    .uniform_work_group_size: 1
    .uses_dynamic_stack: false
    .vgpr_count:     139
    .vgpr_spill_count: 0
    .wavefront_size: 32
    .workgroup_processor_mode: 1
  - .args:
      - .offset:         0
        .size:           8
        .value_kind:     by_value
      - .offset:         8
        .size:           4
        .value_kind:     by_value
      - .offset:         16
        .size:           8
        .value_kind:     by_value
      - .offset:         24
        .size:           8
        .value_kind:     by_value
      - .actual_access:  read_only
        .address_space:  global
        .offset:         32
        .size:           8
        .value_kind:     global_buffer
      - .actual_access:  read_only
        .address_space:  global
        .offset:         40
        .size:           8
        .value_kind:     global_buffer
      - .actual_access:  read_only
        .address_space:  global
        .offset:         48
        .size:           8
        .value_kind:     global_buffer
      - .actual_access:  read_only
        .address_space:  global
        .offset:         56
        .size:           8
        .value_kind:     global_buffer
      - .actual_access:  read_only
        .address_space:  global
        .offset:         64
        .size:           8
        .value_kind:     global_buffer
      - .actual_access:  read_only
        .address_space:  global
        .offset:         72
        .size:           8
        .value_kind:     global_buffer
      - .offset:         80
        .size:           8
        .value_kind:     by_value
      - .address_space:  global
        .offset:         88
        .size:           8
        .value_kind:     global_buffer
      - .offset:         96
        .size:           4
        .value_kind:     by_value
      - .offset:         100
        .size:           1
        .value_kind:     by_value
    .group_segment_fixed_size: 0
    .kernarg_segment_align: 8
    .kernarg_segment_size: 104
    .language:       OpenCL C
    .language_version:
      - 2
      - 0
    .max_flat_workgroup_size: 128
    .name:           _ZN9rocsparseL18bsrxmvn_4x4_kernelILj128ELj16E21rocsparse_complex_numIfEllS2_S2_S2_EEvT3_20rocsparse_direction_NS_24const_host_device_scalarIT1_EES3_PKS3_PKT2_SC_S9_PKT4_PKT5_S7_PT6_21rocsparse_index_base_b
    .private_segment_fixed_size: 0
    .sgpr_count:     18
    .sgpr_spill_count: 0
    .symbol:         _ZN9rocsparseL18bsrxmvn_4x4_kernelILj128ELj16E21rocsparse_complex_numIfEllS2_S2_S2_EEvT3_20rocsparse_direction_NS_24const_host_device_scalarIT1_EES3_PKS3_PKT2_SC_S9_PKT4_PKT5_S7_PT6_21rocsparse_index_base_b.kd
    .uniform_work_group_size: 1
    .uses_dynamic_stack: false
    .vgpr_count:     141
    .vgpr_spill_count: 0
    .wavefront_size: 32
    .workgroup_processor_mode: 1
  - .args:
      - .offset:         0
        .size:           8
        .value_kind:     by_value
      - .offset:         8
        .size:           4
        .value_kind:     by_value
      - .offset:         16
        .size:           8
        .value_kind:     by_value
      - .offset:         24
        .size:           8
        .value_kind:     by_value
      - .actual_access:  read_only
        .address_space:  global
        .offset:         32
        .size:           8
        .value_kind:     global_buffer
      - .actual_access:  read_only
        .address_space:  global
        .offset:         40
        .size:           8
        .value_kind:     global_buffer
      - .actual_access:  read_only
        .address_space:  global
        .offset:         48
        .size:           8
        .value_kind:     global_buffer
      - .actual_access:  read_only
        .address_space:  global
        .offset:         56
        .size:           8
        .value_kind:     global_buffer
      - .actual_access:  read_only
        .address_space:  global
        .offset:         64
        .size:           8
        .value_kind:     global_buffer
      - .actual_access:  read_only
        .address_space:  global
        .offset:         72
        .size:           8
        .value_kind:     global_buffer
      - .offset:         80
        .size:           8
        .value_kind:     by_value
      - .address_space:  global
        .offset:         88
        .size:           8
        .value_kind:     global_buffer
      - .offset:         96
        .size:           4
        .value_kind:     by_value
      - .offset:         100
        .size:           1
        .value_kind:     by_value
    .group_segment_fixed_size: 0
    .kernarg_segment_align: 8
    .kernarg_segment_size: 104
    .language:       OpenCL C
    .language_version:
      - 2
      - 0
    .max_flat_workgroup_size: 128
    .name:           _ZN9rocsparseL18bsrxmvn_4x4_kernelILj128ELj32E21rocsparse_complex_numIfEllS2_S2_S2_EEvT3_20rocsparse_direction_NS_24const_host_device_scalarIT1_EES3_PKS3_PKT2_SC_S9_PKT4_PKT5_S7_PT6_21rocsparse_index_base_b
    .private_segment_fixed_size: 0
    .sgpr_count:     18
    .sgpr_spill_count: 0
    .symbol:         _ZN9rocsparseL18bsrxmvn_4x4_kernelILj128ELj32E21rocsparse_complex_numIfEllS2_S2_S2_EEvT3_20rocsparse_direction_NS_24const_host_device_scalarIT1_EES3_PKS3_PKT2_SC_S9_PKT4_PKT5_S7_PT6_21rocsparse_index_base_b.kd
    .uniform_work_group_size: 1
    .uses_dynamic_stack: false
    .vgpr_count:     139
    .vgpr_spill_count: 0
    .wavefront_size: 32
    .workgroup_processor_mode: 1
  - .args:
      - .offset:         0
        .size:           8
        .value_kind:     by_value
      - .offset:         8
        .size:           4
        .value_kind:     by_value
      - .offset:         16
        .size:           8
        .value_kind:     by_value
      - .offset:         24
        .size:           8
        .value_kind:     by_value
      - .actual_access:  read_only
        .address_space:  global
        .offset:         32
        .size:           8
        .value_kind:     global_buffer
      - .actual_access:  read_only
        .address_space:  global
        .offset:         40
        .size:           8
        .value_kind:     global_buffer
      - .actual_access:  read_only
        .address_space:  global
        .offset:         48
        .size:           8
        .value_kind:     global_buffer
      - .actual_access:  read_only
        .address_space:  global
        .offset:         56
        .size:           8
        .value_kind:     global_buffer
      - .actual_access:  read_only
        .address_space:  global
        .offset:         64
        .size:           8
        .value_kind:     global_buffer
      - .actual_access:  read_only
        .address_space:  global
        .offset:         72
        .size:           8
        .value_kind:     global_buffer
      - .offset:         80
        .size:           8
        .value_kind:     by_value
      - .address_space:  global
        .offset:         88
        .size:           8
        .value_kind:     global_buffer
      - .offset:         96
        .size:           4
        .value_kind:     by_value
      - .offset:         100
        .size:           1
        .value_kind:     by_value
    .group_segment_fixed_size: 0
    .kernarg_segment_align: 8
    .kernarg_segment_size: 104
    .language:       OpenCL C
    .language_version:
      - 2
      - 0
    .max_flat_workgroup_size: 128
    .name:           _ZN9rocsparseL18bsrxmvn_4x4_kernelILj128ELj64E21rocsparse_complex_numIfEllS2_S2_S2_EEvT3_20rocsparse_direction_NS_24const_host_device_scalarIT1_EES3_PKS3_PKT2_SC_S9_PKT4_PKT5_S7_PT6_21rocsparse_index_base_b
    .private_segment_fixed_size: 0
    .sgpr_count:     18
    .sgpr_spill_count: 0
    .symbol:         _ZN9rocsparseL18bsrxmvn_4x4_kernelILj128ELj64E21rocsparse_complex_numIfEllS2_S2_S2_EEvT3_20rocsparse_direction_NS_24const_host_device_scalarIT1_EES3_PKS3_PKT2_SC_S9_PKT4_PKT5_S7_PT6_21rocsparse_index_base_b.kd
    .uniform_work_group_size: 1
    .uses_dynamic_stack: false
    .vgpr_count:     139
    .vgpr_spill_count: 0
    .wavefront_size: 32
    .workgroup_processor_mode: 1
  - .args:
      - .offset:         0
        .size:           8
        .value_kind:     by_value
      - .offset:         8
        .size:           4
        .value_kind:     by_value
      - .offset:         16
        .size:           16
        .value_kind:     by_value
      - .offset:         32
        .size:           8
        .value_kind:     by_value
      - .actual_access:  read_only
        .address_space:  global
        .offset:         40
        .size:           8
        .value_kind:     global_buffer
      - .actual_access:  read_only
        .address_space:  global
        .offset:         48
        .size:           8
        .value_kind:     global_buffer
      - .actual_access:  read_only
        .address_space:  global
        .offset:         56
        .size:           8
        .value_kind:     global_buffer
      - .actual_access:  read_only
        .address_space:  global
        .offset:         64
        .size:           8
        .value_kind:     global_buffer
      - .actual_access:  read_only
        .address_space:  global
        .offset:         72
        .size:           8
        .value_kind:     global_buffer
      - .actual_access:  read_only
        .address_space:  global
        .offset:         80
        .size:           8
        .value_kind:     global_buffer
      - .offset:         88
        .size:           16
        .value_kind:     by_value
      - .address_space:  global
        .offset:         104
        .size:           8
        .value_kind:     global_buffer
      - .offset:         112
        .size:           4
        .value_kind:     by_value
      - .offset:         116
        .size:           1
        .value_kind:     by_value
    .group_segment_fixed_size: 0
    .kernarg_segment_align: 8
    .kernarg_segment_size: 120
    .language:       OpenCL C
    .language_version:
      - 2
      - 0
    .max_flat_workgroup_size: 128
    .name:           _ZN9rocsparseL18bsrxmvn_4x4_kernelILj128ELj4E21rocsparse_complex_numIdEllS2_S2_S2_EEvT3_20rocsparse_direction_NS_24const_host_device_scalarIT1_EES3_PKS3_PKT2_SC_S9_PKT4_PKT5_S7_PT6_21rocsparse_index_base_b
    .private_segment_fixed_size: 0
    .sgpr_count:     18
    .sgpr_spill_count: 0
    .symbol:         _ZN9rocsparseL18bsrxmvn_4x4_kernelILj128ELj4E21rocsparse_complex_numIdEllS2_S2_S2_EEvT3_20rocsparse_direction_NS_24const_host_device_scalarIT1_EES3_PKS3_PKT2_SC_S9_PKT4_PKT5_S7_PT6_21rocsparse_index_base_b.kd
    .uniform_work_group_size: 1
    .uses_dynamic_stack: false
    .vgpr_count:     177
    .vgpr_spill_count: 0
    .wavefront_size: 32
    .workgroup_processor_mode: 1
  - .args:
      - .offset:         0
        .size:           8
        .value_kind:     by_value
      - .offset:         8
        .size:           4
        .value_kind:     by_value
      - .offset:         16
        .size:           16
        .value_kind:     by_value
      - .offset:         32
        .size:           8
        .value_kind:     by_value
      - .actual_access:  read_only
        .address_space:  global
        .offset:         40
        .size:           8
        .value_kind:     global_buffer
      - .actual_access:  read_only
        .address_space:  global
        .offset:         48
        .size:           8
        .value_kind:     global_buffer
      - .actual_access:  read_only
        .address_space:  global
        .offset:         56
        .size:           8
        .value_kind:     global_buffer
      - .actual_access:  read_only
        .address_space:  global
        .offset:         64
        .size:           8
        .value_kind:     global_buffer
      - .actual_access:  read_only
        .address_space:  global
        .offset:         72
        .size:           8
        .value_kind:     global_buffer
      - .actual_access:  read_only
        .address_space:  global
        .offset:         80
        .size:           8
        .value_kind:     global_buffer
      - .offset:         88
        .size:           16
        .value_kind:     by_value
      - .address_space:  global
        .offset:         104
        .size:           8
        .value_kind:     global_buffer
      - .offset:         112
        .size:           4
        .value_kind:     by_value
      - .offset:         116
        .size:           1
        .value_kind:     by_value
    .group_segment_fixed_size: 0
    .kernarg_segment_align: 8
    .kernarg_segment_size: 120
    .language:       OpenCL C
    .language_version:
      - 2
      - 0
    .max_flat_workgroup_size: 128
    .name:           _ZN9rocsparseL18bsrxmvn_4x4_kernelILj128ELj8E21rocsparse_complex_numIdEllS2_S2_S2_EEvT3_20rocsparse_direction_NS_24const_host_device_scalarIT1_EES3_PKS3_PKT2_SC_S9_PKT4_PKT5_S7_PT6_21rocsparse_index_base_b
    .private_segment_fixed_size: 0
    .sgpr_count:     18
    .sgpr_spill_count: 0
    .symbol:         _ZN9rocsparseL18bsrxmvn_4x4_kernelILj128ELj8E21rocsparse_complex_numIdEllS2_S2_S2_EEvT3_20rocsparse_direction_NS_24const_host_device_scalarIT1_EES3_PKS3_PKT2_SC_S9_PKT4_PKT5_S7_PT6_21rocsparse_index_base_b.kd
    .uniform_work_group_size: 1
    .uses_dynamic_stack: false
    .vgpr_count:     181
    .vgpr_spill_count: 0
    .wavefront_size: 32
    .workgroup_processor_mode: 1
  - .args:
      - .offset:         0
        .size:           8
        .value_kind:     by_value
      - .offset:         8
        .size:           4
        .value_kind:     by_value
      - .offset:         16
        .size:           16
        .value_kind:     by_value
      - .offset:         32
        .size:           8
        .value_kind:     by_value
      - .actual_access:  read_only
        .address_space:  global
        .offset:         40
        .size:           8
        .value_kind:     global_buffer
      - .actual_access:  read_only
        .address_space:  global
        .offset:         48
        .size:           8
        .value_kind:     global_buffer
      - .actual_access:  read_only
        .address_space:  global
        .offset:         56
        .size:           8
        .value_kind:     global_buffer
      - .actual_access:  read_only
        .address_space:  global
        .offset:         64
        .size:           8
        .value_kind:     global_buffer
      - .actual_access:  read_only
        .address_space:  global
        .offset:         72
        .size:           8
        .value_kind:     global_buffer
      - .actual_access:  read_only
        .address_space:  global
        .offset:         80
        .size:           8
        .value_kind:     global_buffer
      - .offset:         88
        .size:           16
        .value_kind:     by_value
      - .address_space:  global
        .offset:         104
        .size:           8
        .value_kind:     global_buffer
      - .offset:         112
        .size:           4
        .value_kind:     by_value
      - .offset:         116
        .size:           1
        .value_kind:     by_value
    .group_segment_fixed_size: 0
    .kernarg_segment_align: 8
    .kernarg_segment_size: 120
    .language:       OpenCL C
    .language_version:
      - 2
      - 0
    .max_flat_workgroup_size: 128
    .name:           _ZN9rocsparseL18bsrxmvn_4x4_kernelILj128ELj16E21rocsparse_complex_numIdEllS2_S2_S2_EEvT3_20rocsparse_direction_NS_24const_host_device_scalarIT1_EES3_PKS3_PKT2_SC_S9_PKT4_PKT5_S7_PT6_21rocsparse_index_base_b
    .private_segment_fixed_size: 0
    .sgpr_count:     18
    .sgpr_spill_count: 0
    .symbol:         _ZN9rocsparseL18bsrxmvn_4x4_kernelILj128ELj16E21rocsparse_complex_numIdEllS2_S2_S2_EEvT3_20rocsparse_direction_NS_24const_host_device_scalarIT1_EES3_PKS3_PKT2_SC_S9_PKT4_PKT5_S7_PT6_21rocsparse_index_base_b.kd
    .uniform_work_group_size: 1
    .uses_dynamic_stack: false
    .vgpr_count:     179
    .vgpr_spill_count: 0
    .wavefront_size: 32
    .workgroup_processor_mode: 1
  - .args:
      - .offset:         0
        .size:           8
        .value_kind:     by_value
      - .offset:         8
        .size:           4
        .value_kind:     by_value
      - .offset:         16
        .size:           16
        .value_kind:     by_value
      - .offset:         32
        .size:           8
        .value_kind:     by_value
      - .actual_access:  read_only
        .address_space:  global
        .offset:         40
        .size:           8
        .value_kind:     global_buffer
      - .actual_access:  read_only
        .address_space:  global
        .offset:         48
        .size:           8
        .value_kind:     global_buffer
      - .actual_access:  read_only
        .address_space:  global
        .offset:         56
        .size:           8
        .value_kind:     global_buffer
      - .actual_access:  read_only
        .address_space:  global
        .offset:         64
        .size:           8
        .value_kind:     global_buffer
      - .actual_access:  read_only
        .address_space:  global
        .offset:         72
        .size:           8
        .value_kind:     global_buffer
      - .actual_access:  read_only
        .address_space:  global
        .offset:         80
        .size:           8
        .value_kind:     global_buffer
      - .offset:         88
        .size:           16
        .value_kind:     by_value
      - .address_space:  global
        .offset:         104
        .size:           8
        .value_kind:     global_buffer
      - .offset:         112
        .size:           4
        .value_kind:     by_value
      - .offset:         116
        .size:           1
        .value_kind:     by_value
    .group_segment_fixed_size: 0
    .kernarg_segment_align: 8
    .kernarg_segment_size: 120
    .language:       OpenCL C
    .language_version:
      - 2
      - 0
    .max_flat_workgroup_size: 128
    .name:           _ZN9rocsparseL18bsrxmvn_4x4_kernelILj128ELj32E21rocsparse_complex_numIdEllS2_S2_S2_EEvT3_20rocsparse_direction_NS_24const_host_device_scalarIT1_EES3_PKS3_PKT2_SC_S9_PKT4_PKT5_S7_PT6_21rocsparse_index_base_b
    .private_segment_fixed_size: 0
    .sgpr_count:     18
    .sgpr_spill_count: 0
    .symbol:         _ZN9rocsparseL18bsrxmvn_4x4_kernelILj128ELj32E21rocsparse_complex_numIdEllS2_S2_S2_EEvT3_20rocsparse_direction_NS_24const_host_device_scalarIT1_EES3_PKS3_PKT2_SC_S9_PKT4_PKT5_S7_PT6_21rocsparse_index_base_b.kd
    .uniform_work_group_size: 1
    .uses_dynamic_stack: false
    .vgpr_count:     179
    .vgpr_spill_count: 0
    .wavefront_size: 32
    .workgroup_processor_mode: 1
  - .args:
      - .offset:         0
        .size:           8
        .value_kind:     by_value
      - .offset:         8
        .size:           4
        .value_kind:     by_value
      - .offset:         16
        .size:           16
        .value_kind:     by_value
      - .offset:         32
        .size:           8
        .value_kind:     by_value
      - .actual_access:  read_only
        .address_space:  global
        .offset:         40
        .size:           8
        .value_kind:     global_buffer
      - .actual_access:  read_only
        .address_space:  global
        .offset:         48
        .size:           8
        .value_kind:     global_buffer
      - .actual_access:  read_only
        .address_space:  global
        .offset:         56
        .size:           8
        .value_kind:     global_buffer
      - .actual_access:  read_only
        .address_space:  global
        .offset:         64
        .size:           8
        .value_kind:     global_buffer
      - .actual_access:  read_only
        .address_space:  global
        .offset:         72
        .size:           8
        .value_kind:     global_buffer
      - .actual_access:  read_only
        .address_space:  global
        .offset:         80
        .size:           8
        .value_kind:     global_buffer
      - .offset:         88
        .size:           16
        .value_kind:     by_value
      - .address_space:  global
        .offset:         104
        .size:           8
        .value_kind:     global_buffer
      - .offset:         112
        .size:           4
        .value_kind:     by_value
      - .offset:         116
        .size:           1
        .value_kind:     by_value
    .group_segment_fixed_size: 0
    .kernarg_segment_align: 8
    .kernarg_segment_size: 120
    .language:       OpenCL C
    .language_version:
      - 2
      - 0
    .max_flat_workgroup_size: 128
    .name:           _ZN9rocsparseL18bsrxmvn_4x4_kernelILj128ELj64E21rocsparse_complex_numIdEllS2_S2_S2_EEvT3_20rocsparse_direction_NS_24const_host_device_scalarIT1_EES3_PKS3_PKT2_SC_S9_PKT4_PKT5_S7_PT6_21rocsparse_index_base_b
    .private_segment_fixed_size: 0
    .sgpr_count:     18
    .sgpr_spill_count: 0
    .symbol:         _ZN9rocsparseL18bsrxmvn_4x4_kernelILj128ELj64E21rocsparse_complex_numIdEllS2_S2_S2_EEvT3_20rocsparse_direction_NS_24const_host_device_scalarIT1_EES3_PKS3_PKT2_SC_S9_PKT4_PKT5_S7_PT6_21rocsparse_index_base_b.kd
    .uniform_work_group_size: 1
    .uses_dynamic_stack: false
    .vgpr_count:     179
    .vgpr_spill_count: 0
    .wavefront_size: 32
    .workgroup_processor_mode: 1
  - .args:
      - .offset:         0
        .size:           4
        .value_kind:     by_value
      - .offset:         4
        .size:           4
        .value_kind:     by_value
      - .offset:         8
        .size:           8
        .value_kind:     by_value
      - .offset:         16
        .size:           4
        .value_kind:     by_value
      - .actual_access:  read_only
        .address_space:  global
        .offset:         24
        .size:           8
        .value_kind:     global_buffer
      - .actual_access:  read_only
        .address_space:  global
        .offset:         32
        .size:           8
        .value_kind:     global_buffer
      - .actual_access:  read_only
        .address_space:  global
        .offset:         40
        .size:           8
        .value_kind:     global_buffer
      - .actual_access:  read_only
        .address_space:  global
        .offset:         48
        .size:           8
        .value_kind:     global_buffer
      - .actual_access:  read_only
        .address_space:  global
        .offset:         56
        .size:           8
        .value_kind:     global_buffer
      - .actual_access:  read_only
        .address_space:  global
        .offset:         64
        .size:           8
        .value_kind:     global_buffer
      - .offset:         72
        .size:           8
        .value_kind:     by_value
      - .address_space:  global
        .offset:         80
        .size:           8
        .value_kind:     global_buffer
      - .offset:         88
        .size:           4
        .value_kind:     by_value
      - .offset:         92
        .size:           1
        .value_kind:     by_value
    .group_segment_fixed_size: 0
    .kernarg_segment_align: 8
    .kernarg_segment_size: 96
    .language:       OpenCL C
    .language_version:
      - 2
      - 0
    .max_flat_workgroup_size: 128
    .name:           _ZN9rocsparseL18bsrxmvn_4x4_kernelILj128ELj4EiiiaaiEEvT3_20rocsparse_direction_NS_24const_host_device_scalarIT1_EES1_PKS1_PKT2_SA_S7_PKT4_PKT5_S5_PT6_21rocsparse_index_base_b
    .private_segment_fixed_size: 0
    .sgpr_count:     21
    .sgpr_spill_count: 0
    .symbol:         _ZN9rocsparseL18bsrxmvn_4x4_kernelILj128ELj4EiiiaaiEEvT3_20rocsparse_direction_NS_24const_host_device_scalarIT1_EES1_PKS1_PKT2_SA_S7_PKT4_PKT5_S5_PT6_21rocsparse_index_base_b.kd
    .uniform_work_group_size: 1
    .uses_dynamic_stack: false
    .vgpr_count:     48
    .vgpr_spill_count: 0
    .wavefront_size: 32
    .workgroup_processor_mode: 1
  - .args:
      - .offset:         0
        .size:           4
        .value_kind:     by_value
      - .offset:         4
        .size:           4
        .value_kind:     by_value
      - .offset:         8
        .size:           8
        .value_kind:     by_value
      - .offset:         16
        .size:           4
        .value_kind:     by_value
      - .actual_access:  read_only
        .address_space:  global
        .offset:         24
        .size:           8
        .value_kind:     global_buffer
      - .actual_access:  read_only
        .address_space:  global
        .offset:         32
        .size:           8
        .value_kind:     global_buffer
      - .actual_access:  read_only
        .address_space:  global
        .offset:         40
        .size:           8
        .value_kind:     global_buffer
      - .actual_access:  read_only
        .address_space:  global
        .offset:         48
        .size:           8
        .value_kind:     global_buffer
      - .actual_access:  read_only
        .address_space:  global
        .offset:         56
        .size:           8
        .value_kind:     global_buffer
      - .actual_access:  read_only
        .address_space:  global
        .offset:         64
        .size:           8
        .value_kind:     global_buffer
      - .offset:         72
        .size:           8
        .value_kind:     by_value
      - .address_space:  global
        .offset:         80
        .size:           8
        .value_kind:     global_buffer
      - .offset:         88
        .size:           4
        .value_kind:     by_value
      - .offset:         92
        .size:           1
        .value_kind:     by_value
    .group_segment_fixed_size: 0
    .kernarg_segment_align: 8
    .kernarg_segment_size: 96
    .language:       OpenCL C
    .language_version:
      - 2
      - 0
    .max_flat_workgroup_size: 128
    .name:           _ZN9rocsparseL18bsrxmvn_4x4_kernelILj128ELj8EiiiaaiEEvT3_20rocsparse_direction_NS_24const_host_device_scalarIT1_EES1_PKS1_PKT2_SA_S7_PKT4_PKT5_S5_PT6_21rocsparse_index_base_b
    .private_segment_fixed_size: 0
    .sgpr_count:     21
    .sgpr_spill_count: 0
    .symbol:         _ZN9rocsparseL18bsrxmvn_4x4_kernelILj128ELj8EiiiaaiEEvT3_20rocsparse_direction_NS_24const_host_device_scalarIT1_EES1_PKS1_PKT2_SA_S7_PKT4_PKT5_S5_PT6_21rocsparse_index_base_b.kd
    .uniform_work_group_size: 1
    .uses_dynamic_stack: false
    .vgpr_count:     48
    .vgpr_spill_count: 0
    .wavefront_size: 32
    .workgroup_processor_mode: 1
  - .args:
      - .offset:         0
        .size:           4
        .value_kind:     by_value
      - .offset:         4
        .size:           4
        .value_kind:     by_value
      - .offset:         8
        .size:           8
        .value_kind:     by_value
      - .offset:         16
        .size:           4
        .value_kind:     by_value
      - .actual_access:  read_only
        .address_space:  global
        .offset:         24
        .size:           8
        .value_kind:     global_buffer
      - .actual_access:  read_only
        .address_space:  global
        .offset:         32
        .size:           8
        .value_kind:     global_buffer
      - .actual_access:  read_only
        .address_space:  global
        .offset:         40
        .size:           8
        .value_kind:     global_buffer
      - .actual_access:  read_only
        .address_space:  global
        .offset:         48
        .size:           8
        .value_kind:     global_buffer
      - .actual_access:  read_only
        .address_space:  global
        .offset:         56
        .size:           8
        .value_kind:     global_buffer
      - .actual_access:  read_only
        .address_space:  global
        .offset:         64
        .size:           8
        .value_kind:     global_buffer
      - .offset:         72
        .size:           8
        .value_kind:     by_value
      - .address_space:  global
        .offset:         80
        .size:           8
        .value_kind:     global_buffer
      - .offset:         88
        .size:           4
        .value_kind:     by_value
      - .offset:         92
        .size:           1
        .value_kind:     by_value
    .group_segment_fixed_size: 0
    .kernarg_segment_align: 8
    .kernarg_segment_size: 96
    .language:       OpenCL C
    .language_version:
      - 2
      - 0
    .max_flat_workgroup_size: 128
    .name:           _ZN9rocsparseL18bsrxmvn_4x4_kernelILj128ELj16EiiiaaiEEvT3_20rocsparse_direction_NS_24const_host_device_scalarIT1_EES1_PKS1_PKT2_SA_S7_PKT4_PKT5_S5_PT6_21rocsparse_index_base_b
    .private_segment_fixed_size: 0
    .sgpr_count:     21
    .sgpr_spill_count: 0
    .symbol:         _ZN9rocsparseL18bsrxmvn_4x4_kernelILj128ELj16EiiiaaiEEvT3_20rocsparse_direction_NS_24const_host_device_scalarIT1_EES1_PKS1_PKT2_SA_S7_PKT4_PKT5_S5_PT6_21rocsparse_index_base_b.kd
    .uniform_work_group_size: 1
    .uses_dynamic_stack: false
    .vgpr_count:     48
    .vgpr_spill_count: 0
    .wavefront_size: 32
    .workgroup_processor_mode: 1
  - .args:
      - .offset:         0
        .size:           4
        .value_kind:     by_value
      - .offset:         4
        .size:           4
        .value_kind:     by_value
      - .offset:         8
        .size:           8
        .value_kind:     by_value
      - .offset:         16
        .size:           4
        .value_kind:     by_value
      - .actual_access:  read_only
        .address_space:  global
        .offset:         24
        .size:           8
        .value_kind:     global_buffer
      - .actual_access:  read_only
        .address_space:  global
        .offset:         32
        .size:           8
        .value_kind:     global_buffer
      - .actual_access:  read_only
        .address_space:  global
        .offset:         40
        .size:           8
        .value_kind:     global_buffer
      - .actual_access:  read_only
        .address_space:  global
        .offset:         48
        .size:           8
        .value_kind:     global_buffer
      - .actual_access:  read_only
        .address_space:  global
        .offset:         56
        .size:           8
        .value_kind:     global_buffer
      - .actual_access:  read_only
        .address_space:  global
        .offset:         64
        .size:           8
        .value_kind:     global_buffer
      - .offset:         72
        .size:           8
        .value_kind:     by_value
      - .address_space:  global
        .offset:         80
        .size:           8
        .value_kind:     global_buffer
      - .offset:         88
        .size:           4
        .value_kind:     by_value
      - .offset:         92
        .size:           1
        .value_kind:     by_value
    .group_segment_fixed_size: 0
    .kernarg_segment_align: 8
    .kernarg_segment_size: 96
    .language:       OpenCL C
    .language_version:
      - 2
      - 0
    .max_flat_workgroup_size: 128
    .name:           _ZN9rocsparseL18bsrxmvn_4x4_kernelILj128ELj32EiiiaaiEEvT3_20rocsparse_direction_NS_24const_host_device_scalarIT1_EES1_PKS1_PKT2_SA_S7_PKT4_PKT5_S5_PT6_21rocsparse_index_base_b
    .private_segment_fixed_size: 0
    .sgpr_count:     21
    .sgpr_spill_count: 0
    .symbol:         _ZN9rocsparseL18bsrxmvn_4x4_kernelILj128ELj32EiiiaaiEEvT3_20rocsparse_direction_NS_24const_host_device_scalarIT1_EES1_PKS1_PKT2_SA_S7_PKT4_PKT5_S5_PT6_21rocsparse_index_base_b.kd
    .uniform_work_group_size: 1
    .uses_dynamic_stack: false
    .vgpr_count:     48
    .vgpr_spill_count: 0
    .wavefront_size: 32
    .workgroup_processor_mode: 1
  - .args:
      - .offset:         0
        .size:           4
        .value_kind:     by_value
      - .offset:         4
        .size:           4
        .value_kind:     by_value
      - .offset:         8
        .size:           8
        .value_kind:     by_value
      - .offset:         16
        .size:           4
        .value_kind:     by_value
      - .actual_access:  read_only
        .address_space:  global
        .offset:         24
        .size:           8
        .value_kind:     global_buffer
      - .actual_access:  read_only
        .address_space:  global
        .offset:         32
        .size:           8
        .value_kind:     global_buffer
      - .actual_access:  read_only
        .address_space:  global
        .offset:         40
        .size:           8
        .value_kind:     global_buffer
      - .actual_access:  read_only
        .address_space:  global
        .offset:         48
        .size:           8
        .value_kind:     global_buffer
      - .actual_access:  read_only
        .address_space:  global
        .offset:         56
        .size:           8
        .value_kind:     global_buffer
      - .actual_access:  read_only
        .address_space:  global
        .offset:         64
        .size:           8
        .value_kind:     global_buffer
      - .offset:         72
        .size:           8
        .value_kind:     by_value
      - .address_space:  global
        .offset:         80
        .size:           8
        .value_kind:     global_buffer
      - .offset:         88
        .size:           4
        .value_kind:     by_value
      - .offset:         92
        .size:           1
        .value_kind:     by_value
    .group_segment_fixed_size: 0
    .kernarg_segment_align: 8
    .kernarg_segment_size: 96
    .language:       OpenCL C
    .language_version:
      - 2
      - 0
    .max_flat_workgroup_size: 128
    .name:           _ZN9rocsparseL18bsrxmvn_4x4_kernelILj128ELj64EiiiaaiEEvT3_20rocsparse_direction_NS_24const_host_device_scalarIT1_EES1_PKS1_PKT2_SA_S7_PKT4_PKT5_S5_PT6_21rocsparse_index_base_b
    .private_segment_fixed_size: 0
    .sgpr_count:     21
    .sgpr_spill_count: 0
    .symbol:         _ZN9rocsparseL18bsrxmvn_4x4_kernelILj128ELj64EiiiaaiEEvT3_20rocsparse_direction_NS_24const_host_device_scalarIT1_EES1_PKS1_PKT2_SA_S7_PKT4_PKT5_S5_PT6_21rocsparse_index_base_b.kd
    .uniform_work_group_size: 1
    .uses_dynamic_stack: false
    .vgpr_count:     40
    .vgpr_spill_count: 0
    .wavefront_size: 32
    .workgroup_processor_mode: 1
  - .args:
      - .offset:         0
        .size:           4
        .value_kind:     by_value
      - .offset:         4
        .size:           4
        .value_kind:     by_value
      - .offset:         8
        .size:           8
        .value_kind:     by_value
      - .offset:         16
        .size:           4
        .value_kind:     by_value
      - .actual_access:  read_only
        .address_space:  global
        .offset:         24
        .size:           8
        .value_kind:     global_buffer
      - .actual_access:  read_only
        .address_space:  global
        .offset:         32
        .size:           8
        .value_kind:     global_buffer
      - .actual_access:  read_only
        .address_space:  global
        .offset:         40
        .size:           8
        .value_kind:     global_buffer
      - .actual_access:  read_only
        .address_space:  global
        .offset:         48
        .size:           8
        .value_kind:     global_buffer
      - .actual_access:  read_only
        .address_space:  global
        .offset:         56
        .size:           8
        .value_kind:     global_buffer
      - .actual_access:  read_only
        .address_space:  global
        .offset:         64
        .size:           8
        .value_kind:     global_buffer
      - .offset:         72
        .size:           8
        .value_kind:     by_value
      - .address_space:  global
        .offset:         80
        .size:           8
        .value_kind:     global_buffer
      - .offset:         88
        .size:           4
        .value_kind:     by_value
      - .offset:         92
        .size:           1
        .value_kind:     by_value
    .group_segment_fixed_size: 0
    .kernarg_segment_align: 8
    .kernarg_segment_size: 96
    .language:       OpenCL C
    .language_version:
      - 2
      - 0
    .max_flat_workgroup_size: 128
    .name:           _ZN9rocsparseL18bsrxmvn_4x4_kernelILj128ELj4EiliaaiEEvT3_20rocsparse_direction_NS_24const_host_device_scalarIT1_EES1_PKS1_PKT2_SA_S7_PKT4_PKT5_S5_PT6_21rocsparse_index_base_b
    .private_segment_fixed_size: 0
    .sgpr_count:     21
    .sgpr_spill_count: 0
    .symbol:         _ZN9rocsparseL18bsrxmvn_4x4_kernelILj128ELj4EiliaaiEEvT3_20rocsparse_direction_NS_24const_host_device_scalarIT1_EES1_PKS1_PKT2_SA_S7_PKT4_PKT5_S5_PT6_21rocsparse_index_base_b.kd
    .uniform_work_group_size: 1
    .uses_dynamic_stack: false
    .vgpr_count:     56
    .vgpr_spill_count: 0
    .wavefront_size: 32
    .workgroup_processor_mode: 1
  - .args:
      - .offset:         0
        .size:           4
        .value_kind:     by_value
      - .offset:         4
        .size:           4
        .value_kind:     by_value
      - .offset:         8
        .size:           8
        .value_kind:     by_value
      - .offset:         16
        .size:           4
        .value_kind:     by_value
      - .actual_access:  read_only
        .address_space:  global
        .offset:         24
        .size:           8
        .value_kind:     global_buffer
      - .actual_access:  read_only
        .address_space:  global
        .offset:         32
        .size:           8
        .value_kind:     global_buffer
      - .actual_access:  read_only
        .address_space:  global
        .offset:         40
        .size:           8
        .value_kind:     global_buffer
      - .actual_access:  read_only
        .address_space:  global
        .offset:         48
        .size:           8
        .value_kind:     global_buffer
      - .actual_access:  read_only
        .address_space:  global
        .offset:         56
        .size:           8
        .value_kind:     global_buffer
      - .actual_access:  read_only
        .address_space:  global
        .offset:         64
        .size:           8
        .value_kind:     global_buffer
      - .offset:         72
        .size:           8
        .value_kind:     by_value
      - .address_space:  global
        .offset:         80
        .size:           8
        .value_kind:     global_buffer
      - .offset:         88
        .size:           4
        .value_kind:     by_value
      - .offset:         92
        .size:           1
        .value_kind:     by_value
    .group_segment_fixed_size: 0
    .kernarg_segment_align: 8
    .kernarg_segment_size: 96
    .language:       OpenCL C
    .language_version:
      - 2
      - 0
    .max_flat_workgroup_size: 128
    .name:           _ZN9rocsparseL18bsrxmvn_4x4_kernelILj128ELj8EiliaaiEEvT3_20rocsparse_direction_NS_24const_host_device_scalarIT1_EES1_PKS1_PKT2_SA_S7_PKT4_PKT5_S5_PT6_21rocsparse_index_base_b
    .private_segment_fixed_size: 0
    .sgpr_count:     21
    .sgpr_spill_count: 0
    .symbol:         _ZN9rocsparseL18bsrxmvn_4x4_kernelILj128ELj8EiliaaiEEvT3_20rocsparse_direction_NS_24const_host_device_scalarIT1_EES1_PKS1_PKT2_SA_S7_PKT4_PKT5_S5_PT6_21rocsparse_index_base_b.kd
    .uniform_work_group_size: 1
    .uses_dynamic_stack: false
    .vgpr_count:     56
    .vgpr_spill_count: 0
    .wavefront_size: 32
    .workgroup_processor_mode: 1
  - .args:
      - .offset:         0
        .size:           4
        .value_kind:     by_value
      - .offset:         4
        .size:           4
        .value_kind:     by_value
      - .offset:         8
        .size:           8
        .value_kind:     by_value
      - .offset:         16
        .size:           4
        .value_kind:     by_value
      - .actual_access:  read_only
        .address_space:  global
        .offset:         24
        .size:           8
        .value_kind:     global_buffer
      - .actual_access:  read_only
        .address_space:  global
        .offset:         32
        .size:           8
        .value_kind:     global_buffer
      - .actual_access:  read_only
        .address_space:  global
        .offset:         40
        .size:           8
        .value_kind:     global_buffer
      - .actual_access:  read_only
        .address_space:  global
        .offset:         48
        .size:           8
        .value_kind:     global_buffer
      - .actual_access:  read_only
        .address_space:  global
        .offset:         56
        .size:           8
        .value_kind:     global_buffer
      - .actual_access:  read_only
        .address_space:  global
        .offset:         64
        .size:           8
        .value_kind:     global_buffer
      - .offset:         72
        .size:           8
        .value_kind:     by_value
      - .address_space:  global
        .offset:         80
        .size:           8
        .value_kind:     global_buffer
      - .offset:         88
        .size:           4
        .value_kind:     by_value
      - .offset:         92
        .size:           1
        .value_kind:     by_value
    .group_segment_fixed_size: 0
    .kernarg_segment_align: 8
    .kernarg_segment_size: 96
    .language:       OpenCL C
    .language_version:
      - 2
      - 0
    .max_flat_workgroup_size: 128
    .name:           _ZN9rocsparseL18bsrxmvn_4x4_kernelILj128ELj16EiliaaiEEvT3_20rocsparse_direction_NS_24const_host_device_scalarIT1_EES1_PKS1_PKT2_SA_S7_PKT4_PKT5_S5_PT6_21rocsparse_index_base_b
    .private_segment_fixed_size: 0
    .sgpr_count:     21
    .sgpr_spill_count: 0
    .symbol:         _ZN9rocsparseL18bsrxmvn_4x4_kernelILj128ELj16EiliaaiEEvT3_20rocsparse_direction_NS_24const_host_device_scalarIT1_EES1_PKS1_PKT2_SA_S7_PKT4_PKT5_S5_PT6_21rocsparse_index_base_b.kd
    .uniform_work_group_size: 1
    .uses_dynamic_stack: false
    .vgpr_count:     56
    .vgpr_spill_count: 0
    .wavefront_size: 32
    .workgroup_processor_mode: 1
  - .args:
      - .offset:         0
        .size:           4
        .value_kind:     by_value
      - .offset:         4
        .size:           4
        .value_kind:     by_value
      - .offset:         8
        .size:           8
        .value_kind:     by_value
      - .offset:         16
        .size:           4
        .value_kind:     by_value
      - .actual_access:  read_only
        .address_space:  global
        .offset:         24
        .size:           8
        .value_kind:     global_buffer
      - .actual_access:  read_only
        .address_space:  global
        .offset:         32
        .size:           8
        .value_kind:     global_buffer
      - .actual_access:  read_only
        .address_space:  global
        .offset:         40
        .size:           8
        .value_kind:     global_buffer
      - .actual_access:  read_only
        .address_space:  global
        .offset:         48
        .size:           8
        .value_kind:     global_buffer
      - .actual_access:  read_only
        .address_space:  global
        .offset:         56
        .size:           8
        .value_kind:     global_buffer
      - .actual_access:  read_only
        .address_space:  global
        .offset:         64
        .size:           8
        .value_kind:     global_buffer
      - .offset:         72
        .size:           8
        .value_kind:     by_value
      - .address_space:  global
        .offset:         80
        .size:           8
        .value_kind:     global_buffer
      - .offset:         88
        .size:           4
        .value_kind:     by_value
      - .offset:         92
        .size:           1
        .value_kind:     by_value
    .group_segment_fixed_size: 0
    .kernarg_segment_align: 8
    .kernarg_segment_size: 96
    .language:       OpenCL C
    .language_version:
      - 2
      - 0
    .max_flat_workgroup_size: 128
    .name:           _ZN9rocsparseL18bsrxmvn_4x4_kernelILj128ELj32EiliaaiEEvT3_20rocsparse_direction_NS_24const_host_device_scalarIT1_EES1_PKS1_PKT2_SA_S7_PKT4_PKT5_S5_PT6_21rocsparse_index_base_b
    .private_segment_fixed_size: 0
    .sgpr_count:     21
    .sgpr_spill_count: 0
    .symbol:         _ZN9rocsparseL18bsrxmvn_4x4_kernelILj128ELj32EiliaaiEEvT3_20rocsparse_direction_NS_24const_host_device_scalarIT1_EES1_PKS1_PKT2_SA_S7_PKT4_PKT5_S5_PT6_21rocsparse_index_base_b.kd
    .uniform_work_group_size: 1
    .uses_dynamic_stack: false
    .vgpr_count:     56
    .vgpr_spill_count: 0
    .wavefront_size: 32
    .workgroup_processor_mode: 1
  - .args:
      - .offset:         0
        .size:           4
        .value_kind:     by_value
      - .offset:         4
        .size:           4
        .value_kind:     by_value
      - .offset:         8
        .size:           8
        .value_kind:     by_value
      - .offset:         16
        .size:           4
        .value_kind:     by_value
      - .actual_access:  read_only
        .address_space:  global
        .offset:         24
        .size:           8
        .value_kind:     global_buffer
      - .actual_access:  read_only
        .address_space:  global
        .offset:         32
        .size:           8
        .value_kind:     global_buffer
      - .actual_access:  read_only
        .address_space:  global
        .offset:         40
        .size:           8
        .value_kind:     global_buffer
      - .actual_access:  read_only
        .address_space:  global
        .offset:         48
        .size:           8
        .value_kind:     global_buffer
      - .actual_access:  read_only
        .address_space:  global
        .offset:         56
        .size:           8
        .value_kind:     global_buffer
      - .actual_access:  read_only
        .address_space:  global
        .offset:         64
        .size:           8
        .value_kind:     global_buffer
      - .offset:         72
        .size:           8
        .value_kind:     by_value
      - .address_space:  global
        .offset:         80
        .size:           8
        .value_kind:     global_buffer
      - .offset:         88
        .size:           4
        .value_kind:     by_value
      - .offset:         92
        .size:           1
        .value_kind:     by_value
    .group_segment_fixed_size: 0
    .kernarg_segment_align: 8
    .kernarg_segment_size: 96
    .language:       OpenCL C
    .language_version:
      - 2
      - 0
    .max_flat_workgroup_size: 128
    .name:           _ZN9rocsparseL18bsrxmvn_4x4_kernelILj128ELj64EiliaaiEEvT3_20rocsparse_direction_NS_24const_host_device_scalarIT1_EES1_PKS1_PKT2_SA_S7_PKT4_PKT5_S5_PT6_21rocsparse_index_base_b
    .private_segment_fixed_size: 0
    .sgpr_count:     21
    .sgpr_spill_count: 0
    .symbol:         _ZN9rocsparseL18bsrxmvn_4x4_kernelILj128ELj64EiliaaiEEvT3_20rocsparse_direction_NS_24const_host_device_scalarIT1_EES1_PKS1_PKT2_SA_S7_PKT4_PKT5_S5_PT6_21rocsparse_index_base_b.kd
    .uniform_work_group_size: 1
    .uses_dynamic_stack: false
    .vgpr_count:     52
    .vgpr_spill_count: 0
    .wavefront_size: 32
    .workgroup_processor_mode: 1
  - .args:
      - .offset:         0
        .size:           8
        .value_kind:     by_value
      - .offset:         8
        .size:           4
        .value_kind:     by_value
      - .offset:         16
        .size:           8
        .value_kind:     by_value
      - .offset:         24
        .size:           8
        .value_kind:     by_value
      - .actual_access:  read_only
        .address_space:  global
        .offset:         32
        .size:           8
        .value_kind:     global_buffer
      - .actual_access:  read_only
        .address_space:  global
        .offset:         40
        .size:           8
        .value_kind:     global_buffer
      - .actual_access:  read_only
        .address_space:  global
        .offset:         48
        .size:           8
        .value_kind:     global_buffer
      - .actual_access:  read_only
        .address_space:  global
        .offset:         56
        .size:           8
        .value_kind:     global_buffer
      - .actual_access:  read_only
        .address_space:  global
        .offset:         64
        .size:           8
        .value_kind:     global_buffer
      - .actual_access:  read_only
        .address_space:  global
        .offset:         72
        .size:           8
        .value_kind:     global_buffer
      - .offset:         80
        .size:           8
        .value_kind:     by_value
      - .address_space:  global
        .offset:         88
        .size:           8
        .value_kind:     global_buffer
      - .offset:         96
        .size:           4
        .value_kind:     by_value
      - .offset:         100
        .size:           1
        .value_kind:     by_value
    .group_segment_fixed_size: 0
    .kernarg_segment_align: 8
    .kernarg_segment_size: 104
    .language:       OpenCL C
    .language_version:
      - 2
      - 0
    .max_flat_workgroup_size: 128
    .name:           _ZN9rocsparseL18bsrxmvn_4x4_kernelILj128ELj4EillaaiEEvT3_20rocsparse_direction_NS_24const_host_device_scalarIT1_EES1_PKS1_PKT2_SA_S7_PKT4_PKT5_S5_PT6_21rocsparse_index_base_b
    .private_segment_fixed_size: 0
    .sgpr_count:     19
    .sgpr_spill_count: 0
    .symbol:         _ZN9rocsparseL18bsrxmvn_4x4_kernelILj128ELj4EillaaiEEvT3_20rocsparse_direction_NS_24const_host_device_scalarIT1_EES1_PKS1_PKT2_SA_S7_PKT4_PKT5_S5_PT6_21rocsparse_index_base_b.kd
    .uniform_work_group_size: 1
    .uses_dynamic_stack: false
    .vgpr_count:     59
    .vgpr_spill_count: 0
    .wavefront_size: 32
    .workgroup_processor_mode: 1
  - .args:
      - .offset:         0
        .size:           8
        .value_kind:     by_value
      - .offset:         8
        .size:           4
        .value_kind:     by_value
      - .offset:         16
        .size:           8
        .value_kind:     by_value
      - .offset:         24
        .size:           8
        .value_kind:     by_value
      - .actual_access:  read_only
        .address_space:  global
        .offset:         32
        .size:           8
        .value_kind:     global_buffer
      - .actual_access:  read_only
        .address_space:  global
        .offset:         40
        .size:           8
        .value_kind:     global_buffer
      - .actual_access:  read_only
        .address_space:  global
        .offset:         48
        .size:           8
        .value_kind:     global_buffer
      - .actual_access:  read_only
        .address_space:  global
        .offset:         56
        .size:           8
        .value_kind:     global_buffer
      - .actual_access:  read_only
        .address_space:  global
        .offset:         64
        .size:           8
        .value_kind:     global_buffer
      - .actual_access:  read_only
        .address_space:  global
        .offset:         72
        .size:           8
        .value_kind:     global_buffer
      - .offset:         80
        .size:           8
        .value_kind:     by_value
      - .address_space:  global
        .offset:         88
        .size:           8
        .value_kind:     global_buffer
      - .offset:         96
        .size:           4
        .value_kind:     by_value
      - .offset:         100
        .size:           1
        .value_kind:     by_value
    .group_segment_fixed_size: 0
    .kernarg_segment_align: 8
    .kernarg_segment_size: 104
    .language:       OpenCL C
    .language_version:
      - 2
      - 0
    .max_flat_workgroup_size: 128
    .name:           _ZN9rocsparseL18bsrxmvn_4x4_kernelILj128ELj8EillaaiEEvT3_20rocsparse_direction_NS_24const_host_device_scalarIT1_EES1_PKS1_PKT2_SA_S7_PKT4_PKT5_S5_PT6_21rocsparse_index_base_b
    .private_segment_fixed_size: 0
    .sgpr_count:     19
    .sgpr_spill_count: 0
    .symbol:         _ZN9rocsparseL18bsrxmvn_4x4_kernelILj128ELj8EillaaiEEvT3_20rocsparse_direction_NS_24const_host_device_scalarIT1_EES1_PKS1_PKT2_SA_S7_PKT4_PKT5_S5_PT6_21rocsparse_index_base_b.kd
    .uniform_work_group_size: 1
    .uses_dynamic_stack: false
    .vgpr_count:     59
    .vgpr_spill_count: 0
    .wavefront_size: 32
    .workgroup_processor_mode: 1
  - .args:
      - .offset:         0
        .size:           8
        .value_kind:     by_value
      - .offset:         8
        .size:           4
        .value_kind:     by_value
      - .offset:         16
        .size:           8
        .value_kind:     by_value
      - .offset:         24
        .size:           8
        .value_kind:     by_value
      - .actual_access:  read_only
        .address_space:  global
        .offset:         32
        .size:           8
        .value_kind:     global_buffer
      - .actual_access:  read_only
        .address_space:  global
        .offset:         40
        .size:           8
        .value_kind:     global_buffer
      - .actual_access:  read_only
        .address_space:  global
        .offset:         48
        .size:           8
        .value_kind:     global_buffer
      - .actual_access:  read_only
        .address_space:  global
        .offset:         56
        .size:           8
        .value_kind:     global_buffer
      - .actual_access:  read_only
        .address_space:  global
        .offset:         64
        .size:           8
        .value_kind:     global_buffer
      - .actual_access:  read_only
        .address_space:  global
        .offset:         72
        .size:           8
        .value_kind:     global_buffer
      - .offset:         80
        .size:           8
        .value_kind:     by_value
      - .address_space:  global
        .offset:         88
        .size:           8
        .value_kind:     global_buffer
      - .offset:         96
        .size:           4
        .value_kind:     by_value
      - .offset:         100
        .size:           1
        .value_kind:     by_value
    .group_segment_fixed_size: 0
    .kernarg_segment_align: 8
    .kernarg_segment_size: 104
    .language:       OpenCL C
    .language_version:
      - 2
      - 0
    .max_flat_workgroup_size: 128
    .name:           _ZN9rocsparseL18bsrxmvn_4x4_kernelILj128ELj16EillaaiEEvT3_20rocsparse_direction_NS_24const_host_device_scalarIT1_EES1_PKS1_PKT2_SA_S7_PKT4_PKT5_S5_PT6_21rocsparse_index_base_b
    .private_segment_fixed_size: 0
    .sgpr_count:     19
    .sgpr_spill_count: 0
    .symbol:         _ZN9rocsparseL18bsrxmvn_4x4_kernelILj128ELj16EillaaiEEvT3_20rocsparse_direction_NS_24const_host_device_scalarIT1_EES1_PKS1_PKT2_SA_S7_PKT4_PKT5_S5_PT6_21rocsparse_index_base_b.kd
    .uniform_work_group_size: 1
    .uses_dynamic_stack: false
    .vgpr_count:     59
    .vgpr_spill_count: 0
    .wavefront_size: 32
    .workgroup_processor_mode: 1
  - .args:
      - .offset:         0
        .size:           8
        .value_kind:     by_value
      - .offset:         8
        .size:           4
        .value_kind:     by_value
      - .offset:         16
        .size:           8
        .value_kind:     by_value
      - .offset:         24
        .size:           8
        .value_kind:     by_value
      - .actual_access:  read_only
        .address_space:  global
        .offset:         32
        .size:           8
        .value_kind:     global_buffer
      - .actual_access:  read_only
        .address_space:  global
        .offset:         40
        .size:           8
        .value_kind:     global_buffer
      - .actual_access:  read_only
        .address_space:  global
        .offset:         48
        .size:           8
        .value_kind:     global_buffer
      - .actual_access:  read_only
        .address_space:  global
        .offset:         56
        .size:           8
        .value_kind:     global_buffer
      - .actual_access:  read_only
        .address_space:  global
        .offset:         64
        .size:           8
        .value_kind:     global_buffer
      - .actual_access:  read_only
        .address_space:  global
        .offset:         72
        .size:           8
        .value_kind:     global_buffer
      - .offset:         80
        .size:           8
        .value_kind:     by_value
      - .address_space:  global
        .offset:         88
        .size:           8
        .value_kind:     global_buffer
      - .offset:         96
        .size:           4
        .value_kind:     by_value
      - .offset:         100
        .size:           1
        .value_kind:     by_value
    .group_segment_fixed_size: 0
    .kernarg_segment_align: 8
    .kernarg_segment_size: 104
    .language:       OpenCL C
    .language_version:
      - 2
      - 0
    .max_flat_workgroup_size: 128
    .name:           _ZN9rocsparseL18bsrxmvn_4x4_kernelILj128ELj32EillaaiEEvT3_20rocsparse_direction_NS_24const_host_device_scalarIT1_EES1_PKS1_PKT2_SA_S7_PKT4_PKT5_S5_PT6_21rocsparse_index_base_b
    .private_segment_fixed_size: 0
    .sgpr_count:     19
    .sgpr_spill_count: 0
    .symbol:         _ZN9rocsparseL18bsrxmvn_4x4_kernelILj128ELj32EillaaiEEvT3_20rocsparse_direction_NS_24const_host_device_scalarIT1_EES1_PKS1_PKT2_SA_S7_PKT4_PKT5_S5_PT6_21rocsparse_index_base_b.kd
    .uniform_work_group_size: 1
    .uses_dynamic_stack: false
    .vgpr_count:     59
    .vgpr_spill_count: 0
    .wavefront_size: 32
    .workgroup_processor_mode: 1
  - .args:
      - .offset:         0
        .size:           8
        .value_kind:     by_value
      - .offset:         8
        .size:           4
        .value_kind:     by_value
      - .offset:         16
        .size:           8
        .value_kind:     by_value
      - .offset:         24
        .size:           8
        .value_kind:     by_value
      - .actual_access:  read_only
        .address_space:  global
        .offset:         32
        .size:           8
        .value_kind:     global_buffer
      - .actual_access:  read_only
        .address_space:  global
        .offset:         40
        .size:           8
        .value_kind:     global_buffer
      - .actual_access:  read_only
        .address_space:  global
        .offset:         48
        .size:           8
        .value_kind:     global_buffer
      - .actual_access:  read_only
        .address_space:  global
        .offset:         56
        .size:           8
        .value_kind:     global_buffer
      - .actual_access:  read_only
        .address_space:  global
        .offset:         64
        .size:           8
        .value_kind:     global_buffer
      - .actual_access:  read_only
        .address_space:  global
        .offset:         72
        .size:           8
        .value_kind:     global_buffer
      - .offset:         80
        .size:           8
        .value_kind:     by_value
      - .address_space:  global
        .offset:         88
        .size:           8
        .value_kind:     global_buffer
      - .offset:         96
        .size:           4
        .value_kind:     by_value
      - .offset:         100
        .size:           1
        .value_kind:     by_value
    .group_segment_fixed_size: 0
    .kernarg_segment_align: 8
    .kernarg_segment_size: 104
    .language:       OpenCL C
    .language_version:
      - 2
      - 0
    .max_flat_workgroup_size: 128
    .name:           _ZN9rocsparseL18bsrxmvn_4x4_kernelILj128ELj64EillaaiEEvT3_20rocsparse_direction_NS_24const_host_device_scalarIT1_EES1_PKS1_PKT2_SA_S7_PKT4_PKT5_S5_PT6_21rocsparse_index_base_b
    .private_segment_fixed_size: 0
    .sgpr_count:     19
    .sgpr_spill_count: 0
    .symbol:         _ZN9rocsparseL18bsrxmvn_4x4_kernelILj128ELj64EillaaiEEvT3_20rocsparse_direction_NS_24const_host_device_scalarIT1_EES1_PKS1_PKT2_SA_S7_PKT4_PKT5_S5_PT6_21rocsparse_index_base_b.kd
    .uniform_work_group_size: 1
    .uses_dynamic_stack: false
    .vgpr_count:     55
    .vgpr_spill_count: 0
    .wavefront_size: 32
    .workgroup_processor_mode: 1
  - .args:
      - .offset:         0
        .size:           4
        .value_kind:     by_value
      - .offset:         4
        .size:           4
        .value_kind:     by_value
      - .offset:         8
        .size:           8
        .value_kind:     by_value
      - .offset:         16
        .size:           4
        .value_kind:     by_value
      - .actual_access:  read_only
        .address_space:  global
        .offset:         24
        .size:           8
        .value_kind:     global_buffer
      - .actual_access:  read_only
        .address_space:  global
        .offset:         32
        .size:           8
        .value_kind:     global_buffer
      - .actual_access:  read_only
        .address_space:  global
        .offset:         40
        .size:           8
        .value_kind:     global_buffer
      - .actual_access:  read_only
        .address_space:  global
        .offset:         48
        .size:           8
        .value_kind:     global_buffer
      - .actual_access:  read_only
        .address_space:  global
        .offset:         56
        .size:           8
        .value_kind:     global_buffer
      - .actual_access:  read_only
        .address_space:  global
        .offset:         64
        .size:           8
        .value_kind:     global_buffer
      - .offset:         72
        .size:           8
        .value_kind:     by_value
      - .address_space:  global
        .offset:         80
        .size:           8
        .value_kind:     global_buffer
      - .offset:         88
        .size:           4
        .value_kind:     by_value
      - .offset:         92
        .size:           1
        .value_kind:     by_value
    .group_segment_fixed_size: 0
    .kernarg_segment_align: 8
    .kernarg_segment_size: 96
    .language:       OpenCL C
    .language_version:
      - 2
      - 0
    .max_flat_workgroup_size: 128
    .name:           _ZN9rocsparseL18bsrxmvn_4x4_kernelILj128ELj4EfiiaafEEvT3_20rocsparse_direction_NS_24const_host_device_scalarIT1_EES1_PKS1_PKT2_SA_S7_PKT4_PKT5_S5_PT6_21rocsparse_index_base_b
    .private_segment_fixed_size: 0
    .sgpr_count:     22
    .sgpr_spill_count: 0
    .symbol:         _ZN9rocsparseL18bsrxmvn_4x4_kernelILj128ELj4EfiiaafEEvT3_20rocsparse_direction_NS_24const_host_device_scalarIT1_EES1_PKS1_PKT2_SA_S7_PKT4_PKT5_S5_PT6_21rocsparse_index_base_b.kd
    .uniform_work_group_size: 1
    .uses_dynamic_stack: false
    .vgpr_count:     84
    .vgpr_spill_count: 0
    .wavefront_size: 32
    .workgroup_processor_mode: 1
  - .args:
      - .offset:         0
        .size:           4
        .value_kind:     by_value
      - .offset:         4
        .size:           4
        .value_kind:     by_value
      - .offset:         8
        .size:           8
        .value_kind:     by_value
      - .offset:         16
        .size:           4
        .value_kind:     by_value
      - .actual_access:  read_only
        .address_space:  global
        .offset:         24
        .size:           8
        .value_kind:     global_buffer
      - .actual_access:  read_only
        .address_space:  global
        .offset:         32
        .size:           8
        .value_kind:     global_buffer
      - .actual_access:  read_only
        .address_space:  global
        .offset:         40
        .size:           8
        .value_kind:     global_buffer
      - .actual_access:  read_only
        .address_space:  global
        .offset:         48
        .size:           8
        .value_kind:     global_buffer
      - .actual_access:  read_only
        .address_space:  global
        .offset:         56
        .size:           8
        .value_kind:     global_buffer
      - .actual_access:  read_only
        .address_space:  global
        .offset:         64
        .size:           8
        .value_kind:     global_buffer
      - .offset:         72
        .size:           8
        .value_kind:     by_value
      - .address_space:  global
        .offset:         80
        .size:           8
        .value_kind:     global_buffer
      - .offset:         88
        .size:           4
        .value_kind:     by_value
      - .offset:         92
        .size:           1
        .value_kind:     by_value
    .group_segment_fixed_size: 0
    .kernarg_segment_align: 8
    .kernarg_segment_size: 96
    .language:       OpenCL C
    .language_version:
      - 2
      - 0
    .max_flat_workgroup_size: 128
    .name:           _ZN9rocsparseL18bsrxmvn_4x4_kernelILj128ELj8EfiiaafEEvT3_20rocsparse_direction_NS_24const_host_device_scalarIT1_EES1_PKS1_PKT2_SA_S7_PKT4_PKT5_S5_PT6_21rocsparse_index_base_b
    .private_segment_fixed_size: 0
    .sgpr_count:     22
    .sgpr_spill_count: 0
    .symbol:         _ZN9rocsparseL18bsrxmvn_4x4_kernelILj128ELj8EfiiaafEEvT3_20rocsparse_direction_NS_24const_host_device_scalarIT1_EES1_PKS1_PKT2_SA_S7_PKT4_PKT5_S5_PT6_21rocsparse_index_base_b.kd
    .uniform_work_group_size: 1
    .uses_dynamic_stack: false
    .vgpr_count:     84
    .vgpr_spill_count: 0
    .wavefront_size: 32
    .workgroup_processor_mode: 1
  - .args:
      - .offset:         0
        .size:           4
        .value_kind:     by_value
      - .offset:         4
        .size:           4
        .value_kind:     by_value
      - .offset:         8
        .size:           8
        .value_kind:     by_value
      - .offset:         16
        .size:           4
        .value_kind:     by_value
      - .actual_access:  read_only
        .address_space:  global
        .offset:         24
        .size:           8
        .value_kind:     global_buffer
      - .actual_access:  read_only
        .address_space:  global
        .offset:         32
        .size:           8
        .value_kind:     global_buffer
      - .actual_access:  read_only
        .address_space:  global
        .offset:         40
        .size:           8
        .value_kind:     global_buffer
      - .actual_access:  read_only
        .address_space:  global
        .offset:         48
        .size:           8
        .value_kind:     global_buffer
      - .actual_access:  read_only
        .address_space:  global
        .offset:         56
        .size:           8
        .value_kind:     global_buffer
      - .actual_access:  read_only
        .address_space:  global
        .offset:         64
        .size:           8
        .value_kind:     global_buffer
      - .offset:         72
        .size:           8
        .value_kind:     by_value
      - .address_space:  global
        .offset:         80
        .size:           8
        .value_kind:     global_buffer
      - .offset:         88
        .size:           4
        .value_kind:     by_value
      - .offset:         92
        .size:           1
        .value_kind:     by_value
    .group_segment_fixed_size: 0
    .kernarg_segment_align: 8
    .kernarg_segment_size: 96
    .language:       OpenCL C
    .language_version:
      - 2
      - 0
    .max_flat_workgroup_size: 128
    .name:           _ZN9rocsparseL18bsrxmvn_4x4_kernelILj128ELj16EfiiaafEEvT3_20rocsparse_direction_NS_24const_host_device_scalarIT1_EES1_PKS1_PKT2_SA_S7_PKT4_PKT5_S5_PT6_21rocsparse_index_base_b
    .private_segment_fixed_size: 0
    .sgpr_count:     22
    .sgpr_spill_count: 0
    .symbol:         _ZN9rocsparseL18bsrxmvn_4x4_kernelILj128ELj16EfiiaafEEvT3_20rocsparse_direction_NS_24const_host_device_scalarIT1_EES1_PKS1_PKT2_SA_S7_PKT4_PKT5_S5_PT6_21rocsparse_index_base_b.kd
    .uniform_work_group_size: 1
    .uses_dynamic_stack: false
    .vgpr_count:     84
    .vgpr_spill_count: 0
    .wavefront_size: 32
    .workgroup_processor_mode: 1
  - .args:
      - .offset:         0
        .size:           4
        .value_kind:     by_value
      - .offset:         4
        .size:           4
        .value_kind:     by_value
      - .offset:         8
        .size:           8
        .value_kind:     by_value
      - .offset:         16
        .size:           4
        .value_kind:     by_value
      - .actual_access:  read_only
        .address_space:  global
        .offset:         24
        .size:           8
        .value_kind:     global_buffer
      - .actual_access:  read_only
        .address_space:  global
        .offset:         32
        .size:           8
        .value_kind:     global_buffer
      - .actual_access:  read_only
        .address_space:  global
        .offset:         40
        .size:           8
        .value_kind:     global_buffer
      - .actual_access:  read_only
        .address_space:  global
        .offset:         48
        .size:           8
        .value_kind:     global_buffer
      - .actual_access:  read_only
        .address_space:  global
        .offset:         56
        .size:           8
        .value_kind:     global_buffer
      - .actual_access:  read_only
        .address_space:  global
        .offset:         64
        .size:           8
        .value_kind:     global_buffer
      - .offset:         72
        .size:           8
        .value_kind:     by_value
      - .address_space:  global
        .offset:         80
        .size:           8
        .value_kind:     global_buffer
      - .offset:         88
        .size:           4
        .value_kind:     by_value
      - .offset:         92
        .size:           1
        .value_kind:     by_value
    .group_segment_fixed_size: 0
    .kernarg_segment_align: 8
    .kernarg_segment_size: 96
    .language:       OpenCL C
    .language_version:
      - 2
      - 0
    .max_flat_workgroup_size: 128
    .name:           _ZN9rocsparseL18bsrxmvn_4x4_kernelILj128ELj32EfiiaafEEvT3_20rocsparse_direction_NS_24const_host_device_scalarIT1_EES1_PKS1_PKT2_SA_S7_PKT4_PKT5_S5_PT6_21rocsparse_index_base_b
    .private_segment_fixed_size: 0
    .sgpr_count:     22
    .sgpr_spill_count: 0
    .symbol:         _ZN9rocsparseL18bsrxmvn_4x4_kernelILj128ELj32EfiiaafEEvT3_20rocsparse_direction_NS_24const_host_device_scalarIT1_EES1_PKS1_PKT2_SA_S7_PKT4_PKT5_S5_PT6_21rocsparse_index_base_b.kd
    .uniform_work_group_size: 1
    .uses_dynamic_stack: false
    .vgpr_count:     84
    .vgpr_spill_count: 0
    .wavefront_size: 32
    .workgroup_processor_mode: 1
  - .args:
      - .offset:         0
        .size:           4
        .value_kind:     by_value
      - .offset:         4
        .size:           4
        .value_kind:     by_value
      - .offset:         8
        .size:           8
        .value_kind:     by_value
      - .offset:         16
        .size:           4
        .value_kind:     by_value
      - .actual_access:  read_only
        .address_space:  global
        .offset:         24
        .size:           8
        .value_kind:     global_buffer
      - .actual_access:  read_only
        .address_space:  global
        .offset:         32
        .size:           8
        .value_kind:     global_buffer
      - .actual_access:  read_only
        .address_space:  global
        .offset:         40
        .size:           8
        .value_kind:     global_buffer
      - .actual_access:  read_only
        .address_space:  global
        .offset:         48
        .size:           8
        .value_kind:     global_buffer
      - .actual_access:  read_only
        .address_space:  global
        .offset:         56
        .size:           8
        .value_kind:     global_buffer
      - .actual_access:  read_only
        .address_space:  global
        .offset:         64
        .size:           8
        .value_kind:     global_buffer
      - .offset:         72
        .size:           8
        .value_kind:     by_value
      - .address_space:  global
        .offset:         80
        .size:           8
        .value_kind:     global_buffer
      - .offset:         88
        .size:           4
        .value_kind:     by_value
      - .offset:         92
        .size:           1
        .value_kind:     by_value
    .group_segment_fixed_size: 0
    .kernarg_segment_align: 8
    .kernarg_segment_size: 96
    .language:       OpenCL C
    .language_version:
      - 2
      - 0
    .max_flat_workgroup_size: 128
    .name:           _ZN9rocsparseL18bsrxmvn_4x4_kernelILj128ELj64EfiiaafEEvT3_20rocsparse_direction_NS_24const_host_device_scalarIT1_EES1_PKS1_PKT2_SA_S7_PKT4_PKT5_S5_PT6_21rocsparse_index_base_b
    .private_segment_fixed_size: 0
    .sgpr_count:     22
    .sgpr_spill_count: 0
    .symbol:         _ZN9rocsparseL18bsrxmvn_4x4_kernelILj128ELj64EfiiaafEEvT3_20rocsparse_direction_NS_24const_host_device_scalarIT1_EES1_PKS1_PKT2_SA_S7_PKT4_PKT5_S5_PT6_21rocsparse_index_base_b.kd
    .uniform_work_group_size: 1
    .uses_dynamic_stack: false
    .vgpr_count:     84
    .vgpr_spill_count: 0
    .wavefront_size: 32
    .workgroup_processor_mode: 1
  - .args:
      - .offset:         0
        .size:           4
        .value_kind:     by_value
      - .offset:         4
        .size:           4
        .value_kind:     by_value
      - .offset:         8
        .size:           8
        .value_kind:     by_value
      - .offset:         16
        .size:           4
        .value_kind:     by_value
      - .actual_access:  read_only
        .address_space:  global
        .offset:         24
        .size:           8
        .value_kind:     global_buffer
      - .actual_access:  read_only
        .address_space:  global
        .offset:         32
        .size:           8
        .value_kind:     global_buffer
      - .actual_access:  read_only
        .address_space:  global
        .offset:         40
        .size:           8
        .value_kind:     global_buffer
      - .actual_access:  read_only
        .address_space:  global
        .offset:         48
        .size:           8
        .value_kind:     global_buffer
      - .actual_access:  read_only
        .address_space:  global
        .offset:         56
        .size:           8
        .value_kind:     global_buffer
      - .actual_access:  read_only
        .address_space:  global
        .offset:         64
        .size:           8
        .value_kind:     global_buffer
      - .offset:         72
        .size:           8
        .value_kind:     by_value
      - .address_space:  global
        .offset:         80
        .size:           8
        .value_kind:     global_buffer
      - .offset:         88
        .size:           4
        .value_kind:     by_value
      - .offset:         92
        .size:           1
        .value_kind:     by_value
    .group_segment_fixed_size: 0
    .kernarg_segment_align: 8
    .kernarg_segment_size: 96
    .language:       OpenCL C
    .language_version:
      - 2
      - 0
    .max_flat_workgroup_size: 128
    .name:           _ZN9rocsparseL18bsrxmvn_4x4_kernelILj128ELj4EfliaafEEvT3_20rocsparse_direction_NS_24const_host_device_scalarIT1_EES1_PKS1_PKT2_SA_S7_PKT4_PKT5_S5_PT6_21rocsparse_index_base_b
    .private_segment_fixed_size: 0
    .sgpr_count:     22
    .sgpr_spill_count: 0
    .symbol:         _ZN9rocsparseL18bsrxmvn_4x4_kernelILj128ELj4EfliaafEEvT3_20rocsparse_direction_NS_24const_host_device_scalarIT1_EES1_PKS1_PKT2_SA_S7_PKT4_PKT5_S5_PT6_21rocsparse_index_base_b.kd
    .uniform_work_group_size: 1
    .uses_dynamic_stack: false
    .vgpr_count:     90
    .vgpr_spill_count: 0
    .wavefront_size: 32
    .workgroup_processor_mode: 1
  - .args:
      - .offset:         0
        .size:           4
        .value_kind:     by_value
      - .offset:         4
        .size:           4
        .value_kind:     by_value
      - .offset:         8
        .size:           8
        .value_kind:     by_value
      - .offset:         16
        .size:           4
        .value_kind:     by_value
      - .actual_access:  read_only
        .address_space:  global
        .offset:         24
        .size:           8
        .value_kind:     global_buffer
      - .actual_access:  read_only
        .address_space:  global
        .offset:         32
        .size:           8
        .value_kind:     global_buffer
      - .actual_access:  read_only
        .address_space:  global
        .offset:         40
        .size:           8
        .value_kind:     global_buffer
      - .actual_access:  read_only
        .address_space:  global
        .offset:         48
        .size:           8
        .value_kind:     global_buffer
      - .actual_access:  read_only
        .address_space:  global
        .offset:         56
        .size:           8
        .value_kind:     global_buffer
      - .actual_access:  read_only
        .address_space:  global
        .offset:         64
        .size:           8
        .value_kind:     global_buffer
      - .offset:         72
        .size:           8
        .value_kind:     by_value
      - .address_space:  global
        .offset:         80
        .size:           8
        .value_kind:     global_buffer
      - .offset:         88
        .size:           4
        .value_kind:     by_value
      - .offset:         92
        .size:           1
        .value_kind:     by_value
    .group_segment_fixed_size: 0
    .kernarg_segment_align: 8
    .kernarg_segment_size: 96
    .language:       OpenCL C
    .language_version:
      - 2
      - 0
    .max_flat_workgroup_size: 128
    .name:           _ZN9rocsparseL18bsrxmvn_4x4_kernelILj128ELj8EfliaafEEvT3_20rocsparse_direction_NS_24const_host_device_scalarIT1_EES1_PKS1_PKT2_SA_S7_PKT4_PKT5_S5_PT6_21rocsparse_index_base_b
    .private_segment_fixed_size: 0
    .sgpr_count:     22
    .sgpr_spill_count: 0
    .symbol:         _ZN9rocsparseL18bsrxmvn_4x4_kernelILj128ELj8EfliaafEEvT3_20rocsparse_direction_NS_24const_host_device_scalarIT1_EES1_PKS1_PKT2_SA_S7_PKT4_PKT5_S5_PT6_21rocsparse_index_base_b.kd
    .uniform_work_group_size: 1
    .uses_dynamic_stack: false
    .vgpr_count:     90
    .vgpr_spill_count: 0
    .wavefront_size: 32
    .workgroup_processor_mode: 1
  - .args:
      - .offset:         0
        .size:           4
        .value_kind:     by_value
      - .offset:         4
        .size:           4
        .value_kind:     by_value
      - .offset:         8
        .size:           8
        .value_kind:     by_value
      - .offset:         16
        .size:           4
        .value_kind:     by_value
      - .actual_access:  read_only
        .address_space:  global
        .offset:         24
        .size:           8
        .value_kind:     global_buffer
      - .actual_access:  read_only
        .address_space:  global
        .offset:         32
        .size:           8
        .value_kind:     global_buffer
      - .actual_access:  read_only
        .address_space:  global
        .offset:         40
        .size:           8
        .value_kind:     global_buffer
      - .actual_access:  read_only
        .address_space:  global
        .offset:         48
        .size:           8
        .value_kind:     global_buffer
      - .actual_access:  read_only
        .address_space:  global
        .offset:         56
        .size:           8
        .value_kind:     global_buffer
      - .actual_access:  read_only
        .address_space:  global
        .offset:         64
        .size:           8
        .value_kind:     global_buffer
      - .offset:         72
        .size:           8
        .value_kind:     by_value
      - .address_space:  global
        .offset:         80
        .size:           8
        .value_kind:     global_buffer
      - .offset:         88
        .size:           4
        .value_kind:     by_value
      - .offset:         92
        .size:           1
        .value_kind:     by_value
    .group_segment_fixed_size: 0
    .kernarg_segment_align: 8
    .kernarg_segment_size: 96
    .language:       OpenCL C
    .language_version:
      - 2
      - 0
    .max_flat_workgroup_size: 128
    .name:           _ZN9rocsparseL18bsrxmvn_4x4_kernelILj128ELj16EfliaafEEvT3_20rocsparse_direction_NS_24const_host_device_scalarIT1_EES1_PKS1_PKT2_SA_S7_PKT4_PKT5_S5_PT6_21rocsparse_index_base_b
    .private_segment_fixed_size: 0
    .sgpr_count:     22
    .sgpr_spill_count: 0
    .symbol:         _ZN9rocsparseL18bsrxmvn_4x4_kernelILj128ELj16EfliaafEEvT3_20rocsparse_direction_NS_24const_host_device_scalarIT1_EES1_PKS1_PKT2_SA_S7_PKT4_PKT5_S5_PT6_21rocsparse_index_base_b.kd
    .uniform_work_group_size: 1
    .uses_dynamic_stack: false
    .vgpr_count:     90
    .vgpr_spill_count: 0
    .wavefront_size: 32
    .workgroup_processor_mode: 1
  - .args:
      - .offset:         0
        .size:           4
        .value_kind:     by_value
      - .offset:         4
        .size:           4
        .value_kind:     by_value
      - .offset:         8
        .size:           8
        .value_kind:     by_value
      - .offset:         16
        .size:           4
        .value_kind:     by_value
      - .actual_access:  read_only
        .address_space:  global
        .offset:         24
        .size:           8
        .value_kind:     global_buffer
      - .actual_access:  read_only
        .address_space:  global
        .offset:         32
        .size:           8
        .value_kind:     global_buffer
      - .actual_access:  read_only
        .address_space:  global
        .offset:         40
        .size:           8
        .value_kind:     global_buffer
      - .actual_access:  read_only
        .address_space:  global
        .offset:         48
        .size:           8
        .value_kind:     global_buffer
      - .actual_access:  read_only
        .address_space:  global
        .offset:         56
        .size:           8
        .value_kind:     global_buffer
      - .actual_access:  read_only
        .address_space:  global
        .offset:         64
        .size:           8
        .value_kind:     global_buffer
      - .offset:         72
        .size:           8
        .value_kind:     by_value
      - .address_space:  global
        .offset:         80
        .size:           8
        .value_kind:     global_buffer
      - .offset:         88
        .size:           4
        .value_kind:     by_value
      - .offset:         92
        .size:           1
        .value_kind:     by_value
    .group_segment_fixed_size: 0
    .kernarg_segment_align: 8
    .kernarg_segment_size: 96
    .language:       OpenCL C
    .language_version:
      - 2
      - 0
    .max_flat_workgroup_size: 128
    .name:           _ZN9rocsparseL18bsrxmvn_4x4_kernelILj128ELj32EfliaafEEvT3_20rocsparse_direction_NS_24const_host_device_scalarIT1_EES1_PKS1_PKT2_SA_S7_PKT4_PKT5_S5_PT6_21rocsparse_index_base_b
    .private_segment_fixed_size: 0
    .sgpr_count:     22
    .sgpr_spill_count: 0
    .symbol:         _ZN9rocsparseL18bsrxmvn_4x4_kernelILj128ELj32EfliaafEEvT3_20rocsparse_direction_NS_24const_host_device_scalarIT1_EES1_PKS1_PKT2_SA_S7_PKT4_PKT5_S5_PT6_21rocsparse_index_base_b.kd
    .uniform_work_group_size: 1
    .uses_dynamic_stack: false
    .vgpr_count:     90
    .vgpr_spill_count: 0
    .wavefront_size: 32
    .workgroup_processor_mode: 1
  - .args:
      - .offset:         0
        .size:           4
        .value_kind:     by_value
      - .offset:         4
        .size:           4
        .value_kind:     by_value
      - .offset:         8
        .size:           8
        .value_kind:     by_value
      - .offset:         16
        .size:           4
        .value_kind:     by_value
      - .actual_access:  read_only
        .address_space:  global
        .offset:         24
        .size:           8
        .value_kind:     global_buffer
      - .actual_access:  read_only
        .address_space:  global
        .offset:         32
        .size:           8
        .value_kind:     global_buffer
      - .actual_access:  read_only
        .address_space:  global
        .offset:         40
        .size:           8
        .value_kind:     global_buffer
      - .actual_access:  read_only
        .address_space:  global
        .offset:         48
        .size:           8
        .value_kind:     global_buffer
      - .actual_access:  read_only
        .address_space:  global
        .offset:         56
        .size:           8
        .value_kind:     global_buffer
      - .actual_access:  read_only
        .address_space:  global
        .offset:         64
        .size:           8
        .value_kind:     global_buffer
      - .offset:         72
        .size:           8
        .value_kind:     by_value
      - .address_space:  global
        .offset:         80
        .size:           8
        .value_kind:     global_buffer
      - .offset:         88
        .size:           4
        .value_kind:     by_value
      - .offset:         92
        .size:           1
        .value_kind:     by_value
    .group_segment_fixed_size: 0
    .kernarg_segment_align: 8
    .kernarg_segment_size: 96
    .language:       OpenCL C
    .language_version:
      - 2
      - 0
    .max_flat_workgroup_size: 128
    .name:           _ZN9rocsparseL18bsrxmvn_4x4_kernelILj128ELj64EfliaafEEvT3_20rocsparse_direction_NS_24const_host_device_scalarIT1_EES1_PKS1_PKT2_SA_S7_PKT4_PKT5_S5_PT6_21rocsparse_index_base_b
    .private_segment_fixed_size: 0
    .sgpr_count:     22
    .sgpr_spill_count: 0
    .symbol:         _ZN9rocsparseL18bsrxmvn_4x4_kernelILj128ELj64EfliaafEEvT3_20rocsparse_direction_NS_24const_host_device_scalarIT1_EES1_PKS1_PKT2_SA_S7_PKT4_PKT5_S5_PT6_21rocsparse_index_base_b.kd
    .uniform_work_group_size: 1
    .uses_dynamic_stack: false
    .vgpr_count:     90
    .vgpr_spill_count: 0
    .wavefront_size: 32
    .workgroup_processor_mode: 1
  - .args:
      - .offset:         0
        .size:           8
        .value_kind:     by_value
      - .offset:         8
        .size:           4
        .value_kind:     by_value
      - .offset:         16
        .size:           8
        .value_kind:     by_value
      - .offset:         24
        .size:           8
        .value_kind:     by_value
      - .actual_access:  read_only
        .address_space:  global
        .offset:         32
        .size:           8
        .value_kind:     global_buffer
      - .actual_access:  read_only
        .address_space:  global
        .offset:         40
        .size:           8
        .value_kind:     global_buffer
      - .actual_access:  read_only
        .address_space:  global
        .offset:         48
        .size:           8
        .value_kind:     global_buffer
      - .actual_access:  read_only
        .address_space:  global
        .offset:         56
        .size:           8
        .value_kind:     global_buffer
      - .actual_access:  read_only
        .address_space:  global
        .offset:         64
        .size:           8
        .value_kind:     global_buffer
      - .actual_access:  read_only
        .address_space:  global
        .offset:         72
        .size:           8
        .value_kind:     global_buffer
      - .offset:         80
        .size:           8
        .value_kind:     by_value
      - .address_space:  global
        .offset:         88
        .size:           8
        .value_kind:     global_buffer
      - .offset:         96
        .size:           4
        .value_kind:     by_value
      - .offset:         100
        .size:           1
        .value_kind:     by_value
    .group_segment_fixed_size: 0
    .kernarg_segment_align: 8
    .kernarg_segment_size: 104
    .language:       OpenCL C
    .language_version:
      - 2
      - 0
    .max_flat_workgroup_size: 128
    .name:           _ZN9rocsparseL18bsrxmvn_4x4_kernelILj128ELj4EfllaafEEvT3_20rocsparse_direction_NS_24const_host_device_scalarIT1_EES1_PKS1_PKT2_SA_S7_PKT4_PKT5_S5_PT6_21rocsparse_index_base_b
    .private_segment_fixed_size: 0
    .sgpr_count:     22
    .sgpr_spill_count: 0
    .symbol:         _ZN9rocsparseL18bsrxmvn_4x4_kernelILj128ELj4EfllaafEEvT3_20rocsparse_direction_NS_24const_host_device_scalarIT1_EES1_PKS1_PKT2_SA_S7_PKT4_PKT5_S5_PT6_21rocsparse_index_base_b.kd
    .uniform_work_group_size: 1
    .uses_dynamic_stack: false
    .vgpr_count:     93
    .vgpr_spill_count: 0
    .wavefront_size: 32
    .workgroup_processor_mode: 1
  - .args:
      - .offset:         0
        .size:           8
        .value_kind:     by_value
      - .offset:         8
        .size:           4
        .value_kind:     by_value
      - .offset:         16
        .size:           8
        .value_kind:     by_value
      - .offset:         24
        .size:           8
        .value_kind:     by_value
      - .actual_access:  read_only
        .address_space:  global
        .offset:         32
        .size:           8
        .value_kind:     global_buffer
      - .actual_access:  read_only
        .address_space:  global
        .offset:         40
        .size:           8
        .value_kind:     global_buffer
      - .actual_access:  read_only
        .address_space:  global
        .offset:         48
        .size:           8
        .value_kind:     global_buffer
      - .actual_access:  read_only
        .address_space:  global
        .offset:         56
        .size:           8
        .value_kind:     global_buffer
      - .actual_access:  read_only
        .address_space:  global
        .offset:         64
        .size:           8
        .value_kind:     global_buffer
      - .actual_access:  read_only
        .address_space:  global
        .offset:         72
        .size:           8
        .value_kind:     global_buffer
      - .offset:         80
        .size:           8
        .value_kind:     by_value
      - .address_space:  global
        .offset:         88
        .size:           8
        .value_kind:     global_buffer
      - .offset:         96
        .size:           4
        .value_kind:     by_value
      - .offset:         100
        .size:           1
        .value_kind:     by_value
    .group_segment_fixed_size: 0
    .kernarg_segment_align: 8
    .kernarg_segment_size: 104
    .language:       OpenCL C
    .language_version:
      - 2
      - 0
    .max_flat_workgroup_size: 128
    .name:           _ZN9rocsparseL18bsrxmvn_4x4_kernelILj128ELj8EfllaafEEvT3_20rocsparse_direction_NS_24const_host_device_scalarIT1_EES1_PKS1_PKT2_SA_S7_PKT4_PKT5_S5_PT6_21rocsparse_index_base_b
    .private_segment_fixed_size: 0
    .sgpr_count:     22
    .sgpr_spill_count: 0
    .symbol:         _ZN9rocsparseL18bsrxmvn_4x4_kernelILj128ELj8EfllaafEEvT3_20rocsparse_direction_NS_24const_host_device_scalarIT1_EES1_PKS1_PKT2_SA_S7_PKT4_PKT5_S5_PT6_21rocsparse_index_base_b.kd
    .uniform_work_group_size: 1
    .uses_dynamic_stack: false
    .vgpr_count:     93
    .vgpr_spill_count: 0
    .wavefront_size: 32
    .workgroup_processor_mode: 1
  - .args:
      - .offset:         0
        .size:           8
        .value_kind:     by_value
      - .offset:         8
        .size:           4
        .value_kind:     by_value
      - .offset:         16
        .size:           8
        .value_kind:     by_value
      - .offset:         24
        .size:           8
        .value_kind:     by_value
      - .actual_access:  read_only
        .address_space:  global
        .offset:         32
        .size:           8
        .value_kind:     global_buffer
      - .actual_access:  read_only
        .address_space:  global
        .offset:         40
        .size:           8
        .value_kind:     global_buffer
      - .actual_access:  read_only
        .address_space:  global
        .offset:         48
        .size:           8
        .value_kind:     global_buffer
      - .actual_access:  read_only
        .address_space:  global
        .offset:         56
        .size:           8
        .value_kind:     global_buffer
      - .actual_access:  read_only
        .address_space:  global
        .offset:         64
        .size:           8
        .value_kind:     global_buffer
      - .actual_access:  read_only
        .address_space:  global
        .offset:         72
        .size:           8
        .value_kind:     global_buffer
      - .offset:         80
        .size:           8
        .value_kind:     by_value
      - .address_space:  global
        .offset:         88
        .size:           8
        .value_kind:     global_buffer
      - .offset:         96
        .size:           4
        .value_kind:     by_value
      - .offset:         100
        .size:           1
        .value_kind:     by_value
    .group_segment_fixed_size: 0
    .kernarg_segment_align: 8
    .kernarg_segment_size: 104
    .language:       OpenCL C
    .language_version:
      - 2
      - 0
    .max_flat_workgroup_size: 128
    .name:           _ZN9rocsparseL18bsrxmvn_4x4_kernelILj128ELj16EfllaafEEvT3_20rocsparse_direction_NS_24const_host_device_scalarIT1_EES1_PKS1_PKT2_SA_S7_PKT4_PKT5_S5_PT6_21rocsparse_index_base_b
    .private_segment_fixed_size: 0
    .sgpr_count:     22
    .sgpr_spill_count: 0
    .symbol:         _ZN9rocsparseL18bsrxmvn_4x4_kernelILj128ELj16EfllaafEEvT3_20rocsparse_direction_NS_24const_host_device_scalarIT1_EES1_PKS1_PKT2_SA_S7_PKT4_PKT5_S5_PT6_21rocsparse_index_base_b.kd
    .uniform_work_group_size: 1
    .uses_dynamic_stack: false
    .vgpr_count:     93
    .vgpr_spill_count: 0
    .wavefront_size: 32
    .workgroup_processor_mode: 1
  - .args:
      - .offset:         0
        .size:           8
        .value_kind:     by_value
      - .offset:         8
        .size:           4
        .value_kind:     by_value
      - .offset:         16
        .size:           8
        .value_kind:     by_value
      - .offset:         24
        .size:           8
        .value_kind:     by_value
      - .actual_access:  read_only
        .address_space:  global
        .offset:         32
        .size:           8
        .value_kind:     global_buffer
      - .actual_access:  read_only
        .address_space:  global
        .offset:         40
        .size:           8
        .value_kind:     global_buffer
      - .actual_access:  read_only
        .address_space:  global
        .offset:         48
        .size:           8
        .value_kind:     global_buffer
      - .actual_access:  read_only
        .address_space:  global
        .offset:         56
        .size:           8
        .value_kind:     global_buffer
      - .actual_access:  read_only
        .address_space:  global
        .offset:         64
        .size:           8
        .value_kind:     global_buffer
      - .actual_access:  read_only
        .address_space:  global
        .offset:         72
        .size:           8
        .value_kind:     global_buffer
      - .offset:         80
        .size:           8
        .value_kind:     by_value
      - .address_space:  global
        .offset:         88
        .size:           8
        .value_kind:     global_buffer
      - .offset:         96
        .size:           4
        .value_kind:     by_value
      - .offset:         100
        .size:           1
        .value_kind:     by_value
    .group_segment_fixed_size: 0
    .kernarg_segment_align: 8
    .kernarg_segment_size: 104
    .language:       OpenCL C
    .language_version:
      - 2
      - 0
    .max_flat_workgroup_size: 128
    .name:           _ZN9rocsparseL18bsrxmvn_4x4_kernelILj128ELj32EfllaafEEvT3_20rocsparse_direction_NS_24const_host_device_scalarIT1_EES1_PKS1_PKT2_SA_S7_PKT4_PKT5_S5_PT6_21rocsparse_index_base_b
    .private_segment_fixed_size: 0
    .sgpr_count:     22
    .sgpr_spill_count: 0
    .symbol:         _ZN9rocsparseL18bsrxmvn_4x4_kernelILj128ELj32EfllaafEEvT3_20rocsparse_direction_NS_24const_host_device_scalarIT1_EES1_PKS1_PKT2_SA_S7_PKT4_PKT5_S5_PT6_21rocsparse_index_base_b.kd
    .uniform_work_group_size: 1
    .uses_dynamic_stack: false
    .vgpr_count:     93
    .vgpr_spill_count: 0
    .wavefront_size: 32
    .workgroup_processor_mode: 1
  - .args:
      - .offset:         0
        .size:           8
        .value_kind:     by_value
      - .offset:         8
        .size:           4
        .value_kind:     by_value
      - .offset:         16
        .size:           8
        .value_kind:     by_value
      - .offset:         24
        .size:           8
        .value_kind:     by_value
      - .actual_access:  read_only
        .address_space:  global
        .offset:         32
        .size:           8
        .value_kind:     global_buffer
      - .actual_access:  read_only
        .address_space:  global
        .offset:         40
        .size:           8
        .value_kind:     global_buffer
      - .actual_access:  read_only
        .address_space:  global
        .offset:         48
        .size:           8
        .value_kind:     global_buffer
      - .actual_access:  read_only
        .address_space:  global
        .offset:         56
        .size:           8
        .value_kind:     global_buffer
      - .actual_access:  read_only
        .address_space:  global
        .offset:         64
        .size:           8
        .value_kind:     global_buffer
      - .actual_access:  read_only
        .address_space:  global
        .offset:         72
        .size:           8
        .value_kind:     global_buffer
      - .offset:         80
        .size:           8
        .value_kind:     by_value
      - .address_space:  global
        .offset:         88
        .size:           8
        .value_kind:     global_buffer
      - .offset:         96
        .size:           4
        .value_kind:     by_value
      - .offset:         100
        .size:           1
        .value_kind:     by_value
    .group_segment_fixed_size: 0
    .kernarg_segment_align: 8
    .kernarg_segment_size: 104
    .language:       OpenCL C
    .language_version:
      - 2
      - 0
    .max_flat_workgroup_size: 128
    .name:           _ZN9rocsparseL18bsrxmvn_4x4_kernelILj128ELj64EfllaafEEvT3_20rocsparse_direction_NS_24const_host_device_scalarIT1_EES1_PKS1_PKT2_SA_S7_PKT4_PKT5_S5_PT6_21rocsparse_index_base_b
    .private_segment_fixed_size: 0
    .sgpr_count:     22
    .sgpr_spill_count: 0
    .symbol:         _ZN9rocsparseL18bsrxmvn_4x4_kernelILj128ELj64EfllaafEEvT3_20rocsparse_direction_NS_24const_host_device_scalarIT1_EES1_PKS1_PKT2_SA_S7_PKT4_PKT5_S5_PT6_21rocsparse_index_base_b.kd
    .uniform_work_group_size: 1
    .uses_dynamic_stack: false
    .vgpr_count:     93
    .vgpr_spill_count: 0
    .wavefront_size: 32
    .workgroup_processor_mode: 1
  - .args:
      - .offset:         0
        .size:           4
        .value_kind:     by_value
      - .offset:         4
        .size:           4
        .value_kind:     by_value
      - .offset:         8
        .size:           8
        .value_kind:     by_value
      - .offset:         16
        .size:           4
        .value_kind:     by_value
      - .actual_access:  read_only
        .address_space:  global
        .offset:         24
        .size:           8
        .value_kind:     global_buffer
      - .actual_access:  read_only
        .address_space:  global
        .offset:         32
        .size:           8
        .value_kind:     global_buffer
      - .actual_access:  read_only
        .address_space:  global
        .offset:         40
        .size:           8
        .value_kind:     global_buffer
      - .actual_access:  read_only
        .address_space:  global
        .offset:         48
        .size:           8
        .value_kind:     global_buffer
      - .actual_access:  read_only
        .address_space:  global
        .offset:         56
        .size:           8
        .value_kind:     global_buffer
      - .actual_access:  read_only
        .address_space:  global
        .offset:         64
        .size:           8
        .value_kind:     global_buffer
      - .offset:         72
        .size:           8
        .value_kind:     by_value
      - .address_space:  global
        .offset:         80
        .size:           8
        .value_kind:     global_buffer
      - .offset:         88
        .size:           4
        .value_kind:     by_value
      - .offset:         92
        .size:           1
        .value_kind:     by_value
    .group_segment_fixed_size: 0
    .kernarg_segment_align: 8
    .kernarg_segment_size: 96
    .language:       OpenCL C
    .language_version:
      - 2
      - 0
    .max_flat_workgroup_size: 128
    .name:           _ZN9rocsparseL18bsrxmvn_4x4_kernelILj128ELj4EfiiDF16_DF16_fEEvT3_20rocsparse_direction_NS_24const_host_device_scalarIT1_EES1_PKS1_PKT2_SA_S7_PKT4_PKT5_S5_PT6_21rocsparse_index_base_b
    .private_segment_fixed_size: 0
    .sgpr_count:     22
    .sgpr_spill_count: 0
    .symbol:         _ZN9rocsparseL18bsrxmvn_4x4_kernelILj128ELj4EfiiDF16_DF16_fEEvT3_20rocsparse_direction_NS_24const_host_device_scalarIT1_EES1_PKS1_PKT2_SA_S7_PKT4_PKT5_S5_PT6_21rocsparse_index_base_b.kd
    .uniform_work_group_size: 1
    .uses_dynamic_stack: false
    .vgpr_count:     56
    .vgpr_spill_count: 0
    .wavefront_size: 32
    .workgroup_processor_mode: 1
  - .args:
      - .offset:         0
        .size:           4
        .value_kind:     by_value
      - .offset:         4
        .size:           4
        .value_kind:     by_value
      - .offset:         8
        .size:           8
        .value_kind:     by_value
      - .offset:         16
        .size:           4
        .value_kind:     by_value
      - .actual_access:  read_only
        .address_space:  global
        .offset:         24
        .size:           8
        .value_kind:     global_buffer
      - .actual_access:  read_only
        .address_space:  global
        .offset:         32
        .size:           8
        .value_kind:     global_buffer
      - .actual_access:  read_only
        .address_space:  global
        .offset:         40
        .size:           8
        .value_kind:     global_buffer
      - .actual_access:  read_only
        .address_space:  global
        .offset:         48
        .size:           8
        .value_kind:     global_buffer
      - .actual_access:  read_only
        .address_space:  global
        .offset:         56
        .size:           8
        .value_kind:     global_buffer
      - .actual_access:  read_only
        .address_space:  global
        .offset:         64
        .size:           8
        .value_kind:     global_buffer
      - .offset:         72
        .size:           8
        .value_kind:     by_value
      - .address_space:  global
        .offset:         80
        .size:           8
        .value_kind:     global_buffer
      - .offset:         88
        .size:           4
        .value_kind:     by_value
      - .offset:         92
        .size:           1
        .value_kind:     by_value
    .group_segment_fixed_size: 0
    .kernarg_segment_align: 8
    .kernarg_segment_size: 96
    .language:       OpenCL C
    .language_version:
      - 2
      - 0
    .max_flat_workgroup_size: 128
    .name:           _ZN9rocsparseL18bsrxmvn_4x4_kernelILj128ELj8EfiiDF16_DF16_fEEvT3_20rocsparse_direction_NS_24const_host_device_scalarIT1_EES1_PKS1_PKT2_SA_S7_PKT4_PKT5_S5_PT6_21rocsparse_index_base_b
    .private_segment_fixed_size: 0
    .sgpr_count:     22
    .sgpr_spill_count: 0
    .symbol:         _ZN9rocsparseL18bsrxmvn_4x4_kernelILj128ELj8EfiiDF16_DF16_fEEvT3_20rocsparse_direction_NS_24const_host_device_scalarIT1_EES1_PKS1_PKT2_SA_S7_PKT4_PKT5_S5_PT6_21rocsparse_index_base_b.kd
    .uniform_work_group_size: 1
    .uses_dynamic_stack: false
    .vgpr_count:     56
    .vgpr_spill_count: 0
    .wavefront_size: 32
    .workgroup_processor_mode: 1
  - .args:
      - .offset:         0
        .size:           4
        .value_kind:     by_value
      - .offset:         4
        .size:           4
        .value_kind:     by_value
      - .offset:         8
        .size:           8
        .value_kind:     by_value
      - .offset:         16
        .size:           4
        .value_kind:     by_value
      - .actual_access:  read_only
        .address_space:  global
        .offset:         24
        .size:           8
        .value_kind:     global_buffer
      - .actual_access:  read_only
        .address_space:  global
        .offset:         32
        .size:           8
        .value_kind:     global_buffer
      - .actual_access:  read_only
        .address_space:  global
        .offset:         40
        .size:           8
        .value_kind:     global_buffer
      - .actual_access:  read_only
        .address_space:  global
        .offset:         48
        .size:           8
        .value_kind:     global_buffer
      - .actual_access:  read_only
        .address_space:  global
        .offset:         56
        .size:           8
        .value_kind:     global_buffer
      - .actual_access:  read_only
        .address_space:  global
        .offset:         64
        .size:           8
        .value_kind:     global_buffer
      - .offset:         72
        .size:           8
        .value_kind:     by_value
      - .address_space:  global
        .offset:         80
        .size:           8
        .value_kind:     global_buffer
      - .offset:         88
        .size:           4
        .value_kind:     by_value
      - .offset:         92
        .size:           1
        .value_kind:     by_value
    .group_segment_fixed_size: 0
    .kernarg_segment_align: 8
    .kernarg_segment_size: 96
    .language:       OpenCL C
    .language_version:
      - 2
      - 0
    .max_flat_workgroup_size: 128
    .name:           _ZN9rocsparseL18bsrxmvn_4x4_kernelILj128ELj16EfiiDF16_DF16_fEEvT3_20rocsparse_direction_NS_24const_host_device_scalarIT1_EES1_PKS1_PKT2_SA_S7_PKT4_PKT5_S5_PT6_21rocsparse_index_base_b
    .private_segment_fixed_size: 0
    .sgpr_count:     22
    .sgpr_spill_count: 0
    .symbol:         _ZN9rocsparseL18bsrxmvn_4x4_kernelILj128ELj16EfiiDF16_DF16_fEEvT3_20rocsparse_direction_NS_24const_host_device_scalarIT1_EES1_PKS1_PKT2_SA_S7_PKT4_PKT5_S5_PT6_21rocsparse_index_base_b.kd
    .uniform_work_group_size: 1
    .uses_dynamic_stack: false
    .vgpr_count:     56
    .vgpr_spill_count: 0
    .wavefront_size: 32
    .workgroup_processor_mode: 1
  - .args:
      - .offset:         0
        .size:           4
        .value_kind:     by_value
      - .offset:         4
        .size:           4
        .value_kind:     by_value
      - .offset:         8
        .size:           8
        .value_kind:     by_value
      - .offset:         16
        .size:           4
        .value_kind:     by_value
      - .actual_access:  read_only
        .address_space:  global
        .offset:         24
        .size:           8
        .value_kind:     global_buffer
      - .actual_access:  read_only
        .address_space:  global
        .offset:         32
        .size:           8
        .value_kind:     global_buffer
      - .actual_access:  read_only
        .address_space:  global
        .offset:         40
        .size:           8
        .value_kind:     global_buffer
      - .actual_access:  read_only
        .address_space:  global
        .offset:         48
        .size:           8
        .value_kind:     global_buffer
      - .actual_access:  read_only
        .address_space:  global
        .offset:         56
        .size:           8
        .value_kind:     global_buffer
      - .actual_access:  read_only
        .address_space:  global
        .offset:         64
        .size:           8
        .value_kind:     global_buffer
      - .offset:         72
        .size:           8
        .value_kind:     by_value
      - .address_space:  global
        .offset:         80
        .size:           8
        .value_kind:     global_buffer
      - .offset:         88
        .size:           4
        .value_kind:     by_value
      - .offset:         92
        .size:           1
        .value_kind:     by_value
    .group_segment_fixed_size: 0
    .kernarg_segment_align: 8
    .kernarg_segment_size: 96
    .language:       OpenCL C
    .language_version:
      - 2
      - 0
    .max_flat_workgroup_size: 128
    .name:           _ZN9rocsparseL18bsrxmvn_4x4_kernelILj128ELj32EfiiDF16_DF16_fEEvT3_20rocsparse_direction_NS_24const_host_device_scalarIT1_EES1_PKS1_PKT2_SA_S7_PKT4_PKT5_S5_PT6_21rocsparse_index_base_b
    .private_segment_fixed_size: 0
    .sgpr_count:     22
    .sgpr_spill_count: 0
    .symbol:         _ZN9rocsparseL18bsrxmvn_4x4_kernelILj128ELj32EfiiDF16_DF16_fEEvT3_20rocsparse_direction_NS_24const_host_device_scalarIT1_EES1_PKS1_PKT2_SA_S7_PKT4_PKT5_S5_PT6_21rocsparse_index_base_b.kd
    .uniform_work_group_size: 1
    .uses_dynamic_stack: false
    .vgpr_count:     56
    .vgpr_spill_count: 0
    .wavefront_size: 32
    .workgroup_processor_mode: 1
  - .args:
      - .offset:         0
        .size:           4
        .value_kind:     by_value
      - .offset:         4
        .size:           4
        .value_kind:     by_value
      - .offset:         8
        .size:           8
        .value_kind:     by_value
      - .offset:         16
        .size:           4
        .value_kind:     by_value
      - .actual_access:  read_only
        .address_space:  global
        .offset:         24
        .size:           8
        .value_kind:     global_buffer
      - .actual_access:  read_only
        .address_space:  global
        .offset:         32
        .size:           8
        .value_kind:     global_buffer
      - .actual_access:  read_only
        .address_space:  global
        .offset:         40
        .size:           8
        .value_kind:     global_buffer
      - .actual_access:  read_only
        .address_space:  global
        .offset:         48
        .size:           8
        .value_kind:     global_buffer
      - .actual_access:  read_only
        .address_space:  global
        .offset:         56
        .size:           8
        .value_kind:     global_buffer
      - .actual_access:  read_only
        .address_space:  global
        .offset:         64
        .size:           8
        .value_kind:     global_buffer
      - .offset:         72
        .size:           8
        .value_kind:     by_value
      - .address_space:  global
        .offset:         80
        .size:           8
        .value_kind:     global_buffer
      - .offset:         88
        .size:           4
        .value_kind:     by_value
      - .offset:         92
        .size:           1
        .value_kind:     by_value
    .group_segment_fixed_size: 0
    .kernarg_segment_align: 8
    .kernarg_segment_size: 96
    .language:       OpenCL C
    .language_version:
      - 2
      - 0
    .max_flat_workgroup_size: 128
    .name:           _ZN9rocsparseL18bsrxmvn_4x4_kernelILj128ELj64EfiiDF16_DF16_fEEvT3_20rocsparse_direction_NS_24const_host_device_scalarIT1_EES1_PKS1_PKT2_SA_S7_PKT4_PKT5_S5_PT6_21rocsparse_index_base_b
    .private_segment_fixed_size: 0
    .sgpr_count:     22
    .sgpr_spill_count: 0
    .symbol:         _ZN9rocsparseL18bsrxmvn_4x4_kernelILj128ELj64EfiiDF16_DF16_fEEvT3_20rocsparse_direction_NS_24const_host_device_scalarIT1_EES1_PKS1_PKT2_SA_S7_PKT4_PKT5_S5_PT6_21rocsparse_index_base_b.kd
    .uniform_work_group_size: 1
    .uses_dynamic_stack: false
    .vgpr_count:     56
    .vgpr_spill_count: 0
    .wavefront_size: 32
    .workgroup_processor_mode: 1
  - .args:
      - .offset:         0
        .size:           4
        .value_kind:     by_value
      - .offset:         4
        .size:           4
        .value_kind:     by_value
      - .offset:         8
        .size:           8
        .value_kind:     by_value
      - .offset:         16
        .size:           4
        .value_kind:     by_value
      - .actual_access:  read_only
        .address_space:  global
        .offset:         24
        .size:           8
        .value_kind:     global_buffer
      - .actual_access:  read_only
        .address_space:  global
        .offset:         32
        .size:           8
        .value_kind:     global_buffer
      - .actual_access:  read_only
        .address_space:  global
        .offset:         40
        .size:           8
        .value_kind:     global_buffer
      - .actual_access:  read_only
        .address_space:  global
        .offset:         48
        .size:           8
        .value_kind:     global_buffer
      - .actual_access:  read_only
        .address_space:  global
        .offset:         56
        .size:           8
        .value_kind:     global_buffer
      - .actual_access:  read_only
        .address_space:  global
        .offset:         64
        .size:           8
        .value_kind:     global_buffer
      - .offset:         72
        .size:           8
        .value_kind:     by_value
      - .address_space:  global
        .offset:         80
        .size:           8
        .value_kind:     global_buffer
      - .offset:         88
        .size:           4
        .value_kind:     by_value
      - .offset:         92
        .size:           1
        .value_kind:     by_value
    .group_segment_fixed_size: 0
    .kernarg_segment_align: 8
    .kernarg_segment_size: 96
    .language:       OpenCL C
    .language_version:
      - 2
      - 0
    .max_flat_workgroup_size: 128
    .name:           _ZN9rocsparseL18bsrxmvn_4x4_kernelILj128ELj4EfliDF16_DF16_fEEvT3_20rocsparse_direction_NS_24const_host_device_scalarIT1_EES1_PKS1_PKT2_SA_S7_PKT4_PKT5_S5_PT6_21rocsparse_index_base_b
    .private_segment_fixed_size: 0
    .sgpr_count:     22
    .sgpr_spill_count: 0
    .symbol:         _ZN9rocsparseL18bsrxmvn_4x4_kernelILj128ELj4EfliDF16_DF16_fEEvT3_20rocsparse_direction_NS_24const_host_device_scalarIT1_EES1_PKS1_PKT2_SA_S7_PKT4_PKT5_S5_PT6_21rocsparse_index_base_b.kd
    .uniform_work_group_size: 1
    .uses_dynamic_stack: false
    .vgpr_count:     61
    .vgpr_spill_count: 0
    .wavefront_size: 32
    .workgroup_processor_mode: 1
  - .args:
      - .offset:         0
        .size:           4
        .value_kind:     by_value
      - .offset:         4
        .size:           4
        .value_kind:     by_value
      - .offset:         8
        .size:           8
        .value_kind:     by_value
      - .offset:         16
        .size:           4
        .value_kind:     by_value
      - .actual_access:  read_only
        .address_space:  global
        .offset:         24
        .size:           8
        .value_kind:     global_buffer
      - .actual_access:  read_only
        .address_space:  global
        .offset:         32
        .size:           8
        .value_kind:     global_buffer
      - .actual_access:  read_only
        .address_space:  global
        .offset:         40
        .size:           8
        .value_kind:     global_buffer
      - .actual_access:  read_only
        .address_space:  global
        .offset:         48
        .size:           8
        .value_kind:     global_buffer
      - .actual_access:  read_only
        .address_space:  global
        .offset:         56
        .size:           8
        .value_kind:     global_buffer
      - .actual_access:  read_only
        .address_space:  global
        .offset:         64
        .size:           8
        .value_kind:     global_buffer
      - .offset:         72
        .size:           8
        .value_kind:     by_value
      - .address_space:  global
        .offset:         80
        .size:           8
        .value_kind:     global_buffer
      - .offset:         88
        .size:           4
        .value_kind:     by_value
      - .offset:         92
        .size:           1
        .value_kind:     by_value
    .group_segment_fixed_size: 0
    .kernarg_segment_align: 8
    .kernarg_segment_size: 96
    .language:       OpenCL C
    .language_version:
      - 2
      - 0
    .max_flat_workgroup_size: 128
    .name:           _ZN9rocsparseL18bsrxmvn_4x4_kernelILj128ELj8EfliDF16_DF16_fEEvT3_20rocsparse_direction_NS_24const_host_device_scalarIT1_EES1_PKS1_PKT2_SA_S7_PKT4_PKT5_S5_PT6_21rocsparse_index_base_b
    .private_segment_fixed_size: 0
    .sgpr_count:     22
    .sgpr_spill_count: 0
    .symbol:         _ZN9rocsparseL18bsrxmvn_4x4_kernelILj128ELj8EfliDF16_DF16_fEEvT3_20rocsparse_direction_NS_24const_host_device_scalarIT1_EES1_PKS1_PKT2_SA_S7_PKT4_PKT5_S5_PT6_21rocsparse_index_base_b.kd
    .uniform_work_group_size: 1
    .uses_dynamic_stack: false
    .vgpr_count:     61
    .vgpr_spill_count: 0
    .wavefront_size: 32
    .workgroup_processor_mode: 1
  - .args:
      - .offset:         0
        .size:           4
        .value_kind:     by_value
      - .offset:         4
        .size:           4
        .value_kind:     by_value
      - .offset:         8
        .size:           8
        .value_kind:     by_value
      - .offset:         16
        .size:           4
        .value_kind:     by_value
      - .actual_access:  read_only
        .address_space:  global
        .offset:         24
        .size:           8
        .value_kind:     global_buffer
      - .actual_access:  read_only
        .address_space:  global
        .offset:         32
        .size:           8
        .value_kind:     global_buffer
      - .actual_access:  read_only
        .address_space:  global
        .offset:         40
        .size:           8
        .value_kind:     global_buffer
      - .actual_access:  read_only
        .address_space:  global
        .offset:         48
        .size:           8
        .value_kind:     global_buffer
      - .actual_access:  read_only
        .address_space:  global
        .offset:         56
        .size:           8
        .value_kind:     global_buffer
      - .actual_access:  read_only
        .address_space:  global
        .offset:         64
        .size:           8
        .value_kind:     global_buffer
      - .offset:         72
        .size:           8
        .value_kind:     by_value
      - .address_space:  global
        .offset:         80
        .size:           8
        .value_kind:     global_buffer
      - .offset:         88
        .size:           4
        .value_kind:     by_value
      - .offset:         92
        .size:           1
        .value_kind:     by_value
    .group_segment_fixed_size: 0
    .kernarg_segment_align: 8
    .kernarg_segment_size: 96
    .language:       OpenCL C
    .language_version:
      - 2
      - 0
    .max_flat_workgroup_size: 128
    .name:           _ZN9rocsparseL18bsrxmvn_4x4_kernelILj128ELj16EfliDF16_DF16_fEEvT3_20rocsparse_direction_NS_24const_host_device_scalarIT1_EES1_PKS1_PKT2_SA_S7_PKT4_PKT5_S5_PT6_21rocsparse_index_base_b
    .private_segment_fixed_size: 0
    .sgpr_count:     22
    .sgpr_spill_count: 0
    .symbol:         _ZN9rocsparseL18bsrxmvn_4x4_kernelILj128ELj16EfliDF16_DF16_fEEvT3_20rocsparse_direction_NS_24const_host_device_scalarIT1_EES1_PKS1_PKT2_SA_S7_PKT4_PKT5_S5_PT6_21rocsparse_index_base_b.kd
    .uniform_work_group_size: 1
    .uses_dynamic_stack: false
    .vgpr_count:     61
    .vgpr_spill_count: 0
    .wavefront_size: 32
    .workgroup_processor_mode: 1
  - .args:
      - .offset:         0
        .size:           4
        .value_kind:     by_value
      - .offset:         4
        .size:           4
        .value_kind:     by_value
      - .offset:         8
        .size:           8
        .value_kind:     by_value
      - .offset:         16
        .size:           4
        .value_kind:     by_value
      - .actual_access:  read_only
        .address_space:  global
        .offset:         24
        .size:           8
        .value_kind:     global_buffer
      - .actual_access:  read_only
        .address_space:  global
        .offset:         32
        .size:           8
        .value_kind:     global_buffer
      - .actual_access:  read_only
        .address_space:  global
        .offset:         40
        .size:           8
        .value_kind:     global_buffer
      - .actual_access:  read_only
        .address_space:  global
        .offset:         48
        .size:           8
        .value_kind:     global_buffer
      - .actual_access:  read_only
        .address_space:  global
        .offset:         56
        .size:           8
        .value_kind:     global_buffer
      - .actual_access:  read_only
        .address_space:  global
        .offset:         64
        .size:           8
        .value_kind:     global_buffer
      - .offset:         72
        .size:           8
        .value_kind:     by_value
      - .address_space:  global
        .offset:         80
        .size:           8
        .value_kind:     global_buffer
      - .offset:         88
        .size:           4
        .value_kind:     by_value
      - .offset:         92
        .size:           1
        .value_kind:     by_value
    .group_segment_fixed_size: 0
    .kernarg_segment_align: 8
    .kernarg_segment_size: 96
    .language:       OpenCL C
    .language_version:
      - 2
      - 0
    .max_flat_workgroup_size: 128
    .name:           _ZN9rocsparseL18bsrxmvn_4x4_kernelILj128ELj32EfliDF16_DF16_fEEvT3_20rocsparse_direction_NS_24const_host_device_scalarIT1_EES1_PKS1_PKT2_SA_S7_PKT4_PKT5_S5_PT6_21rocsparse_index_base_b
    .private_segment_fixed_size: 0
    .sgpr_count:     22
    .sgpr_spill_count: 0
    .symbol:         _ZN9rocsparseL18bsrxmvn_4x4_kernelILj128ELj32EfliDF16_DF16_fEEvT3_20rocsparse_direction_NS_24const_host_device_scalarIT1_EES1_PKS1_PKT2_SA_S7_PKT4_PKT5_S5_PT6_21rocsparse_index_base_b.kd
    .uniform_work_group_size: 1
    .uses_dynamic_stack: false
    .vgpr_count:     61
    .vgpr_spill_count: 0
    .wavefront_size: 32
    .workgroup_processor_mode: 1
  - .args:
      - .offset:         0
        .size:           4
        .value_kind:     by_value
      - .offset:         4
        .size:           4
        .value_kind:     by_value
      - .offset:         8
        .size:           8
        .value_kind:     by_value
      - .offset:         16
        .size:           4
        .value_kind:     by_value
      - .actual_access:  read_only
        .address_space:  global
        .offset:         24
        .size:           8
        .value_kind:     global_buffer
      - .actual_access:  read_only
        .address_space:  global
        .offset:         32
        .size:           8
        .value_kind:     global_buffer
      - .actual_access:  read_only
        .address_space:  global
        .offset:         40
        .size:           8
        .value_kind:     global_buffer
      - .actual_access:  read_only
        .address_space:  global
        .offset:         48
        .size:           8
        .value_kind:     global_buffer
      - .actual_access:  read_only
        .address_space:  global
        .offset:         56
        .size:           8
        .value_kind:     global_buffer
      - .actual_access:  read_only
        .address_space:  global
        .offset:         64
        .size:           8
        .value_kind:     global_buffer
      - .offset:         72
        .size:           8
        .value_kind:     by_value
      - .address_space:  global
        .offset:         80
        .size:           8
        .value_kind:     global_buffer
      - .offset:         88
        .size:           4
        .value_kind:     by_value
      - .offset:         92
        .size:           1
        .value_kind:     by_value
    .group_segment_fixed_size: 0
    .kernarg_segment_align: 8
    .kernarg_segment_size: 96
    .language:       OpenCL C
    .language_version:
      - 2
      - 0
    .max_flat_workgroup_size: 128
    .name:           _ZN9rocsparseL18bsrxmvn_4x4_kernelILj128ELj64EfliDF16_DF16_fEEvT3_20rocsparse_direction_NS_24const_host_device_scalarIT1_EES1_PKS1_PKT2_SA_S7_PKT4_PKT5_S5_PT6_21rocsparse_index_base_b
    .private_segment_fixed_size: 0
    .sgpr_count:     22
    .sgpr_spill_count: 0
    .symbol:         _ZN9rocsparseL18bsrxmvn_4x4_kernelILj128ELj64EfliDF16_DF16_fEEvT3_20rocsparse_direction_NS_24const_host_device_scalarIT1_EES1_PKS1_PKT2_SA_S7_PKT4_PKT5_S5_PT6_21rocsparse_index_base_b.kd
    .uniform_work_group_size: 1
    .uses_dynamic_stack: false
    .vgpr_count:     61
    .vgpr_spill_count: 0
    .wavefront_size: 32
    .workgroup_processor_mode: 1
  - .args:
      - .offset:         0
        .size:           8
        .value_kind:     by_value
      - .offset:         8
        .size:           4
        .value_kind:     by_value
      - .offset:         16
        .size:           8
        .value_kind:     by_value
      - .offset:         24
        .size:           8
        .value_kind:     by_value
      - .actual_access:  read_only
        .address_space:  global
        .offset:         32
        .size:           8
        .value_kind:     global_buffer
      - .actual_access:  read_only
        .address_space:  global
        .offset:         40
        .size:           8
        .value_kind:     global_buffer
      - .actual_access:  read_only
        .address_space:  global
        .offset:         48
        .size:           8
        .value_kind:     global_buffer
      - .actual_access:  read_only
        .address_space:  global
        .offset:         56
        .size:           8
        .value_kind:     global_buffer
      - .actual_access:  read_only
        .address_space:  global
        .offset:         64
        .size:           8
        .value_kind:     global_buffer
      - .actual_access:  read_only
        .address_space:  global
        .offset:         72
        .size:           8
        .value_kind:     global_buffer
      - .offset:         80
        .size:           8
        .value_kind:     by_value
      - .address_space:  global
        .offset:         88
        .size:           8
        .value_kind:     global_buffer
      - .offset:         96
        .size:           4
        .value_kind:     by_value
      - .offset:         100
        .size:           1
        .value_kind:     by_value
    .group_segment_fixed_size: 0
    .kernarg_segment_align: 8
    .kernarg_segment_size: 104
    .language:       OpenCL C
    .language_version:
      - 2
      - 0
    .max_flat_workgroup_size: 128
    .name:           _ZN9rocsparseL18bsrxmvn_4x4_kernelILj128ELj4EfllDF16_DF16_fEEvT3_20rocsparse_direction_NS_24const_host_device_scalarIT1_EES1_PKS1_PKT2_SA_S7_PKT4_PKT5_S5_PT6_21rocsparse_index_base_b
    .private_segment_fixed_size: 0
    .sgpr_count:     22
    .sgpr_spill_count: 0
    .symbol:         _ZN9rocsparseL18bsrxmvn_4x4_kernelILj128ELj4EfllDF16_DF16_fEEvT3_20rocsparse_direction_NS_24const_host_device_scalarIT1_EES1_PKS1_PKT2_SA_S7_PKT4_PKT5_S5_PT6_21rocsparse_index_base_b.kd
    .uniform_work_group_size: 1
    .uses_dynamic_stack: false
    .vgpr_count:     64
    .vgpr_spill_count: 0
    .wavefront_size: 32
    .workgroup_processor_mode: 1
  - .args:
      - .offset:         0
        .size:           8
        .value_kind:     by_value
      - .offset:         8
        .size:           4
        .value_kind:     by_value
      - .offset:         16
        .size:           8
        .value_kind:     by_value
      - .offset:         24
        .size:           8
        .value_kind:     by_value
      - .actual_access:  read_only
        .address_space:  global
        .offset:         32
        .size:           8
        .value_kind:     global_buffer
      - .actual_access:  read_only
        .address_space:  global
        .offset:         40
        .size:           8
        .value_kind:     global_buffer
      - .actual_access:  read_only
        .address_space:  global
        .offset:         48
        .size:           8
        .value_kind:     global_buffer
      - .actual_access:  read_only
        .address_space:  global
        .offset:         56
        .size:           8
        .value_kind:     global_buffer
      - .actual_access:  read_only
        .address_space:  global
        .offset:         64
        .size:           8
        .value_kind:     global_buffer
      - .actual_access:  read_only
        .address_space:  global
        .offset:         72
        .size:           8
        .value_kind:     global_buffer
      - .offset:         80
        .size:           8
        .value_kind:     by_value
      - .address_space:  global
        .offset:         88
        .size:           8
        .value_kind:     global_buffer
      - .offset:         96
        .size:           4
        .value_kind:     by_value
      - .offset:         100
        .size:           1
        .value_kind:     by_value
    .group_segment_fixed_size: 0
    .kernarg_segment_align: 8
    .kernarg_segment_size: 104
    .language:       OpenCL C
    .language_version:
      - 2
      - 0
    .max_flat_workgroup_size: 128
    .name:           _ZN9rocsparseL18bsrxmvn_4x4_kernelILj128ELj8EfllDF16_DF16_fEEvT3_20rocsparse_direction_NS_24const_host_device_scalarIT1_EES1_PKS1_PKT2_SA_S7_PKT4_PKT5_S5_PT6_21rocsparse_index_base_b
    .private_segment_fixed_size: 0
    .sgpr_count:     22
    .sgpr_spill_count: 0
    .symbol:         _ZN9rocsparseL18bsrxmvn_4x4_kernelILj128ELj8EfllDF16_DF16_fEEvT3_20rocsparse_direction_NS_24const_host_device_scalarIT1_EES1_PKS1_PKT2_SA_S7_PKT4_PKT5_S5_PT6_21rocsparse_index_base_b.kd
    .uniform_work_group_size: 1
    .uses_dynamic_stack: false
    .vgpr_count:     64
    .vgpr_spill_count: 0
    .wavefront_size: 32
    .workgroup_processor_mode: 1
  - .args:
      - .offset:         0
        .size:           8
        .value_kind:     by_value
      - .offset:         8
        .size:           4
        .value_kind:     by_value
      - .offset:         16
        .size:           8
        .value_kind:     by_value
      - .offset:         24
        .size:           8
        .value_kind:     by_value
      - .actual_access:  read_only
        .address_space:  global
        .offset:         32
        .size:           8
        .value_kind:     global_buffer
      - .actual_access:  read_only
        .address_space:  global
        .offset:         40
        .size:           8
        .value_kind:     global_buffer
      - .actual_access:  read_only
        .address_space:  global
        .offset:         48
        .size:           8
        .value_kind:     global_buffer
      - .actual_access:  read_only
        .address_space:  global
        .offset:         56
        .size:           8
        .value_kind:     global_buffer
      - .actual_access:  read_only
        .address_space:  global
        .offset:         64
        .size:           8
        .value_kind:     global_buffer
      - .actual_access:  read_only
        .address_space:  global
        .offset:         72
        .size:           8
        .value_kind:     global_buffer
      - .offset:         80
        .size:           8
        .value_kind:     by_value
      - .address_space:  global
        .offset:         88
        .size:           8
        .value_kind:     global_buffer
      - .offset:         96
        .size:           4
        .value_kind:     by_value
      - .offset:         100
        .size:           1
        .value_kind:     by_value
    .group_segment_fixed_size: 0
    .kernarg_segment_align: 8
    .kernarg_segment_size: 104
    .language:       OpenCL C
    .language_version:
      - 2
      - 0
    .max_flat_workgroup_size: 128
    .name:           _ZN9rocsparseL18bsrxmvn_4x4_kernelILj128ELj16EfllDF16_DF16_fEEvT3_20rocsparse_direction_NS_24const_host_device_scalarIT1_EES1_PKS1_PKT2_SA_S7_PKT4_PKT5_S5_PT6_21rocsparse_index_base_b
    .private_segment_fixed_size: 0
    .sgpr_count:     22
    .sgpr_spill_count: 0
    .symbol:         _ZN9rocsparseL18bsrxmvn_4x4_kernelILj128ELj16EfllDF16_DF16_fEEvT3_20rocsparse_direction_NS_24const_host_device_scalarIT1_EES1_PKS1_PKT2_SA_S7_PKT4_PKT5_S5_PT6_21rocsparse_index_base_b.kd
    .uniform_work_group_size: 1
    .uses_dynamic_stack: false
    .vgpr_count:     64
    .vgpr_spill_count: 0
    .wavefront_size: 32
    .workgroup_processor_mode: 1
  - .args:
      - .offset:         0
        .size:           8
        .value_kind:     by_value
      - .offset:         8
        .size:           4
        .value_kind:     by_value
      - .offset:         16
        .size:           8
        .value_kind:     by_value
      - .offset:         24
        .size:           8
        .value_kind:     by_value
      - .actual_access:  read_only
        .address_space:  global
        .offset:         32
        .size:           8
        .value_kind:     global_buffer
      - .actual_access:  read_only
        .address_space:  global
        .offset:         40
        .size:           8
        .value_kind:     global_buffer
      - .actual_access:  read_only
        .address_space:  global
        .offset:         48
        .size:           8
        .value_kind:     global_buffer
      - .actual_access:  read_only
        .address_space:  global
        .offset:         56
        .size:           8
        .value_kind:     global_buffer
      - .actual_access:  read_only
        .address_space:  global
        .offset:         64
        .size:           8
        .value_kind:     global_buffer
      - .actual_access:  read_only
        .address_space:  global
        .offset:         72
        .size:           8
        .value_kind:     global_buffer
      - .offset:         80
        .size:           8
        .value_kind:     by_value
      - .address_space:  global
        .offset:         88
        .size:           8
        .value_kind:     global_buffer
      - .offset:         96
        .size:           4
        .value_kind:     by_value
      - .offset:         100
        .size:           1
        .value_kind:     by_value
    .group_segment_fixed_size: 0
    .kernarg_segment_align: 8
    .kernarg_segment_size: 104
    .language:       OpenCL C
    .language_version:
      - 2
      - 0
    .max_flat_workgroup_size: 128
    .name:           _ZN9rocsparseL18bsrxmvn_4x4_kernelILj128ELj32EfllDF16_DF16_fEEvT3_20rocsparse_direction_NS_24const_host_device_scalarIT1_EES1_PKS1_PKT2_SA_S7_PKT4_PKT5_S5_PT6_21rocsparse_index_base_b
    .private_segment_fixed_size: 0
    .sgpr_count:     22
    .sgpr_spill_count: 0
    .symbol:         _ZN9rocsparseL18bsrxmvn_4x4_kernelILj128ELj32EfllDF16_DF16_fEEvT3_20rocsparse_direction_NS_24const_host_device_scalarIT1_EES1_PKS1_PKT2_SA_S7_PKT4_PKT5_S5_PT6_21rocsparse_index_base_b.kd
    .uniform_work_group_size: 1
    .uses_dynamic_stack: false
    .vgpr_count:     64
    .vgpr_spill_count: 0
    .wavefront_size: 32
    .workgroup_processor_mode: 1
  - .args:
      - .offset:         0
        .size:           8
        .value_kind:     by_value
      - .offset:         8
        .size:           4
        .value_kind:     by_value
      - .offset:         16
        .size:           8
        .value_kind:     by_value
      - .offset:         24
        .size:           8
        .value_kind:     by_value
      - .actual_access:  read_only
        .address_space:  global
        .offset:         32
        .size:           8
        .value_kind:     global_buffer
      - .actual_access:  read_only
        .address_space:  global
        .offset:         40
        .size:           8
        .value_kind:     global_buffer
      - .actual_access:  read_only
        .address_space:  global
        .offset:         48
        .size:           8
        .value_kind:     global_buffer
      - .actual_access:  read_only
        .address_space:  global
        .offset:         56
        .size:           8
        .value_kind:     global_buffer
      - .actual_access:  read_only
        .address_space:  global
        .offset:         64
        .size:           8
        .value_kind:     global_buffer
      - .actual_access:  read_only
        .address_space:  global
        .offset:         72
        .size:           8
        .value_kind:     global_buffer
      - .offset:         80
        .size:           8
        .value_kind:     by_value
      - .address_space:  global
        .offset:         88
        .size:           8
        .value_kind:     global_buffer
      - .offset:         96
        .size:           4
        .value_kind:     by_value
      - .offset:         100
        .size:           1
        .value_kind:     by_value
    .group_segment_fixed_size: 0
    .kernarg_segment_align: 8
    .kernarg_segment_size: 104
    .language:       OpenCL C
    .language_version:
      - 2
      - 0
    .max_flat_workgroup_size: 128
    .name:           _ZN9rocsparseL18bsrxmvn_4x4_kernelILj128ELj64EfllDF16_DF16_fEEvT3_20rocsparse_direction_NS_24const_host_device_scalarIT1_EES1_PKS1_PKT2_SA_S7_PKT4_PKT5_S5_PT6_21rocsparse_index_base_b
    .private_segment_fixed_size: 0
    .sgpr_count:     22
    .sgpr_spill_count: 0
    .symbol:         _ZN9rocsparseL18bsrxmvn_4x4_kernelILj128ELj64EfllDF16_DF16_fEEvT3_20rocsparse_direction_NS_24const_host_device_scalarIT1_EES1_PKS1_PKT2_SA_S7_PKT4_PKT5_S5_PT6_21rocsparse_index_base_b.kd
    .uniform_work_group_size: 1
    .uses_dynamic_stack: false
    .vgpr_count:     64
    .vgpr_spill_count: 0
    .wavefront_size: 32
    .workgroup_processor_mode: 1
  - .args:
      - .offset:         0
        .size:           4
        .value_kind:     by_value
      - .offset:         4
        .size:           4
        .value_kind:     by_value
      - .offset:         8
        .size:           8
        .value_kind:     by_value
      - .offset:         16
        .size:           4
        .value_kind:     by_value
      - .actual_access:  read_only
        .address_space:  global
        .offset:         24
        .size:           8
        .value_kind:     global_buffer
      - .actual_access:  read_only
        .address_space:  global
        .offset:         32
        .size:           8
        .value_kind:     global_buffer
      - .actual_access:  read_only
        .address_space:  global
        .offset:         40
        .size:           8
        .value_kind:     global_buffer
      - .actual_access:  read_only
        .address_space:  global
        .offset:         48
        .size:           8
        .value_kind:     global_buffer
      - .actual_access:  read_only
        .address_space:  global
        .offset:         56
        .size:           8
        .value_kind:     global_buffer
      - .actual_access:  read_only
        .address_space:  global
        .offset:         64
        .size:           8
        .value_kind:     global_buffer
      - .offset:         72
        .size:           8
        .value_kind:     by_value
      - .address_space:  global
        .offset:         80
        .size:           8
        .value_kind:     global_buffer
      - .offset:         88
        .size:           4
        .value_kind:     by_value
      - .offset:         92
        .size:           1
        .value_kind:     by_value
    .group_segment_fixed_size: 0
    .kernarg_segment_align: 8
    .kernarg_segment_size: 96
    .language:       OpenCL C
    .language_version:
      - 2
      - 0
    .max_flat_workgroup_size: 128
    .name:           _ZN9rocsparseL18bsrxmvn_4x4_kernelILj128ELj4Efii18rocsparse_bfloat16S1_fEEvT3_20rocsparse_direction_NS_24const_host_device_scalarIT1_EES2_PKS2_PKT2_SB_S8_PKT4_PKT5_S6_PT6_21rocsparse_index_base_b
    .private_segment_fixed_size: 0
    .sgpr_count:     22
    .sgpr_spill_count: 0
    .symbol:         _ZN9rocsparseL18bsrxmvn_4x4_kernelILj128ELj4Efii18rocsparse_bfloat16S1_fEEvT3_20rocsparse_direction_NS_24const_host_device_scalarIT1_EES2_PKS2_PKT2_SB_S8_PKT4_PKT5_S6_PT6_21rocsparse_index_base_b.kd
    .uniform_work_group_size: 1
    .uses_dynamic_stack: false
    .vgpr_count:     87
    .vgpr_spill_count: 0
    .wavefront_size: 32
    .workgroup_processor_mode: 1
  - .args:
      - .offset:         0
        .size:           4
        .value_kind:     by_value
      - .offset:         4
        .size:           4
        .value_kind:     by_value
      - .offset:         8
        .size:           8
        .value_kind:     by_value
      - .offset:         16
        .size:           4
        .value_kind:     by_value
      - .actual_access:  read_only
        .address_space:  global
        .offset:         24
        .size:           8
        .value_kind:     global_buffer
      - .actual_access:  read_only
        .address_space:  global
        .offset:         32
        .size:           8
        .value_kind:     global_buffer
      - .actual_access:  read_only
        .address_space:  global
        .offset:         40
        .size:           8
        .value_kind:     global_buffer
      - .actual_access:  read_only
        .address_space:  global
        .offset:         48
        .size:           8
        .value_kind:     global_buffer
      - .actual_access:  read_only
        .address_space:  global
        .offset:         56
        .size:           8
        .value_kind:     global_buffer
      - .actual_access:  read_only
        .address_space:  global
        .offset:         64
        .size:           8
        .value_kind:     global_buffer
      - .offset:         72
        .size:           8
        .value_kind:     by_value
      - .address_space:  global
        .offset:         80
        .size:           8
        .value_kind:     global_buffer
      - .offset:         88
        .size:           4
        .value_kind:     by_value
      - .offset:         92
        .size:           1
        .value_kind:     by_value
    .group_segment_fixed_size: 0
    .kernarg_segment_align: 8
    .kernarg_segment_size: 96
    .language:       OpenCL C
    .language_version:
      - 2
      - 0
    .max_flat_workgroup_size: 128
    .name:           _ZN9rocsparseL18bsrxmvn_4x4_kernelILj128ELj8Efii18rocsparse_bfloat16S1_fEEvT3_20rocsparse_direction_NS_24const_host_device_scalarIT1_EES2_PKS2_PKT2_SB_S8_PKT4_PKT5_S6_PT6_21rocsparse_index_base_b
    .private_segment_fixed_size: 0
    .sgpr_count:     22
    .sgpr_spill_count: 0
    .symbol:         _ZN9rocsparseL18bsrxmvn_4x4_kernelILj128ELj8Efii18rocsparse_bfloat16S1_fEEvT3_20rocsparse_direction_NS_24const_host_device_scalarIT1_EES2_PKS2_PKT2_SB_S8_PKT4_PKT5_S6_PT6_21rocsparse_index_base_b.kd
    .uniform_work_group_size: 1
    .uses_dynamic_stack: false
    .vgpr_count:     87
    .vgpr_spill_count: 0
    .wavefront_size: 32
    .workgroup_processor_mode: 1
  - .args:
      - .offset:         0
        .size:           4
        .value_kind:     by_value
      - .offset:         4
        .size:           4
        .value_kind:     by_value
      - .offset:         8
        .size:           8
        .value_kind:     by_value
      - .offset:         16
        .size:           4
        .value_kind:     by_value
      - .actual_access:  read_only
        .address_space:  global
        .offset:         24
        .size:           8
        .value_kind:     global_buffer
      - .actual_access:  read_only
        .address_space:  global
        .offset:         32
        .size:           8
        .value_kind:     global_buffer
      - .actual_access:  read_only
        .address_space:  global
        .offset:         40
        .size:           8
        .value_kind:     global_buffer
      - .actual_access:  read_only
        .address_space:  global
        .offset:         48
        .size:           8
        .value_kind:     global_buffer
      - .actual_access:  read_only
        .address_space:  global
        .offset:         56
        .size:           8
        .value_kind:     global_buffer
      - .actual_access:  read_only
        .address_space:  global
        .offset:         64
        .size:           8
        .value_kind:     global_buffer
      - .offset:         72
        .size:           8
        .value_kind:     by_value
      - .address_space:  global
        .offset:         80
        .size:           8
        .value_kind:     global_buffer
      - .offset:         88
        .size:           4
        .value_kind:     by_value
      - .offset:         92
        .size:           1
        .value_kind:     by_value
    .group_segment_fixed_size: 0
    .kernarg_segment_align: 8
    .kernarg_segment_size: 96
    .language:       OpenCL C
    .language_version:
      - 2
      - 0
    .max_flat_workgroup_size: 128
    .name:           _ZN9rocsparseL18bsrxmvn_4x4_kernelILj128ELj16Efii18rocsparse_bfloat16S1_fEEvT3_20rocsparse_direction_NS_24const_host_device_scalarIT1_EES2_PKS2_PKT2_SB_S8_PKT4_PKT5_S6_PT6_21rocsparse_index_base_b
    .private_segment_fixed_size: 0
    .sgpr_count:     22
    .sgpr_spill_count: 0
    .symbol:         _ZN9rocsparseL18bsrxmvn_4x4_kernelILj128ELj16Efii18rocsparse_bfloat16S1_fEEvT3_20rocsparse_direction_NS_24const_host_device_scalarIT1_EES2_PKS2_PKT2_SB_S8_PKT4_PKT5_S6_PT6_21rocsparse_index_base_b.kd
    .uniform_work_group_size: 1
    .uses_dynamic_stack: false
    .vgpr_count:     87
    .vgpr_spill_count: 0
    .wavefront_size: 32
    .workgroup_processor_mode: 1
  - .args:
      - .offset:         0
        .size:           4
        .value_kind:     by_value
      - .offset:         4
        .size:           4
        .value_kind:     by_value
      - .offset:         8
        .size:           8
        .value_kind:     by_value
      - .offset:         16
        .size:           4
        .value_kind:     by_value
      - .actual_access:  read_only
        .address_space:  global
        .offset:         24
        .size:           8
        .value_kind:     global_buffer
      - .actual_access:  read_only
        .address_space:  global
        .offset:         32
        .size:           8
        .value_kind:     global_buffer
      - .actual_access:  read_only
        .address_space:  global
        .offset:         40
        .size:           8
        .value_kind:     global_buffer
      - .actual_access:  read_only
        .address_space:  global
        .offset:         48
        .size:           8
        .value_kind:     global_buffer
      - .actual_access:  read_only
        .address_space:  global
        .offset:         56
        .size:           8
        .value_kind:     global_buffer
      - .actual_access:  read_only
        .address_space:  global
        .offset:         64
        .size:           8
        .value_kind:     global_buffer
      - .offset:         72
        .size:           8
        .value_kind:     by_value
      - .address_space:  global
        .offset:         80
        .size:           8
        .value_kind:     global_buffer
      - .offset:         88
        .size:           4
        .value_kind:     by_value
      - .offset:         92
        .size:           1
        .value_kind:     by_value
    .group_segment_fixed_size: 0
    .kernarg_segment_align: 8
    .kernarg_segment_size: 96
    .language:       OpenCL C
    .language_version:
      - 2
      - 0
    .max_flat_workgroup_size: 128
    .name:           _ZN9rocsparseL18bsrxmvn_4x4_kernelILj128ELj32Efii18rocsparse_bfloat16S1_fEEvT3_20rocsparse_direction_NS_24const_host_device_scalarIT1_EES2_PKS2_PKT2_SB_S8_PKT4_PKT5_S6_PT6_21rocsparse_index_base_b
    .private_segment_fixed_size: 0
    .sgpr_count:     22
    .sgpr_spill_count: 0
    .symbol:         _ZN9rocsparseL18bsrxmvn_4x4_kernelILj128ELj32Efii18rocsparse_bfloat16S1_fEEvT3_20rocsparse_direction_NS_24const_host_device_scalarIT1_EES2_PKS2_PKT2_SB_S8_PKT4_PKT5_S6_PT6_21rocsparse_index_base_b.kd
    .uniform_work_group_size: 1
    .uses_dynamic_stack: false
    .vgpr_count:     87
    .vgpr_spill_count: 0
    .wavefront_size: 32
    .workgroup_processor_mode: 1
  - .args:
      - .offset:         0
        .size:           4
        .value_kind:     by_value
      - .offset:         4
        .size:           4
        .value_kind:     by_value
      - .offset:         8
        .size:           8
        .value_kind:     by_value
      - .offset:         16
        .size:           4
        .value_kind:     by_value
      - .actual_access:  read_only
        .address_space:  global
        .offset:         24
        .size:           8
        .value_kind:     global_buffer
      - .actual_access:  read_only
        .address_space:  global
        .offset:         32
        .size:           8
        .value_kind:     global_buffer
      - .actual_access:  read_only
        .address_space:  global
        .offset:         40
        .size:           8
        .value_kind:     global_buffer
      - .actual_access:  read_only
        .address_space:  global
        .offset:         48
        .size:           8
        .value_kind:     global_buffer
      - .actual_access:  read_only
        .address_space:  global
        .offset:         56
        .size:           8
        .value_kind:     global_buffer
      - .actual_access:  read_only
        .address_space:  global
        .offset:         64
        .size:           8
        .value_kind:     global_buffer
      - .offset:         72
        .size:           8
        .value_kind:     by_value
      - .address_space:  global
        .offset:         80
        .size:           8
        .value_kind:     global_buffer
      - .offset:         88
        .size:           4
        .value_kind:     by_value
      - .offset:         92
        .size:           1
        .value_kind:     by_value
    .group_segment_fixed_size: 0
    .kernarg_segment_align: 8
    .kernarg_segment_size: 96
    .language:       OpenCL C
    .language_version:
      - 2
      - 0
    .max_flat_workgroup_size: 128
    .name:           _ZN9rocsparseL18bsrxmvn_4x4_kernelILj128ELj64Efii18rocsparse_bfloat16S1_fEEvT3_20rocsparse_direction_NS_24const_host_device_scalarIT1_EES2_PKS2_PKT2_SB_S8_PKT4_PKT5_S6_PT6_21rocsparse_index_base_b
    .private_segment_fixed_size: 0
    .sgpr_count:     22
    .sgpr_spill_count: 0
    .symbol:         _ZN9rocsparseL18bsrxmvn_4x4_kernelILj128ELj64Efii18rocsparse_bfloat16S1_fEEvT3_20rocsparse_direction_NS_24const_host_device_scalarIT1_EES2_PKS2_PKT2_SB_S8_PKT4_PKT5_S6_PT6_21rocsparse_index_base_b.kd
    .uniform_work_group_size: 1
    .uses_dynamic_stack: false
    .vgpr_count:     87
    .vgpr_spill_count: 0
    .wavefront_size: 32
    .workgroup_processor_mode: 1
  - .args:
      - .offset:         0
        .size:           4
        .value_kind:     by_value
      - .offset:         4
        .size:           4
        .value_kind:     by_value
      - .offset:         8
        .size:           8
        .value_kind:     by_value
      - .offset:         16
        .size:           4
        .value_kind:     by_value
      - .actual_access:  read_only
        .address_space:  global
        .offset:         24
        .size:           8
        .value_kind:     global_buffer
      - .actual_access:  read_only
        .address_space:  global
        .offset:         32
        .size:           8
        .value_kind:     global_buffer
      - .actual_access:  read_only
        .address_space:  global
        .offset:         40
        .size:           8
        .value_kind:     global_buffer
      - .actual_access:  read_only
        .address_space:  global
        .offset:         48
        .size:           8
        .value_kind:     global_buffer
      - .actual_access:  read_only
        .address_space:  global
        .offset:         56
        .size:           8
        .value_kind:     global_buffer
      - .actual_access:  read_only
        .address_space:  global
        .offset:         64
        .size:           8
        .value_kind:     global_buffer
      - .offset:         72
        .size:           8
        .value_kind:     by_value
      - .address_space:  global
        .offset:         80
        .size:           8
        .value_kind:     global_buffer
      - .offset:         88
        .size:           4
        .value_kind:     by_value
      - .offset:         92
        .size:           1
        .value_kind:     by_value
    .group_segment_fixed_size: 0
    .kernarg_segment_align: 8
    .kernarg_segment_size: 96
    .language:       OpenCL C
    .language_version:
      - 2
      - 0
    .max_flat_workgroup_size: 128
    .name:           _ZN9rocsparseL18bsrxmvn_4x4_kernelILj128ELj4Efli18rocsparse_bfloat16S1_fEEvT3_20rocsparse_direction_NS_24const_host_device_scalarIT1_EES2_PKS2_PKT2_SB_S8_PKT4_PKT5_S6_PT6_21rocsparse_index_base_b
    .private_segment_fixed_size: 0
    .sgpr_count:     22
    .sgpr_spill_count: 0
    .symbol:         _ZN9rocsparseL18bsrxmvn_4x4_kernelILj128ELj4Efli18rocsparse_bfloat16S1_fEEvT3_20rocsparse_direction_NS_24const_host_device_scalarIT1_EES2_PKS2_PKT2_SB_S8_PKT4_PKT5_S6_PT6_21rocsparse_index_base_b.kd
    .uniform_work_group_size: 1
    .uses_dynamic_stack: false
    .vgpr_count:     93
    .vgpr_spill_count: 0
    .wavefront_size: 32
    .workgroup_processor_mode: 1
  - .args:
      - .offset:         0
        .size:           4
        .value_kind:     by_value
      - .offset:         4
        .size:           4
        .value_kind:     by_value
      - .offset:         8
        .size:           8
        .value_kind:     by_value
      - .offset:         16
        .size:           4
        .value_kind:     by_value
      - .actual_access:  read_only
        .address_space:  global
        .offset:         24
        .size:           8
        .value_kind:     global_buffer
      - .actual_access:  read_only
        .address_space:  global
        .offset:         32
        .size:           8
        .value_kind:     global_buffer
      - .actual_access:  read_only
        .address_space:  global
        .offset:         40
        .size:           8
        .value_kind:     global_buffer
      - .actual_access:  read_only
        .address_space:  global
        .offset:         48
        .size:           8
        .value_kind:     global_buffer
      - .actual_access:  read_only
        .address_space:  global
        .offset:         56
        .size:           8
        .value_kind:     global_buffer
      - .actual_access:  read_only
        .address_space:  global
        .offset:         64
        .size:           8
        .value_kind:     global_buffer
      - .offset:         72
        .size:           8
        .value_kind:     by_value
      - .address_space:  global
        .offset:         80
        .size:           8
        .value_kind:     global_buffer
      - .offset:         88
        .size:           4
        .value_kind:     by_value
      - .offset:         92
        .size:           1
        .value_kind:     by_value
    .group_segment_fixed_size: 0
    .kernarg_segment_align: 8
    .kernarg_segment_size: 96
    .language:       OpenCL C
    .language_version:
      - 2
      - 0
    .max_flat_workgroup_size: 128
    .name:           _ZN9rocsparseL18bsrxmvn_4x4_kernelILj128ELj8Efli18rocsparse_bfloat16S1_fEEvT3_20rocsparse_direction_NS_24const_host_device_scalarIT1_EES2_PKS2_PKT2_SB_S8_PKT4_PKT5_S6_PT6_21rocsparse_index_base_b
    .private_segment_fixed_size: 0
    .sgpr_count:     22
    .sgpr_spill_count: 0
    .symbol:         _ZN9rocsparseL18bsrxmvn_4x4_kernelILj128ELj8Efli18rocsparse_bfloat16S1_fEEvT3_20rocsparse_direction_NS_24const_host_device_scalarIT1_EES2_PKS2_PKT2_SB_S8_PKT4_PKT5_S6_PT6_21rocsparse_index_base_b.kd
    .uniform_work_group_size: 1
    .uses_dynamic_stack: false
    .vgpr_count:     93
    .vgpr_spill_count: 0
    .wavefront_size: 32
    .workgroup_processor_mode: 1
  - .args:
      - .offset:         0
        .size:           4
        .value_kind:     by_value
      - .offset:         4
        .size:           4
        .value_kind:     by_value
      - .offset:         8
        .size:           8
        .value_kind:     by_value
      - .offset:         16
        .size:           4
        .value_kind:     by_value
      - .actual_access:  read_only
        .address_space:  global
        .offset:         24
        .size:           8
        .value_kind:     global_buffer
      - .actual_access:  read_only
        .address_space:  global
        .offset:         32
        .size:           8
        .value_kind:     global_buffer
      - .actual_access:  read_only
        .address_space:  global
        .offset:         40
        .size:           8
        .value_kind:     global_buffer
      - .actual_access:  read_only
        .address_space:  global
        .offset:         48
        .size:           8
        .value_kind:     global_buffer
      - .actual_access:  read_only
        .address_space:  global
        .offset:         56
        .size:           8
        .value_kind:     global_buffer
      - .actual_access:  read_only
        .address_space:  global
        .offset:         64
        .size:           8
        .value_kind:     global_buffer
      - .offset:         72
        .size:           8
        .value_kind:     by_value
      - .address_space:  global
        .offset:         80
        .size:           8
        .value_kind:     global_buffer
      - .offset:         88
        .size:           4
        .value_kind:     by_value
      - .offset:         92
        .size:           1
        .value_kind:     by_value
    .group_segment_fixed_size: 0
    .kernarg_segment_align: 8
    .kernarg_segment_size: 96
    .language:       OpenCL C
    .language_version:
      - 2
      - 0
    .max_flat_workgroup_size: 128
    .name:           _ZN9rocsparseL18bsrxmvn_4x4_kernelILj128ELj16Efli18rocsparse_bfloat16S1_fEEvT3_20rocsparse_direction_NS_24const_host_device_scalarIT1_EES2_PKS2_PKT2_SB_S8_PKT4_PKT5_S6_PT6_21rocsparse_index_base_b
    .private_segment_fixed_size: 0
    .sgpr_count:     22
    .sgpr_spill_count: 0
    .symbol:         _ZN9rocsparseL18bsrxmvn_4x4_kernelILj128ELj16Efli18rocsparse_bfloat16S1_fEEvT3_20rocsparse_direction_NS_24const_host_device_scalarIT1_EES2_PKS2_PKT2_SB_S8_PKT4_PKT5_S6_PT6_21rocsparse_index_base_b.kd
    .uniform_work_group_size: 1
    .uses_dynamic_stack: false
    .vgpr_count:     93
    .vgpr_spill_count: 0
    .wavefront_size: 32
    .workgroup_processor_mode: 1
  - .args:
      - .offset:         0
        .size:           4
        .value_kind:     by_value
      - .offset:         4
        .size:           4
        .value_kind:     by_value
      - .offset:         8
        .size:           8
        .value_kind:     by_value
      - .offset:         16
        .size:           4
        .value_kind:     by_value
      - .actual_access:  read_only
        .address_space:  global
        .offset:         24
        .size:           8
        .value_kind:     global_buffer
      - .actual_access:  read_only
        .address_space:  global
        .offset:         32
        .size:           8
        .value_kind:     global_buffer
      - .actual_access:  read_only
        .address_space:  global
        .offset:         40
        .size:           8
        .value_kind:     global_buffer
      - .actual_access:  read_only
        .address_space:  global
        .offset:         48
        .size:           8
        .value_kind:     global_buffer
      - .actual_access:  read_only
        .address_space:  global
        .offset:         56
        .size:           8
        .value_kind:     global_buffer
      - .actual_access:  read_only
        .address_space:  global
        .offset:         64
        .size:           8
        .value_kind:     global_buffer
      - .offset:         72
        .size:           8
        .value_kind:     by_value
      - .address_space:  global
        .offset:         80
        .size:           8
        .value_kind:     global_buffer
      - .offset:         88
        .size:           4
        .value_kind:     by_value
      - .offset:         92
        .size:           1
        .value_kind:     by_value
    .group_segment_fixed_size: 0
    .kernarg_segment_align: 8
    .kernarg_segment_size: 96
    .language:       OpenCL C
    .language_version:
      - 2
      - 0
    .max_flat_workgroup_size: 128
    .name:           _ZN9rocsparseL18bsrxmvn_4x4_kernelILj128ELj32Efli18rocsparse_bfloat16S1_fEEvT3_20rocsparse_direction_NS_24const_host_device_scalarIT1_EES2_PKS2_PKT2_SB_S8_PKT4_PKT5_S6_PT6_21rocsparse_index_base_b
    .private_segment_fixed_size: 0
    .sgpr_count:     22
    .sgpr_spill_count: 0
    .symbol:         _ZN9rocsparseL18bsrxmvn_4x4_kernelILj128ELj32Efli18rocsparse_bfloat16S1_fEEvT3_20rocsparse_direction_NS_24const_host_device_scalarIT1_EES2_PKS2_PKT2_SB_S8_PKT4_PKT5_S6_PT6_21rocsparse_index_base_b.kd
    .uniform_work_group_size: 1
    .uses_dynamic_stack: false
    .vgpr_count:     93
    .vgpr_spill_count: 0
    .wavefront_size: 32
    .workgroup_processor_mode: 1
  - .args:
      - .offset:         0
        .size:           4
        .value_kind:     by_value
      - .offset:         4
        .size:           4
        .value_kind:     by_value
      - .offset:         8
        .size:           8
        .value_kind:     by_value
      - .offset:         16
        .size:           4
        .value_kind:     by_value
      - .actual_access:  read_only
        .address_space:  global
        .offset:         24
        .size:           8
        .value_kind:     global_buffer
      - .actual_access:  read_only
        .address_space:  global
        .offset:         32
        .size:           8
        .value_kind:     global_buffer
      - .actual_access:  read_only
        .address_space:  global
        .offset:         40
        .size:           8
        .value_kind:     global_buffer
      - .actual_access:  read_only
        .address_space:  global
        .offset:         48
        .size:           8
        .value_kind:     global_buffer
      - .actual_access:  read_only
        .address_space:  global
        .offset:         56
        .size:           8
        .value_kind:     global_buffer
      - .actual_access:  read_only
        .address_space:  global
        .offset:         64
        .size:           8
        .value_kind:     global_buffer
      - .offset:         72
        .size:           8
        .value_kind:     by_value
      - .address_space:  global
        .offset:         80
        .size:           8
        .value_kind:     global_buffer
      - .offset:         88
        .size:           4
        .value_kind:     by_value
      - .offset:         92
        .size:           1
        .value_kind:     by_value
    .group_segment_fixed_size: 0
    .kernarg_segment_align: 8
    .kernarg_segment_size: 96
    .language:       OpenCL C
    .language_version:
      - 2
      - 0
    .max_flat_workgroup_size: 128
    .name:           _ZN9rocsparseL18bsrxmvn_4x4_kernelILj128ELj64Efli18rocsparse_bfloat16S1_fEEvT3_20rocsparse_direction_NS_24const_host_device_scalarIT1_EES2_PKS2_PKT2_SB_S8_PKT4_PKT5_S6_PT6_21rocsparse_index_base_b
    .private_segment_fixed_size: 0
    .sgpr_count:     22
    .sgpr_spill_count: 0
    .symbol:         _ZN9rocsparseL18bsrxmvn_4x4_kernelILj128ELj64Efli18rocsparse_bfloat16S1_fEEvT3_20rocsparse_direction_NS_24const_host_device_scalarIT1_EES2_PKS2_PKT2_SB_S8_PKT4_PKT5_S6_PT6_21rocsparse_index_base_b.kd
    .uniform_work_group_size: 1
    .uses_dynamic_stack: false
    .vgpr_count:     93
    .vgpr_spill_count: 0
    .wavefront_size: 32
    .workgroup_processor_mode: 1
  - .args:
      - .offset:         0
        .size:           8
        .value_kind:     by_value
      - .offset:         8
        .size:           4
        .value_kind:     by_value
      - .offset:         16
        .size:           8
        .value_kind:     by_value
      - .offset:         24
        .size:           8
        .value_kind:     by_value
      - .actual_access:  read_only
        .address_space:  global
        .offset:         32
        .size:           8
        .value_kind:     global_buffer
      - .actual_access:  read_only
        .address_space:  global
        .offset:         40
        .size:           8
        .value_kind:     global_buffer
      - .actual_access:  read_only
        .address_space:  global
        .offset:         48
        .size:           8
        .value_kind:     global_buffer
      - .actual_access:  read_only
        .address_space:  global
        .offset:         56
        .size:           8
        .value_kind:     global_buffer
      - .actual_access:  read_only
        .address_space:  global
        .offset:         64
        .size:           8
        .value_kind:     global_buffer
      - .actual_access:  read_only
        .address_space:  global
        .offset:         72
        .size:           8
        .value_kind:     global_buffer
      - .offset:         80
        .size:           8
        .value_kind:     by_value
      - .address_space:  global
        .offset:         88
        .size:           8
        .value_kind:     global_buffer
      - .offset:         96
        .size:           4
        .value_kind:     by_value
      - .offset:         100
        .size:           1
        .value_kind:     by_value
    .group_segment_fixed_size: 0
    .kernarg_segment_align: 8
    .kernarg_segment_size: 104
    .language:       OpenCL C
    .language_version:
      - 2
      - 0
    .max_flat_workgroup_size: 128
    .name:           _ZN9rocsparseL18bsrxmvn_4x4_kernelILj128ELj4Efll18rocsparse_bfloat16S1_fEEvT3_20rocsparse_direction_NS_24const_host_device_scalarIT1_EES2_PKS2_PKT2_SB_S8_PKT4_PKT5_S6_PT6_21rocsparse_index_base_b
    .private_segment_fixed_size: 0
    .sgpr_count:     22
    .sgpr_spill_count: 0
    .symbol:         _ZN9rocsparseL18bsrxmvn_4x4_kernelILj128ELj4Efll18rocsparse_bfloat16S1_fEEvT3_20rocsparse_direction_NS_24const_host_device_scalarIT1_EES2_PKS2_PKT2_SB_S8_PKT4_PKT5_S6_PT6_21rocsparse_index_base_b.kd
    .uniform_work_group_size: 1
    .uses_dynamic_stack: false
    .vgpr_count:     96
    .vgpr_spill_count: 0
    .wavefront_size: 32
    .workgroup_processor_mode: 1
  - .args:
      - .offset:         0
        .size:           8
        .value_kind:     by_value
      - .offset:         8
        .size:           4
        .value_kind:     by_value
      - .offset:         16
        .size:           8
        .value_kind:     by_value
      - .offset:         24
        .size:           8
        .value_kind:     by_value
      - .actual_access:  read_only
        .address_space:  global
        .offset:         32
        .size:           8
        .value_kind:     global_buffer
      - .actual_access:  read_only
        .address_space:  global
        .offset:         40
        .size:           8
        .value_kind:     global_buffer
      - .actual_access:  read_only
        .address_space:  global
        .offset:         48
        .size:           8
        .value_kind:     global_buffer
      - .actual_access:  read_only
        .address_space:  global
        .offset:         56
        .size:           8
        .value_kind:     global_buffer
      - .actual_access:  read_only
        .address_space:  global
        .offset:         64
        .size:           8
        .value_kind:     global_buffer
      - .actual_access:  read_only
        .address_space:  global
        .offset:         72
        .size:           8
        .value_kind:     global_buffer
      - .offset:         80
        .size:           8
        .value_kind:     by_value
      - .address_space:  global
        .offset:         88
        .size:           8
        .value_kind:     global_buffer
      - .offset:         96
        .size:           4
        .value_kind:     by_value
      - .offset:         100
        .size:           1
        .value_kind:     by_value
    .group_segment_fixed_size: 0
    .kernarg_segment_align: 8
    .kernarg_segment_size: 104
    .language:       OpenCL C
    .language_version:
      - 2
      - 0
    .max_flat_workgroup_size: 128
    .name:           _ZN9rocsparseL18bsrxmvn_4x4_kernelILj128ELj8Efll18rocsparse_bfloat16S1_fEEvT3_20rocsparse_direction_NS_24const_host_device_scalarIT1_EES2_PKS2_PKT2_SB_S8_PKT4_PKT5_S6_PT6_21rocsparse_index_base_b
    .private_segment_fixed_size: 0
    .sgpr_count:     22
    .sgpr_spill_count: 0
    .symbol:         _ZN9rocsparseL18bsrxmvn_4x4_kernelILj128ELj8Efll18rocsparse_bfloat16S1_fEEvT3_20rocsparse_direction_NS_24const_host_device_scalarIT1_EES2_PKS2_PKT2_SB_S8_PKT4_PKT5_S6_PT6_21rocsparse_index_base_b.kd
    .uniform_work_group_size: 1
    .uses_dynamic_stack: false
    .vgpr_count:     96
    .vgpr_spill_count: 0
    .wavefront_size: 32
    .workgroup_processor_mode: 1
  - .args:
      - .offset:         0
        .size:           8
        .value_kind:     by_value
      - .offset:         8
        .size:           4
        .value_kind:     by_value
      - .offset:         16
        .size:           8
        .value_kind:     by_value
      - .offset:         24
        .size:           8
        .value_kind:     by_value
      - .actual_access:  read_only
        .address_space:  global
        .offset:         32
        .size:           8
        .value_kind:     global_buffer
      - .actual_access:  read_only
        .address_space:  global
        .offset:         40
        .size:           8
        .value_kind:     global_buffer
      - .actual_access:  read_only
        .address_space:  global
        .offset:         48
        .size:           8
        .value_kind:     global_buffer
      - .actual_access:  read_only
        .address_space:  global
        .offset:         56
        .size:           8
        .value_kind:     global_buffer
      - .actual_access:  read_only
        .address_space:  global
        .offset:         64
        .size:           8
        .value_kind:     global_buffer
      - .actual_access:  read_only
        .address_space:  global
        .offset:         72
        .size:           8
        .value_kind:     global_buffer
      - .offset:         80
        .size:           8
        .value_kind:     by_value
      - .address_space:  global
        .offset:         88
        .size:           8
        .value_kind:     global_buffer
      - .offset:         96
        .size:           4
        .value_kind:     by_value
      - .offset:         100
        .size:           1
        .value_kind:     by_value
    .group_segment_fixed_size: 0
    .kernarg_segment_align: 8
    .kernarg_segment_size: 104
    .language:       OpenCL C
    .language_version:
      - 2
      - 0
    .max_flat_workgroup_size: 128
    .name:           _ZN9rocsparseL18bsrxmvn_4x4_kernelILj128ELj16Efll18rocsparse_bfloat16S1_fEEvT3_20rocsparse_direction_NS_24const_host_device_scalarIT1_EES2_PKS2_PKT2_SB_S8_PKT4_PKT5_S6_PT6_21rocsparse_index_base_b
    .private_segment_fixed_size: 0
    .sgpr_count:     22
    .sgpr_spill_count: 0
    .symbol:         _ZN9rocsparseL18bsrxmvn_4x4_kernelILj128ELj16Efll18rocsparse_bfloat16S1_fEEvT3_20rocsparse_direction_NS_24const_host_device_scalarIT1_EES2_PKS2_PKT2_SB_S8_PKT4_PKT5_S6_PT6_21rocsparse_index_base_b.kd
    .uniform_work_group_size: 1
    .uses_dynamic_stack: false
    .vgpr_count:     96
    .vgpr_spill_count: 0
    .wavefront_size: 32
    .workgroup_processor_mode: 1
  - .args:
      - .offset:         0
        .size:           8
        .value_kind:     by_value
      - .offset:         8
        .size:           4
        .value_kind:     by_value
      - .offset:         16
        .size:           8
        .value_kind:     by_value
      - .offset:         24
        .size:           8
        .value_kind:     by_value
      - .actual_access:  read_only
        .address_space:  global
        .offset:         32
        .size:           8
        .value_kind:     global_buffer
      - .actual_access:  read_only
        .address_space:  global
        .offset:         40
        .size:           8
        .value_kind:     global_buffer
      - .actual_access:  read_only
        .address_space:  global
        .offset:         48
        .size:           8
        .value_kind:     global_buffer
      - .actual_access:  read_only
        .address_space:  global
        .offset:         56
        .size:           8
        .value_kind:     global_buffer
      - .actual_access:  read_only
        .address_space:  global
        .offset:         64
        .size:           8
        .value_kind:     global_buffer
      - .actual_access:  read_only
        .address_space:  global
        .offset:         72
        .size:           8
        .value_kind:     global_buffer
      - .offset:         80
        .size:           8
        .value_kind:     by_value
      - .address_space:  global
        .offset:         88
        .size:           8
        .value_kind:     global_buffer
      - .offset:         96
        .size:           4
        .value_kind:     by_value
      - .offset:         100
        .size:           1
        .value_kind:     by_value
    .group_segment_fixed_size: 0
    .kernarg_segment_align: 8
    .kernarg_segment_size: 104
    .language:       OpenCL C
    .language_version:
      - 2
      - 0
    .max_flat_workgroup_size: 128
    .name:           _ZN9rocsparseL18bsrxmvn_4x4_kernelILj128ELj32Efll18rocsparse_bfloat16S1_fEEvT3_20rocsparse_direction_NS_24const_host_device_scalarIT1_EES2_PKS2_PKT2_SB_S8_PKT4_PKT5_S6_PT6_21rocsparse_index_base_b
    .private_segment_fixed_size: 0
    .sgpr_count:     22
    .sgpr_spill_count: 0
    .symbol:         _ZN9rocsparseL18bsrxmvn_4x4_kernelILj128ELj32Efll18rocsparse_bfloat16S1_fEEvT3_20rocsparse_direction_NS_24const_host_device_scalarIT1_EES2_PKS2_PKT2_SB_S8_PKT4_PKT5_S6_PT6_21rocsparse_index_base_b.kd
    .uniform_work_group_size: 1
    .uses_dynamic_stack: false
    .vgpr_count:     96
    .vgpr_spill_count: 0
    .wavefront_size: 32
    .workgroup_processor_mode: 1
  - .args:
      - .offset:         0
        .size:           8
        .value_kind:     by_value
      - .offset:         8
        .size:           4
        .value_kind:     by_value
      - .offset:         16
        .size:           8
        .value_kind:     by_value
      - .offset:         24
        .size:           8
        .value_kind:     by_value
      - .actual_access:  read_only
        .address_space:  global
        .offset:         32
        .size:           8
        .value_kind:     global_buffer
      - .actual_access:  read_only
        .address_space:  global
        .offset:         40
        .size:           8
        .value_kind:     global_buffer
      - .actual_access:  read_only
        .address_space:  global
        .offset:         48
        .size:           8
        .value_kind:     global_buffer
      - .actual_access:  read_only
        .address_space:  global
        .offset:         56
        .size:           8
        .value_kind:     global_buffer
      - .actual_access:  read_only
        .address_space:  global
        .offset:         64
        .size:           8
        .value_kind:     global_buffer
      - .actual_access:  read_only
        .address_space:  global
        .offset:         72
        .size:           8
        .value_kind:     global_buffer
      - .offset:         80
        .size:           8
        .value_kind:     by_value
      - .address_space:  global
        .offset:         88
        .size:           8
        .value_kind:     global_buffer
      - .offset:         96
        .size:           4
        .value_kind:     by_value
      - .offset:         100
        .size:           1
        .value_kind:     by_value
    .group_segment_fixed_size: 0
    .kernarg_segment_align: 8
    .kernarg_segment_size: 104
    .language:       OpenCL C
    .language_version:
      - 2
      - 0
    .max_flat_workgroup_size: 128
    .name:           _ZN9rocsparseL18bsrxmvn_4x4_kernelILj128ELj64Efll18rocsparse_bfloat16S1_fEEvT3_20rocsparse_direction_NS_24const_host_device_scalarIT1_EES2_PKS2_PKT2_SB_S8_PKT4_PKT5_S6_PT6_21rocsparse_index_base_b
    .private_segment_fixed_size: 0
    .sgpr_count:     22
    .sgpr_spill_count: 0
    .symbol:         _ZN9rocsparseL18bsrxmvn_4x4_kernelILj128ELj64Efll18rocsparse_bfloat16S1_fEEvT3_20rocsparse_direction_NS_24const_host_device_scalarIT1_EES2_PKS2_PKT2_SB_S8_PKT4_PKT5_S6_PT6_21rocsparse_index_base_b.kd
    .uniform_work_group_size: 1
    .uses_dynamic_stack: false
    .vgpr_count:     96
    .vgpr_spill_count: 0
    .wavefront_size: 32
    .workgroup_processor_mode: 1
  - .args:
      - .offset:         0
        .size:           4
        .value_kind:     by_value
      - .offset:         4
        .size:           4
        .value_kind:     by_value
      - .offset:         8
        .size:           8
        .value_kind:     by_value
      - .offset:         16
        .size:           4
        .value_kind:     by_value
      - .actual_access:  read_only
        .address_space:  global
        .offset:         24
        .size:           8
        .value_kind:     global_buffer
      - .actual_access:  read_only
        .address_space:  global
        .offset:         32
        .size:           8
        .value_kind:     global_buffer
      - .actual_access:  read_only
        .address_space:  global
        .offset:         40
        .size:           8
        .value_kind:     global_buffer
      - .actual_access:  read_only
        .address_space:  global
        .offset:         48
        .size:           8
        .value_kind:     global_buffer
      - .actual_access:  read_only
        .address_space:  global
        .offset:         56
        .size:           8
        .value_kind:     global_buffer
      - .actual_access:  read_only
        .address_space:  global
        .offset:         64
        .size:           8
        .value_kind:     global_buffer
      - .offset:         72
        .size:           8
        .value_kind:     by_value
      - .address_space:  global
        .offset:         80
        .size:           8
        .value_kind:     global_buffer
      - .offset:         88
        .size:           4
        .value_kind:     by_value
      - .offset:         92
        .size:           1
        .value_kind:     by_value
    .group_segment_fixed_size: 0
    .kernarg_segment_align: 8
    .kernarg_segment_size: 96
    .language:       OpenCL C
    .language_version:
      - 2
      - 0
    .max_flat_workgroup_size: 128
    .name:           _ZN9rocsparseL18bsrxmvn_4x4_kernelILj128ELj4E21rocsparse_complex_numIfEiifS2_S2_EEvT3_20rocsparse_direction_NS_24const_host_device_scalarIT1_EES3_PKS3_PKT2_SC_S9_PKT4_PKT5_S7_PT6_21rocsparse_index_base_b
    .private_segment_fixed_size: 0
    .sgpr_count:     18
    .sgpr_spill_count: 0
    .symbol:         _ZN9rocsparseL18bsrxmvn_4x4_kernelILj128ELj4E21rocsparse_complex_numIfEiifS2_S2_EEvT3_20rocsparse_direction_NS_24const_host_device_scalarIT1_EES3_PKS3_PKT2_SC_S9_PKT4_PKT5_S7_PT6_21rocsparse_index_base_b.kd
    .uniform_work_group_size: 1
    .uses_dynamic_stack: false
    .vgpr_count:     104
    .vgpr_spill_count: 0
    .wavefront_size: 32
    .workgroup_processor_mode: 1
  - .args:
      - .offset:         0
        .size:           4
        .value_kind:     by_value
      - .offset:         4
        .size:           4
        .value_kind:     by_value
      - .offset:         8
        .size:           8
        .value_kind:     by_value
      - .offset:         16
        .size:           4
        .value_kind:     by_value
      - .actual_access:  read_only
        .address_space:  global
        .offset:         24
        .size:           8
        .value_kind:     global_buffer
      - .actual_access:  read_only
        .address_space:  global
        .offset:         32
        .size:           8
        .value_kind:     global_buffer
      - .actual_access:  read_only
        .address_space:  global
        .offset:         40
        .size:           8
        .value_kind:     global_buffer
      - .actual_access:  read_only
        .address_space:  global
        .offset:         48
        .size:           8
        .value_kind:     global_buffer
      - .actual_access:  read_only
        .address_space:  global
        .offset:         56
        .size:           8
        .value_kind:     global_buffer
      - .actual_access:  read_only
        .address_space:  global
        .offset:         64
        .size:           8
        .value_kind:     global_buffer
      - .offset:         72
        .size:           8
        .value_kind:     by_value
      - .address_space:  global
        .offset:         80
        .size:           8
        .value_kind:     global_buffer
      - .offset:         88
        .size:           4
        .value_kind:     by_value
      - .offset:         92
        .size:           1
        .value_kind:     by_value
    .group_segment_fixed_size: 0
    .kernarg_segment_align: 8
    .kernarg_segment_size: 96
    .language:       OpenCL C
    .language_version:
      - 2
      - 0
    .max_flat_workgroup_size: 128
    .name:           _ZN9rocsparseL18bsrxmvn_4x4_kernelILj128ELj8E21rocsparse_complex_numIfEiifS2_S2_EEvT3_20rocsparse_direction_NS_24const_host_device_scalarIT1_EES3_PKS3_PKT2_SC_S9_PKT4_PKT5_S7_PT6_21rocsparse_index_base_b
    .private_segment_fixed_size: 0
    .sgpr_count:     18
    .sgpr_spill_count: 0
    .symbol:         _ZN9rocsparseL18bsrxmvn_4x4_kernelILj128ELj8E21rocsparse_complex_numIfEiifS2_S2_EEvT3_20rocsparse_direction_NS_24const_host_device_scalarIT1_EES3_PKS3_PKT2_SC_S9_PKT4_PKT5_S7_PT6_21rocsparse_index_base_b.kd
    .uniform_work_group_size: 1
    .uses_dynamic_stack: false
    .vgpr_count:     104
    .vgpr_spill_count: 0
    .wavefront_size: 32
    .workgroup_processor_mode: 1
  - .args:
      - .offset:         0
        .size:           4
        .value_kind:     by_value
      - .offset:         4
        .size:           4
        .value_kind:     by_value
      - .offset:         8
        .size:           8
        .value_kind:     by_value
      - .offset:         16
        .size:           4
        .value_kind:     by_value
      - .actual_access:  read_only
        .address_space:  global
        .offset:         24
        .size:           8
        .value_kind:     global_buffer
      - .actual_access:  read_only
        .address_space:  global
        .offset:         32
        .size:           8
        .value_kind:     global_buffer
      - .actual_access:  read_only
        .address_space:  global
        .offset:         40
        .size:           8
        .value_kind:     global_buffer
      - .actual_access:  read_only
        .address_space:  global
        .offset:         48
        .size:           8
        .value_kind:     global_buffer
      - .actual_access:  read_only
        .address_space:  global
        .offset:         56
        .size:           8
        .value_kind:     global_buffer
      - .actual_access:  read_only
        .address_space:  global
        .offset:         64
        .size:           8
        .value_kind:     global_buffer
      - .offset:         72
        .size:           8
        .value_kind:     by_value
      - .address_space:  global
        .offset:         80
        .size:           8
        .value_kind:     global_buffer
      - .offset:         88
        .size:           4
        .value_kind:     by_value
      - .offset:         92
        .size:           1
        .value_kind:     by_value
    .group_segment_fixed_size: 0
    .kernarg_segment_align: 8
    .kernarg_segment_size: 96
    .language:       OpenCL C
    .language_version:
      - 2
      - 0
    .max_flat_workgroup_size: 128
    .name:           _ZN9rocsparseL18bsrxmvn_4x4_kernelILj128ELj16E21rocsparse_complex_numIfEiifS2_S2_EEvT3_20rocsparse_direction_NS_24const_host_device_scalarIT1_EES3_PKS3_PKT2_SC_S9_PKT4_PKT5_S7_PT6_21rocsparse_index_base_b
    .private_segment_fixed_size: 0
    .sgpr_count:     18
    .sgpr_spill_count: 0
    .symbol:         _ZN9rocsparseL18bsrxmvn_4x4_kernelILj128ELj16E21rocsparse_complex_numIfEiifS2_S2_EEvT3_20rocsparse_direction_NS_24const_host_device_scalarIT1_EES3_PKS3_PKT2_SC_S9_PKT4_PKT5_S7_PT6_21rocsparse_index_base_b.kd
    .uniform_work_group_size: 1
    .uses_dynamic_stack: false
    .vgpr_count:     104
    .vgpr_spill_count: 0
    .wavefront_size: 32
    .workgroup_processor_mode: 1
  - .args:
      - .offset:         0
        .size:           4
        .value_kind:     by_value
      - .offset:         4
        .size:           4
        .value_kind:     by_value
      - .offset:         8
        .size:           8
        .value_kind:     by_value
      - .offset:         16
        .size:           4
        .value_kind:     by_value
      - .actual_access:  read_only
        .address_space:  global
        .offset:         24
        .size:           8
        .value_kind:     global_buffer
      - .actual_access:  read_only
        .address_space:  global
        .offset:         32
        .size:           8
        .value_kind:     global_buffer
      - .actual_access:  read_only
        .address_space:  global
        .offset:         40
        .size:           8
        .value_kind:     global_buffer
      - .actual_access:  read_only
        .address_space:  global
        .offset:         48
        .size:           8
        .value_kind:     global_buffer
      - .actual_access:  read_only
        .address_space:  global
        .offset:         56
        .size:           8
        .value_kind:     global_buffer
      - .actual_access:  read_only
        .address_space:  global
        .offset:         64
        .size:           8
        .value_kind:     global_buffer
      - .offset:         72
        .size:           8
        .value_kind:     by_value
      - .address_space:  global
        .offset:         80
        .size:           8
        .value_kind:     global_buffer
      - .offset:         88
        .size:           4
        .value_kind:     by_value
      - .offset:         92
        .size:           1
        .value_kind:     by_value
    .group_segment_fixed_size: 0
    .kernarg_segment_align: 8
    .kernarg_segment_size: 96
    .language:       OpenCL C
    .language_version:
      - 2
      - 0
    .max_flat_workgroup_size: 128
    .name:           _ZN9rocsparseL18bsrxmvn_4x4_kernelILj128ELj32E21rocsparse_complex_numIfEiifS2_S2_EEvT3_20rocsparse_direction_NS_24const_host_device_scalarIT1_EES3_PKS3_PKT2_SC_S9_PKT4_PKT5_S7_PT6_21rocsparse_index_base_b
    .private_segment_fixed_size: 0
    .sgpr_count:     18
    .sgpr_spill_count: 0
    .symbol:         _ZN9rocsparseL18bsrxmvn_4x4_kernelILj128ELj32E21rocsparse_complex_numIfEiifS2_S2_EEvT3_20rocsparse_direction_NS_24const_host_device_scalarIT1_EES3_PKS3_PKT2_SC_S9_PKT4_PKT5_S7_PT6_21rocsparse_index_base_b.kd
    .uniform_work_group_size: 1
    .uses_dynamic_stack: false
    .vgpr_count:     104
    .vgpr_spill_count: 0
    .wavefront_size: 32
    .workgroup_processor_mode: 1
  - .args:
      - .offset:         0
        .size:           4
        .value_kind:     by_value
      - .offset:         4
        .size:           4
        .value_kind:     by_value
      - .offset:         8
        .size:           8
        .value_kind:     by_value
      - .offset:         16
        .size:           4
        .value_kind:     by_value
      - .actual_access:  read_only
        .address_space:  global
        .offset:         24
        .size:           8
        .value_kind:     global_buffer
      - .actual_access:  read_only
        .address_space:  global
        .offset:         32
        .size:           8
        .value_kind:     global_buffer
      - .actual_access:  read_only
        .address_space:  global
        .offset:         40
        .size:           8
        .value_kind:     global_buffer
      - .actual_access:  read_only
        .address_space:  global
        .offset:         48
        .size:           8
        .value_kind:     global_buffer
      - .actual_access:  read_only
        .address_space:  global
        .offset:         56
        .size:           8
        .value_kind:     global_buffer
      - .actual_access:  read_only
        .address_space:  global
        .offset:         64
        .size:           8
        .value_kind:     global_buffer
      - .offset:         72
        .size:           8
        .value_kind:     by_value
      - .address_space:  global
        .offset:         80
        .size:           8
        .value_kind:     global_buffer
      - .offset:         88
        .size:           4
        .value_kind:     by_value
      - .offset:         92
        .size:           1
        .value_kind:     by_value
    .group_segment_fixed_size: 0
    .kernarg_segment_align: 8
    .kernarg_segment_size: 96
    .language:       OpenCL C
    .language_version:
      - 2
      - 0
    .max_flat_workgroup_size: 128
    .name:           _ZN9rocsparseL18bsrxmvn_4x4_kernelILj128ELj64E21rocsparse_complex_numIfEiifS2_S2_EEvT3_20rocsparse_direction_NS_24const_host_device_scalarIT1_EES3_PKS3_PKT2_SC_S9_PKT4_PKT5_S7_PT6_21rocsparse_index_base_b
    .private_segment_fixed_size: 0
    .sgpr_count:     18
    .sgpr_spill_count: 0
    .symbol:         _ZN9rocsparseL18bsrxmvn_4x4_kernelILj128ELj64E21rocsparse_complex_numIfEiifS2_S2_EEvT3_20rocsparse_direction_NS_24const_host_device_scalarIT1_EES3_PKS3_PKT2_SC_S9_PKT4_PKT5_S7_PT6_21rocsparse_index_base_b.kd
    .uniform_work_group_size: 1
    .uses_dynamic_stack: false
    .vgpr_count:     104
    .vgpr_spill_count: 0
    .wavefront_size: 32
    .workgroup_processor_mode: 1
  - .args:
      - .offset:         0
        .size:           4
        .value_kind:     by_value
      - .offset:         4
        .size:           4
        .value_kind:     by_value
      - .offset:         8
        .size:           8
        .value_kind:     by_value
      - .offset:         16
        .size:           4
        .value_kind:     by_value
      - .actual_access:  read_only
        .address_space:  global
        .offset:         24
        .size:           8
        .value_kind:     global_buffer
      - .actual_access:  read_only
        .address_space:  global
        .offset:         32
        .size:           8
        .value_kind:     global_buffer
      - .actual_access:  read_only
        .address_space:  global
        .offset:         40
        .size:           8
        .value_kind:     global_buffer
      - .actual_access:  read_only
        .address_space:  global
        .offset:         48
        .size:           8
        .value_kind:     global_buffer
      - .actual_access:  read_only
        .address_space:  global
        .offset:         56
        .size:           8
        .value_kind:     global_buffer
      - .actual_access:  read_only
        .address_space:  global
        .offset:         64
        .size:           8
        .value_kind:     global_buffer
      - .offset:         72
        .size:           8
        .value_kind:     by_value
      - .address_space:  global
        .offset:         80
        .size:           8
        .value_kind:     global_buffer
      - .offset:         88
        .size:           4
        .value_kind:     by_value
      - .offset:         92
        .size:           1
        .value_kind:     by_value
    .group_segment_fixed_size: 0
    .kernarg_segment_align: 8
    .kernarg_segment_size: 96
    .language:       OpenCL C
    .language_version:
      - 2
      - 0
    .max_flat_workgroup_size: 128
    .name:           _ZN9rocsparseL18bsrxmvn_4x4_kernelILj128ELj4E21rocsparse_complex_numIfElifS2_S2_EEvT3_20rocsparse_direction_NS_24const_host_device_scalarIT1_EES3_PKS3_PKT2_SC_S9_PKT4_PKT5_S7_PT6_21rocsparse_index_base_b
    .private_segment_fixed_size: 0
    .sgpr_count:     18
    .sgpr_spill_count: 0
    .symbol:         _ZN9rocsparseL18bsrxmvn_4x4_kernelILj128ELj4E21rocsparse_complex_numIfElifS2_S2_EEvT3_20rocsparse_direction_NS_24const_host_device_scalarIT1_EES3_PKS3_PKT2_SC_S9_PKT4_PKT5_S7_PT6_21rocsparse_index_base_b.kd
    .uniform_work_group_size: 1
    .uses_dynamic_stack: false
    .vgpr_count:     105
    .vgpr_spill_count: 0
    .wavefront_size: 32
    .workgroup_processor_mode: 1
  - .args:
      - .offset:         0
        .size:           4
        .value_kind:     by_value
      - .offset:         4
        .size:           4
        .value_kind:     by_value
      - .offset:         8
        .size:           8
        .value_kind:     by_value
      - .offset:         16
        .size:           4
        .value_kind:     by_value
      - .actual_access:  read_only
        .address_space:  global
        .offset:         24
        .size:           8
        .value_kind:     global_buffer
      - .actual_access:  read_only
        .address_space:  global
        .offset:         32
        .size:           8
        .value_kind:     global_buffer
      - .actual_access:  read_only
        .address_space:  global
        .offset:         40
        .size:           8
        .value_kind:     global_buffer
      - .actual_access:  read_only
        .address_space:  global
        .offset:         48
        .size:           8
        .value_kind:     global_buffer
      - .actual_access:  read_only
        .address_space:  global
        .offset:         56
        .size:           8
        .value_kind:     global_buffer
      - .actual_access:  read_only
        .address_space:  global
        .offset:         64
        .size:           8
        .value_kind:     global_buffer
      - .offset:         72
        .size:           8
        .value_kind:     by_value
      - .address_space:  global
        .offset:         80
        .size:           8
        .value_kind:     global_buffer
      - .offset:         88
        .size:           4
        .value_kind:     by_value
      - .offset:         92
        .size:           1
        .value_kind:     by_value
    .group_segment_fixed_size: 0
    .kernarg_segment_align: 8
    .kernarg_segment_size: 96
    .language:       OpenCL C
    .language_version:
      - 2
      - 0
    .max_flat_workgroup_size: 128
    .name:           _ZN9rocsparseL18bsrxmvn_4x4_kernelILj128ELj8E21rocsparse_complex_numIfElifS2_S2_EEvT3_20rocsparse_direction_NS_24const_host_device_scalarIT1_EES3_PKS3_PKT2_SC_S9_PKT4_PKT5_S7_PT6_21rocsparse_index_base_b
    .private_segment_fixed_size: 0
    .sgpr_count:     18
    .sgpr_spill_count: 0
    .symbol:         _ZN9rocsparseL18bsrxmvn_4x4_kernelILj128ELj8E21rocsparse_complex_numIfElifS2_S2_EEvT3_20rocsparse_direction_NS_24const_host_device_scalarIT1_EES3_PKS3_PKT2_SC_S9_PKT4_PKT5_S7_PT6_21rocsparse_index_base_b.kd
    .uniform_work_group_size: 1
    .uses_dynamic_stack: false
    .vgpr_count:     105
    .vgpr_spill_count: 0
    .wavefront_size: 32
    .workgroup_processor_mode: 1
  - .args:
      - .offset:         0
        .size:           4
        .value_kind:     by_value
      - .offset:         4
        .size:           4
        .value_kind:     by_value
      - .offset:         8
        .size:           8
        .value_kind:     by_value
      - .offset:         16
        .size:           4
        .value_kind:     by_value
      - .actual_access:  read_only
        .address_space:  global
        .offset:         24
        .size:           8
        .value_kind:     global_buffer
      - .actual_access:  read_only
        .address_space:  global
        .offset:         32
        .size:           8
        .value_kind:     global_buffer
      - .actual_access:  read_only
        .address_space:  global
        .offset:         40
        .size:           8
        .value_kind:     global_buffer
      - .actual_access:  read_only
        .address_space:  global
        .offset:         48
        .size:           8
        .value_kind:     global_buffer
      - .actual_access:  read_only
        .address_space:  global
        .offset:         56
        .size:           8
        .value_kind:     global_buffer
      - .actual_access:  read_only
        .address_space:  global
        .offset:         64
        .size:           8
        .value_kind:     global_buffer
      - .offset:         72
        .size:           8
        .value_kind:     by_value
      - .address_space:  global
        .offset:         80
        .size:           8
        .value_kind:     global_buffer
      - .offset:         88
        .size:           4
        .value_kind:     by_value
      - .offset:         92
        .size:           1
        .value_kind:     by_value
    .group_segment_fixed_size: 0
    .kernarg_segment_align: 8
    .kernarg_segment_size: 96
    .language:       OpenCL C
    .language_version:
      - 2
      - 0
    .max_flat_workgroup_size: 128
    .name:           _ZN9rocsparseL18bsrxmvn_4x4_kernelILj128ELj16E21rocsparse_complex_numIfElifS2_S2_EEvT3_20rocsparse_direction_NS_24const_host_device_scalarIT1_EES3_PKS3_PKT2_SC_S9_PKT4_PKT5_S7_PT6_21rocsparse_index_base_b
    .private_segment_fixed_size: 0
    .sgpr_count:     18
    .sgpr_spill_count: 0
    .symbol:         _ZN9rocsparseL18bsrxmvn_4x4_kernelILj128ELj16E21rocsparse_complex_numIfElifS2_S2_EEvT3_20rocsparse_direction_NS_24const_host_device_scalarIT1_EES3_PKS3_PKT2_SC_S9_PKT4_PKT5_S7_PT6_21rocsparse_index_base_b.kd
    .uniform_work_group_size: 1
    .uses_dynamic_stack: false
    .vgpr_count:     105
    .vgpr_spill_count: 0
    .wavefront_size: 32
    .workgroup_processor_mode: 1
  - .args:
      - .offset:         0
        .size:           4
        .value_kind:     by_value
      - .offset:         4
        .size:           4
        .value_kind:     by_value
      - .offset:         8
        .size:           8
        .value_kind:     by_value
      - .offset:         16
        .size:           4
        .value_kind:     by_value
      - .actual_access:  read_only
        .address_space:  global
        .offset:         24
        .size:           8
        .value_kind:     global_buffer
      - .actual_access:  read_only
        .address_space:  global
        .offset:         32
        .size:           8
        .value_kind:     global_buffer
      - .actual_access:  read_only
        .address_space:  global
        .offset:         40
        .size:           8
        .value_kind:     global_buffer
      - .actual_access:  read_only
        .address_space:  global
        .offset:         48
        .size:           8
        .value_kind:     global_buffer
      - .actual_access:  read_only
        .address_space:  global
        .offset:         56
        .size:           8
        .value_kind:     global_buffer
      - .actual_access:  read_only
        .address_space:  global
        .offset:         64
        .size:           8
        .value_kind:     global_buffer
      - .offset:         72
        .size:           8
        .value_kind:     by_value
      - .address_space:  global
        .offset:         80
        .size:           8
        .value_kind:     global_buffer
      - .offset:         88
        .size:           4
        .value_kind:     by_value
      - .offset:         92
        .size:           1
        .value_kind:     by_value
    .group_segment_fixed_size: 0
    .kernarg_segment_align: 8
    .kernarg_segment_size: 96
    .language:       OpenCL C
    .language_version:
      - 2
      - 0
    .max_flat_workgroup_size: 128
    .name:           _ZN9rocsparseL18bsrxmvn_4x4_kernelILj128ELj32E21rocsparse_complex_numIfElifS2_S2_EEvT3_20rocsparse_direction_NS_24const_host_device_scalarIT1_EES3_PKS3_PKT2_SC_S9_PKT4_PKT5_S7_PT6_21rocsparse_index_base_b
    .private_segment_fixed_size: 0
    .sgpr_count:     18
    .sgpr_spill_count: 0
    .symbol:         _ZN9rocsparseL18bsrxmvn_4x4_kernelILj128ELj32E21rocsparse_complex_numIfElifS2_S2_EEvT3_20rocsparse_direction_NS_24const_host_device_scalarIT1_EES3_PKS3_PKT2_SC_S9_PKT4_PKT5_S7_PT6_21rocsparse_index_base_b.kd
    .uniform_work_group_size: 1
    .uses_dynamic_stack: false
    .vgpr_count:     103
    .vgpr_spill_count: 0
    .wavefront_size: 32
    .workgroup_processor_mode: 1
  - .args:
      - .offset:         0
        .size:           4
        .value_kind:     by_value
      - .offset:         4
        .size:           4
        .value_kind:     by_value
      - .offset:         8
        .size:           8
        .value_kind:     by_value
      - .offset:         16
        .size:           4
        .value_kind:     by_value
      - .actual_access:  read_only
        .address_space:  global
        .offset:         24
        .size:           8
        .value_kind:     global_buffer
      - .actual_access:  read_only
        .address_space:  global
        .offset:         32
        .size:           8
        .value_kind:     global_buffer
      - .actual_access:  read_only
        .address_space:  global
        .offset:         40
        .size:           8
        .value_kind:     global_buffer
      - .actual_access:  read_only
        .address_space:  global
        .offset:         48
        .size:           8
        .value_kind:     global_buffer
      - .actual_access:  read_only
        .address_space:  global
        .offset:         56
        .size:           8
        .value_kind:     global_buffer
      - .actual_access:  read_only
        .address_space:  global
        .offset:         64
        .size:           8
        .value_kind:     global_buffer
      - .offset:         72
        .size:           8
        .value_kind:     by_value
      - .address_space:  global
        .offset:         80
        .size:           8
        .value_kind:     global_buffer
      - .offset:         88
        .size:           4
        .value_kind:     by_value
      - .offset:         92
        .size:           1
        .value_kind:     by_value
    .group_segment_fixed_size: 0
    .kernarg_segment_align: 8
    .kernarg_segment_size: 96
    .language:       OpenCL C
    .language_version:
      - 2
      - 0
    .max_flat_workgroup_size: 128
    .name:           _ZN9rocsparseL18bsrxmvn_4x4_kernelILj128ELj64E21rocsparse_complex_numIfElifS2_S2_EEvT3_20rocsparse_direction_NS_24const_host_device_scalarIT1_EES3_PKS3_PKT2_SC_S9_PKT4_PKT5_S7_PT6_21rocsparse_index_base_b
    .private_segment_fixed_size: 0
    .sgpr_count:     18
    .sgpr_spill_count: 0
    .symbol:         _ZN9rocsparseL18bsrxmvn_4x4_kernelILj128ELj64E21rocsparse_complex_numIfElifS2_S2_EEvT3_20rocsparse_direction_NS_24const_host_device_scalarIT1_EES3_PKS3_PKT2_SC_S9_PKT4_PKT5_S7_PT6_21rocsparse_index_base_b.kd
    .uniform_work_group_size: 1
    .uses_dynamic_stack: false
    .vgpr_count:     103
    .vgpr_spill_count: 0
    .wavefront_size: 32
    .workgroup_processor_mode: 1
  - .args:
      - .offset:         0
        .size:           8
        .value_kind:     by_value
      - .offset:         8
        .size:           4
        .value_kind:     by_value
      - .offset:         16
        .size:           8
        .value_kind:     by_value
      - .offset:         24
        .size:           8
        .value_kind:     by_value
      - .actual_access:  read_only
        .address_space:  global
        .offset:         32
        .size:           8
        .value_kind:     global_buffer
      - .actual_access:  read_only
        .address_space:  global
        .offset:         40
        .size:           8
        .value_kind:     global_buffer
      - .actual_access:  read_only
        .address_space:  global
        .offset:         48
        .size:           8
        .value_kind:     global_buffer
      - .actual_access:  read_only
        .address_space:  global
        .offset:         56
        .size:           8
        .value_kind:     global_buffer
      - .actual_access:  read_only
        .address_space:  global
        .offset:         64
        .size:           8
        .value_kind:     global_buffer
      - .actual_access:  read_only
        .address_space:  global
        .offset:         72
        .size:           8
        .value_kind:     global_buffer
      - .offset:         80
        .size:           8
        .value_kind:     by_value
      - .address_space:  global
        .offset:         88
        .size:           8
        .value_kind:     global_buffer
      - .offset:         96
        .size:           4
        .value_kind:     by_value
      - .offset:         100
        .size:           1
        .value_kind:     by_value
    .group_segment_fixed_size: 0
    .kernarg_segment_align: 8
    .kernarg_segment_size: 104
    .language:       OpenCL C
    .language_version:
      - 2
      - 0
    .max_flat_workgroup_size: 128
    .name:           _ZN9rocsparseL18bsrxmvn_4x4_kernelILj128ELj4E21rocsparse_complex_numIfEllfS2_S2_EEvT3_20rocsparse_direction_NS_24const_host_device_scalarIT1_EES3_PKS3_PKT2_SC_S9_PKT4_PKT5_S7_PT6_21rocsparse_index_base_b
    .private_segment_fixed_size: 0
    .sgpr_count:     18
    .sgpr_spill_count: 0
    .symbol:         _ZN9rocsparseL18bsrxmvn_4x4_kernelILj128ELj4E21rocsparse_complex_numIfEllfS2_S2_EEvT3_20rocsparse_direction_NS_24const_host_device_scalarIT1_EES3_PKS3_PKT2_SC_S9_PKT4_PKT5_S7_PT6_21rocsparse_index_base_b.kd
    .uniform_work_group_size: 1
    .uses_dynamic_stack: false
    .vgpr_count:     122
    .vgpr_spill_count: 0
    .wavefront_size: 32
    .workgroup_processor_mode: 1
  - .args:
      - .offset:         0
        .size:           8
        .value_kind:     by_value
      - .offset:         8
        .size:           4
        .value_kind:     by_value
      - .offset:         16
        .size:           8
        .value_kind:     by_value
      - .offset:         24
        .size:           8
        .value_kind:     by_value
      - .actual_access:  read_only
        .address_space:  global
        .offset:         32
        .size:           8
        .value_kind:     global_buffer
      - .actual_access:  read_only
        .address_space:  global
        .offset:         40
        .size:           8
        .value_kind:     global_buffer
      - .actual_access:  read_only
        .address_space:  global
        .offset:         48
        .size:           8
        .value_kind:     global_buffer
      - .actual_access:  read_only
        .address_space:  global
        .offset:         56
        .size:           8
        .value_kind:     global_buffer
      - .actual_access:  read_only
        .address_space:  global
        .offset:         64
        .size:           8
        .value_kind:     global_buffer
      - .actual_access:  read_only
        .address_space:  global
        .offset:         72
        .size:           8
        .value_kind:     global_buffer
      - .offset:         80
        .size:           8
        .value_kind:     by_value
      - .address_space:  global
        .offset:         88
        .size:           8
        .value_kind:     global_buffer
      - .offset:         96
        .size:           4
        .value_kind:     by_value
      - .offset:         100
        .size:           1
        .value_kind:     by_value
    .group_segment_fixed_size: 0
    .kernarg_segment_align: 8
    .kernarg_segment_size: 104
    .language:       OpenCL C
    .language_version:
      - 2
      - 0
    .max_flat_workgroup_size: 128
    .name:           _ZN9rocsparseL18bsrxmvn_4x4_kernelILj128ELj8E21rocsparse_complex_numIfEllfS2_S2_EEvT3_20rocsparse_direction_NS_24const_host_device_scalarIT1_EES3_PKS3_PKT2_SC_S9_PKT4_PKT5_S7_PT6_21rocsparse_index_base_b
    .private_segment_fixed_size: 0
    .sgpr_count:     18
    .sgpr_spill_count: 0
    .symbol:         _ZN9rocsparseL18bsrxmvn_4x4_kernelILj128ELj8E21rocsparse_complex_numIfEllfS2_S2_EEvT3_20rocsparse_direction_NS_24const_host_device_scalarIT1_EES3_PKS3_PKT2_SC_S9_PKT4_PKT5_S7_PT6_21rocsparse_index_base_b.kd
    .uniform_work_group_size: 1
    .uses_dynamic_stack: false
    .vgpr_count:     122
    .vgpr_spill_count: 0
    .wavefront_size: 32
    .workgroup_processor_mode: 1
  - .args:
      - .offset:         0
        .size:           8
        .value_kind:     by_value
      - .offset:         8
        .size:           4
        .value_kind:     by_value
      - .offset:         16
        .size:           8
        .value_kind:     by_value
      - .offset:         24
        .size:           8
        .value_kind:     by_value
      - .actual_access:  read_only
        .address_space:  global
        .offset:         32
        .size:           8
        .value_kind:     global_buffer
      - .actual_access:  read_only
        .address_space:  global
        .offset:         40
        .size:           8
        .value_kind:     global_buffer
      - .actual_access:  read_only
        .address_space:  global
        .offset:         48
        .size:           8
        .value_kind:     global_buffer
      - .actual_access:  read_only
        .address_space:  global
        .offset:         56
        .size:           8
        .value_kind:     global_buffer
      - .actual_access:  read_only
        .address_space:  global
        .offset:         64
        .size:           8
        .value_kind:     global_buffer
      - .actual_access:  read_only
        .address_space:  global
        .offset:         72
        .size:           8
        .value_kind:     global_buffer
      - .offset:         80
        .size:           8
        .value_kind:     by_value
      - .address_space:  global
        .offset:         88
        .size:           8
        .value_kind:     global_buffer
      - .offset:         96
        .size:           4
        .value_kind:     by_value
      - .offset:         100
        .size:           1
        .value_kind:     by_value
    .group_segment_fixed_size: 0
    .kernarg_segment_align: 8
    .kernarg_segment_size: 104
    .language:       OpenCL C
    .language_version:
      - 2
      - 0
    .max_flat_workgroup_size: 128
    .name:           _ZN9rocsparseL18bsrxmvn_4x4_kernelILj128ELj16E21rocsparse_complex_numIfEllfS2_S2_EEvT3_20rocsparse_direction_NS_24const_host_device_scalarIT1_EES3_PKS3_PKT2_SC_S9_PKT4_PKT5_S7_PT6_21rocsparse_index_base_b
    .private_segment_fixed_size: 0
    .sgpr_count:     18
    .sgpr_spill_count: 0
    .symbol:         _ZN9rocsparseL18bsrxmvn_4x4_kernelILj128ELj16E21rocsparse_complex_numIfEllfS2_S2_EEvT3_20rocsparse_direction_NS_24const_host_device_scalarIT1_EES3_PKS3_PKT2_SC_S9_PKT4_PKT5_S7_PT6_21rocsparse_index_base_b.kd
    .uniform_work_group_size: 1
    .uses_dynamic_stack: false
    .vgpr_count:     122
    .vgpr_spill_count: 0
    .wavefront_size: 32
    .workgroup_processor_mode: 1
  - .args:
      - .offset:         0
        .size:           8
        .value_kind:     by_value
      - .offset:         8
        .size:           4
        .value_kind:     by_value
      - .offset:         16
        .size:           8
        .value_kind:     by_value
      - .offset:         24
        .size:           8
        .value_kind:     by_value
      - .actual_access:  read_only
        .address_space:  global
        .offset:         32
        .size:           8
        .value_kind:     global_buffer
      - .actual_access:  read_only
        .address_space:  global
        .offset:         40
        .size:           8
        .value_kind:     global_buffer
      - .actual_access:  read_only
        .address_space:  global
        .offset:         48
        .size:           8
        .value_kind:     global_buffer
      - .actual_access:  read_only
        .address_space:  global
        .offset:         56
        .size:           8
        .value_kind:     global_buffer
      - .actual_access:  read_only
        .address_space:  global
        .offset:         64
        .size:           8
        .value_kind:     global_buffer
      - .actual_access:  read_only
        .address_space:  global
        .offset:         72
        .size:           8
        .value_kind:     global_buffer
      - .offset:         80
        .size:           8
        .value_kind:     by_value
      - .address_space:  global
        .offset:         88
        .size:           8
        .value_kind:     global_buffer
      - .offset:         96
        .size:           4
        .value_kind:     by_value
      - .offset:         100
        .size:           1
        .value_kind:     by_value
    .group_segment_fixed_size: 0
    .kernarg_segment_align: 8
    .kernarg_segment_size: 104
    .language:       OpenCL C
    .language_version:
      - 2
      - 0
    .max_flat_workgroup_size: 128
    .name:           _ZN9rocsparseL18bsrxmvn_4x4_kernelILj128ELj32E21rocsparse_complex_numIfEllfS2_S2_EEvT3_20rocsparse_direction_NS_24const_host_device_scalarIT1_EES3_PKS3_PKT2_SC_S9_PKT4_PKT5_S7_PT6_21rocsparse_index_base_b
    .private_segment_fixed_size: 0
    .sgpr_count:     18
    .sgpr_spill_count: 0
    .symbol:         _ZN9rocsparseL18bsrxmvn_4x4_kernelILj128ELj32E21rocsparse_complex_numIfEllfS2_S2_EEvT3_20rocsparse_direction_NS_24const_host_device_scalarIT1_EES3_PKS3_PKT2_SC_S9_PKT4_PKT5_S7_PT6_21rocsparse_index_base_b.kd
    .uniform_work_group_size: 1
    .uses_dynamic_stack: false
    .vgpr_count:     122
    .vgpr_spill_count: 0
    .wavefront_size: 32
    .workgroup_processor_mode: 1
  - .args:
      - .offset:         0
        .size:           8
        .value_kind:     by_value
      - .offset:         8
        .size:           4
        .value_kind:     by_value
      - .offset:         16
        .size:           8
        .value_kind:     by_value
      - .offset:         24
        .size:           8
        .value_kind:     by_value
      - .actual_access:  read_only
        .address_space:  global
        .offset:         32
        .size:           8
        .value_kind:     global_buffer
      - .actual_access:  read_only
        .address_space:  global
        .offset:         40
        .size:           8
        .value_kind:     global_buffer
      - .actual_access:  read_only
        .address_space:  global
        .offset:         48
        .size:           8
        .value_kind:     global_buffer
      - .actual_access:  read_only
        .address_space:  global
        .offset:         56
        .size:           8
        .value_kind:     global_buffer
      - .actual_access:  read_only
        .address_space:  global
        .offset:         64
        .size:           8
        .value_kind:     global_buffer
      - .actual_access:  read_only
        .address_space:  global
        .offset:         72
        .size:           8
        .value_kind:     global_buffer
      - .offset:         80
        .size:           8
        .value_kind:     by_value
      - .address_space:  global
        .offset:         88
        .size:           8
        .value_kind:     global_buffer
      - .offset:         96
        .size:           4
        .value_kind:     by_value
      - .offset:         100
        .size:           1
        .value_kind:     by_value
    .group_segment_fixed_size: 0
    .kernarg_segment_align: 8
    .kernarg_segment_size: 104
    .language:       OpenCL C
    .language_version:
      - 2
      - 0
    .max_flat_workgroup_size: 128
    .name:           _ZN9rocsparseL18bsrxmvn_4x4_kernelILj128ELj64E21rocsparse_complex_numIfEllfS2_S2_EEvT3_20rocsparse_direction_NS_24const_host_device_scalarIT1_EES3_PKS3_PKT2_SC_S9_PKT4_PKT5_S7_PT6_21rocsparse_index_base_b
    .private_segment_fixed_size: 0
    .sgpr_count:     18
    .sgpr_spill_count: 0
    .symbol:         _ZN9rocsparseL18bsrxmvn_4x4_kernelILj128ELj64E21rocsparse_complex_numIfEllfS2_S2_EEvT3_20rocsparse_direction_NS_24const_host_device_scalarIT1_EES3_PKS3_PKT2_SC_S9_PKT4_PKT5_S7_PT6_21rocsparse_index_base_b.kd
    .uniform_work_group_size: 1
    .uses_dynamic_stack: false
    .vgpr_count:     122
    .vgpr_spill_count: 0
    .wavefront_size: 32
    .workgroup_processor_mode: 1
  - .args:
      - .offset:         0
        .size:           4
        .value_kind:     by_value
      - .offset:         4
        .size:           4
        .value_kind:     by_value
      - .offset:         8
        .size:           16
        .value_kind:     by_value
      - .offset:         24
        .size:           4
        .value_kind:     by_value
      - .actual_access:  read_only
        .address_space:  global
        .offset:         32
        .size:           8
        .value_kind:     global_buffer
      - .actual_access:  read_only
        .address_space:  global
        .offset:         40
        .size:           8
        .value_kind:     global_buffer
      - .actual_access:  read_only
        .address_space:  global
        .offset:         48
        .size:           8
        .value_kind:     global_buffer
      - .actual_access:  read_only
        .address_space:  global
        .offset:         56
        .size:           8
        .value_kind:     global_buffer
      - .actual_access:  read_only
        .address_space:  global
        .offset:         64
        .size:           8
        .value_kind:     global_buffer
      - .actual_access:  read_only
        .address_space:  global
        .offset:         72
        .size:           8
        .value_kind:     global_buffer
      - .offset:         80
        .size:           16
        .value_kind:     by_value
      - .address_space:  global
        .offset:         96
        .size:           8
        .value_kind:     global_buffer
      - .offset:         104
        .size:           4
        .value_kind:     by_value
      - .offset:         108
        .size:           1
        .value_kind:     by_value
    .group_segment_fixed_size: 0
    .kernarg_segment_align: 8
    .kernarg_segment_size: 112
    .language:       OpenCL C
    .language_version:
      - 2
      - 0
    .max_flat_workgroup_size: 128
    .name:           _ZN9rocsparseL18bsrxmvn_4x4_kernelILj128ELj4E21rocsparse_complex_numIdEiidS2_S2_EEvT3_20rocsparse_direction_NS_24const_host_device_scalarIT1_EES3_PKS3_PKT2_SC_S9_PKT4_PKT5_S7_PT6_21rocsparse_index_base_b
    .private_segment_fixed_size: 0
    .sgpr_count:     18
    .sgpr_spill_count: 0
    .symbol:         _ZN9rocsparseL18bsrxmvn_4x4_kernelILj128ELj4E21rocsparse_complex_numIdEiidS2_S2_EEvT3_20rocsparse_direction_NS_24const_host_device_scalarIT1_EES3_PKS3_PKT2_SC_S9_PKT4_PKT5_S7_PT6_21rocsparse_index_base_b.kd
    .uniform_work_group_size: 1
    .uses_dynamic_stack: false
    .vgpr_count:     157
    .vgpr_spill_count: 0
    .wavefront_size: 32
    .workgroup_processor_mode: 1
  - .args:
      - .offset:         0
        .size:           4
        .value_kind:     by_value
      - .offset:         4
        .size:           4
        .value_kind:     by_value
      - .offset:         8
        .size:           16
        .value_kind:     by_value
      - .offset:         24
        .size:           4
        .value_kind:     by_value
      - .actual_access:  read_only
        .address_space:  global
        .offset:         32
        .size:           8
        .value_kind:     global_buffer
      - .actual_access:  read_only
        .address_space:  global
        .offset:         40
        .size:           8
        .value_kind:     global_buffer
      - .actual_access:  read_only
        .address_space:  global
        .offset:         48
        .size:           8
        .value_kind:     global_buffer
      - .actual_access:  read_only
        .address_space:  global
        .offset:         56
        .size:           8
        .value_kind:     global_buffer
      - .actual_access:  read_only
        .address_space:  global
        .offset:         64
        .size:           8
        .value_kind:     global_buffer
      - .actual_access:  read_only
        .address_space:  global
        .offset:         72
        .size:           8
        .value_kind:     global_buffer
      - .offset:         80
        .size:           16
        .value_kind:     by_value
      - .address_space:  global
        .offset:         96
        .size:           8
        .value_kind:     global_buffer
      - .offset:         104
        .size:           4
        .value_kind:     by_value
      - .offset:         108
        .size:           1
        .value_kind:     by_value
    .group_segment_fixed_size: 0
    .kernarg_segment_align: 8
    .kernarg_segment_size: 112
    .language:       OpenCL C
    .language_version:
      - 2
      - 0
    .max_flat_workgroup_size: 128
    .name:           _ZN9rocsparseL18bsrxmvn_4x4_kernelILj128ELj8E21rocsparse_complex_numIdEiidS2_S2_EEvT3_20rocsparse_direction_NS_24const_host_device_scalarIT1_EES3_PKS3_PKT2_SC_S9_PKT4_PKT5_S7_PT6_21rocsparse_index_base_b
    .private_segment_fixed_size: 0
    .sgpr_count:     18
    .sgpr_spill_count: 0
    .symbol:         _ZN9rocsparseL18bsrxmvn_4x4_kernelILj128ELj8E21rocsparse_complex_numIdEiidS2_S2_EEvT3_20rocsparse_direction_NS_24const_host_device_scalarIT1_EES3_PKS3_PKT2_SC_S9_PKT4_PKT5_S7_PT6_21rocsparse_index_base_b.kd
    .uniform_work_group_size: 1
    .uses_dynamic_stack: false
    .vgpr_count:     154
    .vgpr_spill_count: 0
    .wavefront_size: 32
    .workgroup_processor_mode: 1
  - .args:
      - .offset:         0
        .size:           4
        .value_kind:     by_value
      - .offset:         4
        .size:           4
        .value_kind:     by_value
      - .offset:         8
        .size:           16
        .value_kind:     by_value
      - .offset:         24
        .size:           4
        .value_kind:     by_value
      - .actual_access:  read_only
        .address_space:  global
        .offset:         32
        .size:           8
        .value_kind:     global_buffer
      - .actual_access:  read_only
        .address_space:  global
        .offset:         40
        .size:           8
        .value_kind:     global_buffer
      - .actual_access:  read_only
        .address_space:  global
        .offset:         48
        .size:           8
        .value_kind:     global_buffer
      - .actual_access:  read_only
        .address_space:  global
        .offset:         56
        .size:           8
        .value_kind:     global_buffer
      - .actual_access:  read_only
        .address_space:  global
        .offset:         64
        .size:           8
        .value_kind:     global_buffer
      - .actual_access:  read_only
        .address_space:  global
        .offset:         72
        .size:           8
        .value_kind:     global_buffer
      - .offset:         80
        .size:           16
        .value_kind:     by_value
      - .address_space:  global
        .offset:         96
        .size:           8
        .value_kind:     global_buffer
      - .offset:         104
        .size:           4
        .value_kind:     by_value
      - .offset:         108
        .size:           1
        .value_kind:     by_value
    .group_segment_fixed_size: 0
    .kernarg_segment_align: 8
    .kernarg_segment_size: 112
    .language:       OpenCL C
    .language_version:
      - 2
      - 0
    .max_flat_workgroup_size: 128
    .name:           _ZN9rocsparseL18bsrxmvn_4x4_kernelILj128ELj16E21rocsparse_complex_numIdEiidS2_S2_EEvT3_20rocsparse_direction_NS_24const_host_device_scalarIT1_EES3_PKS3_PKT2_SC_S9_PKT4_PKT5_S7_PT6_21rocsparse_index_base_b
    .private_segment_fixed_size: 0
    .sgpr_count:     18
    .sgpr_spill_count: 0
    .symbol:         _ZN9rocsparseL18bsrxmvn_4x4_kernelILj128ELj16E21rocsparse_complex_numIdEiidS2_S2_EEvT3_20rocsparse_direction_NS_24const_host_device_scalarIT1_EES3_PKS3_PKT2_SC_S9_PKT4_PKT5_S7_PT6_21rocsparse_index_base_b.kd
    .uniform_work_group_size: 1
    .uses_dynamic_stack: false
    .vgpr_count:     154
    .vgpr_spill_count: 0
    .wavefront_size: 32
    .workgroup_processor_mode: 1
  - .args:
      - .offset:         0
        .size:           4
        .value_kind:     by_value
      - .offset:         4
        .size:           4
        .value_kind:     by_value
      - .offset:         8
        .size:           16
        .value_kind:     by_value
      - .offset:         24
        .size:           4
        .value_kind:     by_value
      - .actual_access:  read_only
        .address_space:  global
        .offset:         32
        .size:           8
        .value_kind:     global_buffer
      - .actual_access:  read_only
        .address_space:  global
        .offset:         40
        .size:           8
        .value_kind:     global_buffer
      - .actual_access:  read_only
        .address_space:  global
        .offset:         48
        .size:           8
        .value_kind:     global_buffer
      - .actual_access:  read_only
        .address_space:  global
        .offset:         56
        .size:           8
        .value_kind:     global_buffer
      - .actual_access:  read_only
        .address_space:  global
        .offset:         64
        .size:           8
        .value_kind:     global_buffer
      - .actual_access:  read_only
        .address_space:  global
        .offset:         72
        .size:           8
        .value_kind:     global_buffer
      - .offset:         80
        .size:           16
        .value_kind:     by_value
      - .address_space:  global
        .offset:         96
        .size:           8
        .value_kind:     global_buffer
      - .offset:         104
        .size:           4
        .value_kind:     by_value
      - .offset:         108
        .size:           1
        .value_kind:     by_value
    .group_segment_fixed_size: 0
    .kernarg_segment_align: 8
    .kernarg_segment_size: 112
    .language:       OpenCL C
    .language_version:
      - 2
      - 0
    .max_flat_workgroup_size: 128
    .name:           _ZN9rocsparseL18bsrxmvn_4x4_kernelILj128ELj32E21rocsparse_complex_numIdEiidS2_S2_EEvT3_20rocsparse_direction_NS_24const_host_device_scalarIT1_EES3_PKS3_PKT2_SC_S9_PKT4_PKT5_S7_PT6_21rocsparse_index_base_b
    .private_segment_fixed_size: 0
    .sgpr_count:     18
    .sgpr_spill_count: 0
    .symbol:         _ZN9rocsparseL18bsrxmvn_4x4_kernelILj128ELj32E21rocsparse_complex_numIdEiidS2_S2_EEvT3_20rocsparse_direction_NS_24const_host_device_scalarIT1_EES3_PKS3_PKT2_SC_S9_PKT4_PKT5_S7_PT6_21rocsparse_index_base_b.kd
    .uniform_work_group_size: 1
    .uses_dynamic_stack: false
    .vgpr_count:     154
    .vgpr_spill_count: 0
    .wavefront_size: 32
    .workgroup_processor_mode: 1
  - .args:
      - .offset:         0
        .size:           4
        .value_kind:     by_value
      - .offset:         4
        .size:           4
        .value_kind:     by_value
      - .offset:         8
        .size:           16
        .value_kind:     by_value
      - .offset:         24
        .size:           4
        .value_kind:     by_value
      - .actual_access:  read_only
        .address_space:  global
        .offset:         32
        .size:           8
        .value_kind:     global_buffer
      - .actual_access:  read_only
        .address_space:  global
        .offset:         40
        .size:           8
        .value_kind:     global_buffer
      - .actual_access:  read_only
        .address_space:  global
        .offset:         48
        .size:           8
        .value_kind:     global_buffer
      - .actual_access:  read_only
        .address_space:  global
        .offset:         56
        .size:           8
        .value_kind:     global_buffer
      - .actual_access:  read_only
        .address_space:  global
        .offset:         64
        .size:           8
        .value_kind:     global_buffer
      - .actual_access:  read_only
        .address_space:  global
        .offset:         72
        .size:           8
        .value_kind:     global_buffer
      - .offset:         80
        .size:           16
        .value_kind:     by_value
      - .address_space:  global
        .offset:         96
        .size:           8
        .value_kind:     global_buffer
      - .offset:         104
        .size:           4
        .value_kind:     by_value
      - .offset:         108
        .size:           1
        .value_kind:     by_value
    .group_segment_fixed_size: 0
    .kernarg_segment_align: 8
    .kernarg_segment_size: 112
    .language:       OpenCL C
    .language_version:
      - 2
      - 0
    .max_flat_workgroup_size: 128
    .name:           _ZN9rocsparseL18bsrxmvn_4x4_kernelILj128ELj64E21rocsparse_complex_numIdEiidS2_S2_EEvT3_20rocsparse_direction_NS_24const_host_device_scalarIT1_EES3_PKS3_PKT2_SC_S9_PKT4_PKT5_S7_PT6_21rocsparse_index_base_b
    .private_segment_fixed_size: 0
    .sgpr_count:     18
    .sgpr_spill_count: 0
    .symbol:         _ZN9rocsparseL18bsrxmvn_4x4_kernelILj128ELj64E21rocsparse_complex_numIdEiidS2_S2_EEvT3_20rocsparse_direction_NS_24const_host_device_scalarIT1_EES3_PKS3_PKT2_SC_S9_PKT4_PKT5_S7_PT6_21rocsparse_index_base_b.kd
    .uniform_work_group_size: 1
    .uses_dynamic_stack: false
    .vgpr_count:     154
    .vgpr_spill_count: 0
    .wavefront_size: 32
    .workgroup_processor_mode: 1
  - .args:
      - .offset:         0
        .size:           4
        .value_kind:     by_value
      - .offset:         4
        .size:           4
        .value_kind:     by_value
      - .offset:         8
        .size:           16
        .value_kind:     by_value
      - .offset:         24
        .size:           4
        .value_kind:     by_value
      - .actual_access:  read_only
        .address_space:  global
        .offset:         32
        .size:           8
        .value_kind:     global_buffer
      - .actual_access:  read_only
        .address_space:  global
        .offset:         40
        .size:           8
        .value_kind:     global_buffer
      - .actual_access:  read_only
        .address_space:  global
        .offset:         48
        .size:           8
        .value_kind:     global_buffer
      - .actual_access:  read_only
        .address_space:  global
        .offset:         56
        .size:           8
        .value_kind:     global_buffer
      - .actual_access:  read_only
        .address_space:  global
        .offset:         64
        .size:           8
        .value_kind:     global_buffer
      - .actual_access:  read_only
        .address_space:  global
        .offset:         72
        .size:           8
        .value_kind:     global_buffer
      - .offset:         80
        .size:           16
        .value_kind:     by_value
      - .address_space:  global
        .offset:         96
        .size:           8
        .value_kind:     global_buffer
      - .offset:         104
        .size:           4
        .value_kind:     by_value
      - .offset:         108
        .size:           1
        .value_kind:     by_value
    .group_segment_fixed_size: 0
    .kernarg_segment_align: 8
    .kernarg_segment_size: 112
    .language:       OpenCL C
    .language_version:
      - 2
      - 0
    .max_flat_workgroup_size: 128
    .name:           _ZN9rocsparseL18bsrxmvn_4x4_kernelILj128ELj4E21rocsparse_complex_numIdElidS2_S2_EEvT3_20rocsparse_direction_NS_24const_host_device_scalarIT1_EES3_PKS3_PKT2_SC_S9_PKT4_PKT5_S7_PT6_21rocsparse_index_base_b
    .private_segment_fixed_size: 0
    .sgpr_count:     18
    .sgpr_spill_count: 0
    .symbol:         _ZN9rocsparseL18bsrxmvn_4x4_kernelILj128ELj4E21rocsparse_complex_numIdElidS2_S2_EEvT3_20rocsparse_direction_NS_24const_host_device_scalarIT1_EES3_PKS3_PKT2_SC_S9_PKT4_PKT5_S7_PT6_21rocsparse_index_base_b.kd
    .uniform_work_group_size: 1
    .uses_dynamic_stack: false
    .vgpr_count:     156
    .vgpr_spill_count: 0
    .wavefront_size: 32
    .workgroup_processor_mode: 1
  - .args:
      - .offset:         0
        .size:           4
        .value_kind:     by_value
      - .offset:         4
        .size:           4
        .value_kind:     by_value
      - .offset:         8
        .size:           16
        .value_kind:     by_value
      - .offset:         24
        .size:           4
        .value_kind:     by_value
      - .actual_access:  read_only
        .address_space:  global
        .offset:         32
        .size:           8
        .value_kind:     global_buffer
      - .actual_access:  read_only
        .address_space:  global
        .offset:         40
        .size:           8
        .value_kind:     global_buffer
      - .actual_access:  read_only
        .address_space:  global
        .offset:         48
        .size:           8
        .value_kind:     global_buffer
      - .actual_access:  read_only
        .address_space:  global
        .offset:         56
        .size:           8
        .value_kind:     global_buffer
      - .actual_access:  read_only
        .address_space:  global
        .offset:         64
        .size:           8
        .value_kind:     global_buffer
      - .actual_access:  read_only
        .address_space:  global
        .offset:         72
        .size:           8
        .value_kind:     global_buffer
      - .offset:         80
        .size:           16
        .value_kind:     by_value
      - .address_space:  global
        .offset:         96
        .size:           8
        .value_kind:     global_buffer
      - .offset:         104
        .size:           4
        .value_kind:     by_value
      - .offset:         108
        .size:           1
        .value_kind:     by_value
    .group_segment_fixed_size: 0
    .kernarg_segment_align: 8
    .kernarg_segment_size: 112
    .language:       OpenCL C
    .language_version:
      - 2
      - 0
    .max_flat_workgroup_size: 128
    .name:           _ZN9rocsparseL18bsrxmvn_4x4_kernelILj128ELj8E21rocsparse_complex_numIdElidS2_S2_EEvT3_20rocsparse_direction_NS_24const_host_device_scalarIT1_EES3_PKS3_PKT2_SC_S9_PKT4_PKT5_S7_PT6_21rocsparse_index_base_b
    .private_segment_fixed_size: 0
    .sgpr_count:     18
    .sgpr_spill_count: 0
    .symbol:         _ZN9rocsparseL18bsrxmvn_4x4_kernelILj128ELj8E21rocsparse_complex_numIdElidS2_S2_EEvT3_20rocsparse_direction_NS_24const_host_device_scalarIT1_EES3_PKS3_PKT2_SC_S9_PKT4_PKT5_S7_PT6_21rocsparse_index_base_b.kd
    .uniform_work_group_size: 1
    .uses_dynamic_stack: false
    .vgpr_count:     159
    .vgpr_spill_count: 0
    .wavefront_size: 32
    .workgroup_processor_mode: 1
  - .args:
      - .offset:         0
        .size:           4
        .value_kind:     by_value
      - .offset:         4
        .size:           4
        .value_kind:     by_value
      - .offset:         8
        .size:           16
        .value_kind:     by_value
      - .offset:         24
        .size:           4
        .value_kind:     by_value
      - .actual_access:  read_only
        .address_space:  global
        .offset:         32
        .size:           8
        .value_kind:     global_buffer
      - .actual_access:  read_only
        .address_space:  global
        .offset:         40
        .size:           8
        .value_kind:     global_buffer
      - .actual_access:  read_only
        .address_space:  global
        .offset:         48
        .size:           8
        .value_kind:     global_buffer
      - .actual_access:  read_only
        .address_space:  global
        .offset:         56
        .size:           8
        .value_kind:     global_buffer
      - .actual_access:  read_only
        .address_space:  global
        .offset:         64
        .size:           8
        .value_kind:     global_buffer
      - .actual_access:  read_only
        .address_space:  global
        .offset:         72
        .size:           8
        .value_kind:     global_buffer
      - .offset:         80
        .size:           16
        .value_kind:     by_value
      - .address_space:  global
        .offset:         96
        .size:           8
        .value_kind:     global_buffer
      - .offset:         104
        .size:           4
        .value_kind:     by_value
      - .offset:         108
        .size:           1
        .value_kind:     by_value
    .group_segment_fixed_size: 0
    .kernarg_segment_align: 8
    .kernarg_segment_size: 112
    .language:       OpenCL C
    .language_version:
      - 2
      - 0
    .max_flat_workgroup_size: 128
    .name:           _ZN9rocsparseL18bsrxmvn_4x4_kernelILj128ELj16E21rocsparse_complex_numIdElidS2_S2_EEvT3_20rocsparse_direction_NS_24const_host_device_scalarIT1_EES3_PKS3_PKT2_SC_S9_PKT4_PKT5_S7_PT6_21rocsparse_index_base_b
    .private_segment_fixed_size: 0
    .sgpr_count:     18
    .sgpr_spill_count: 0
    .symbol:         _ZN9rocsparseL18bsrxmvn_4x4_kernelILj128ELj16E21rocsparse_complex_numIdElidS2_S2_EEvT3_20rocsparse_direction_NS_24const_host_device_scalarIT1_EES3_PKS3_PKT2_SC_S9_PKT4_PKT5_S7_PT6_21rocsparse_index_base_b.kd
    .uniform_work_group_size: 1
    .uses_dynamic_stack: false
    .vgpr_count:     159
    .vgpr_spill_count: 0
    .wavefront_size: 32
    .workgroup_processor_mode: 1
  - .args:
      - .offset:         0
        .size:           4
        .value_kind:     by_value
      - .offset:         4
        .size:           4
        .value_kind:     by_value
      - .offset:         8
        .size:           16
        .value_kind:     by_value
      - .offset:         24
        .size:           4
        .value_kind:     by_value
      - .actual_access:  read_only
        .address_space:  global
        .offset:         32
        .size:           8
        .value_kind:     global_buffer
      - .actual_access:  read_only
        .address_space:  global
        .offset:         40
        .size:           8
        .value_kind:     global_buffer
      - .actual_access:  read_only
        .address_space:  global
        .offset:         48
        .size:           8
        .value_kind:     global_buffer
      - .actual_access:  read_only
        .address_space:  global
        .offset:         56
        .size:           8
        .value_kind:     global_buffer
      - .actual_access:  read_only
        .address_space:  global
        .offset:         64
        .size:           8
        .value_kind:     global_buffer
      - .actual_access:  read_only
        .address_space:  global
        .offset:         72
        .size:           8
        .value_kind:     global_buffer
      - .offset:         80
        .size:           16
        .value_kind:     by_value
      - .address_space:  global
        .offset:         96
        .size:           8
        .value_kind:     global_buffer
      - .offset:         104
        .size:           4
        .value_kind:     by_value
      - .offset:         108
        .size:           1
        .value_kind:     by_value
    .group_segment_fixed_size: 0
    .kernarg_segment_align: 8
    .kernarg_segment_size: 112
    .language:       OpenCL C
    .language_version:
      - 2
      - 0
    .max_flat_workgroup_size: 128
    .name:           _ZN9rocsparseL18bsrxmvn_4x4_kernelILj128ELj32E21rocsparse_complex_numIdElidS2_S2_EEvT3_20rocsparse_direction_NS_24const_host_device_scalarIT1_EES3_PKS3_PKT2_SC_S9_PKT4_PKT5_S7_PT6_21rocsparse_index_base_b
    .private_segment_fixed_size: 0
    .sgpr_count:     18
    .sgpr_spill_count: 0
    .symbol:         _ZN9rocsparseL18bsrxmvn_4x4_kernelILj128ELj32E21rocsparse_complex_numIdElidS2_S2_EEvT3_20rocsparse_direction_NS_24const_host_device_scalarIT1_EES3_PKS3_PKT2_SC_S9_PKT4_PKT5_S7_PT6_21rocsparse_index_base_b.kd
    .uniform_work_group_size: 1
    .uses_dynamic_stack: false
    .vgpr_count:     159
    .vgpr_spill_count: 0
    .wavefront_size: 32
    .workgroup_processor_mode: 1
  - .args:
      - .offset:         0
        .size:           4
        .value_kind:     by_value
      - .offset:         4
        .size:           4
        .value_kind:     by_value
      - .offset:         8
        .size:           16
        .value_kind:     by_value
      - .offset:         24
        .size:           4
        .value_kind:     by_value
      - .actual_access:  read_only
        .address_space:  global
        .offset:         32
        .size:           8
        .value_kind:     global_buffer
      - .actual_access:  read_only
        .address_space:  global
        .offset:         40
        .size:           8
        .value_kind:     global_buffer
      - .actual_access:  read_only
        .address_space:  global
        .offset:         48
        .size:           8
        .value_kind:     global_buffer
      - .actual_access:  read_only
        .address_space:  global
        .offset:         56
        .size:           8
        .value_kind:     global_buffer
      - .actual_access:  read_only
        .address_space:  global
        .offset:         64
        .size:           8
        .value_kind:     global_buffer
      - .actual_access:  read_only
        .address_space:  global
        .offset:         72
        .size:           8
        .value_kind:     global_buffer
      - .offset:         80
        .size:           16
        .value_kind:     by_value
      - .address_space:  global
        .offset:         96
        .size:           8
        .value_kind:     global_buffer
      - .offset:         104
        .size:           4
        .value_kind:     by_value
      - .offset:         108
        .size:           1
        .value_kind:     by_value
    .group_segment_fixed_size: 0
    .kernarg_segment_align: 8
    .kernarg_segment_size: 112
    .language:       OpenCL C
    .language_version:
      - 2
      - 0
    .max_flat_workgroup_size: 128
    .name:           _ZN9rocsparseL18bsrxmvn_4x4_kernelILj128ELj64E21rocsparse_complex_numIdElidS2_S2_EEvT3_20rocsparse_direction_NS_24const_host_device_scalarIT1_EES3_PKS3_PKT2_SC_S9_PKT4_PKT5_S7_PT6_21rocsparse_index_base_b
    .private_segment_fixed_size: 0
    .sgpr_count:     18
    .sgpr_spill_count: 0
    .symbol:         _ZN9rocsparseL18bsrxmvn_4x4_kernelILj128ELj64E21rocsparse_complex_numIdElidS2_S2_EEvT3_20rocsparse_direction_NS_24const_host_device_scalarIT1_EES3_PKS3_PKT2_SC_S9_PKT4_PKT5_S7_PT6_21rocsparse_index_base_b.kd
    .uniform_work_group_size: 1
    .uses_dynamic_stack: false
    .vgpr_count:     159
    .vgpr_spill_count: 0
    .wavefront_size: 32
    .workgroup_processor_mode: 1
  - .args:
      - .offset:         0
        .size:           8
        .value_kind:     by_value
      - .offset:         8
        .size:           4
        .value_kind:     by_value
      - .offset:         16
        .size:           16
        .value_kind:     by_value
      - .offset:         32
        .size:           8
        .value_kind:     by_value
      - .actual_access:  read_only
        .address_space:  global
        .offset:         40
        .size:           8
        .value_kind:     global_buffer
      - .actual_access:  read_only
        .address_space:  global
        .offset:         48
        .size:           8
        .value_kind:     global_buffer
      - .actual_access:  read_only
        .address_space:  global
        .offset:         56
        .size:           8
        .value_kind:     global_buffer
      - .actual_access:  read_only
        .address_space:  global
        .offset:         64
        .size:           8
        .value_kind:     global_buffer
      - .actual_access:  read_only
        .address_space:  global
        .offset:         72
        .size:           8
        .value_kind:     global_buffer
      - .actual_access:  read_only
        .address_space:  global
        .offset:         80
        .size:           8
        .value_kind:     global_buffer
      - .offset:         88
        .size:           16
        .value_kind:     by_value
      - .address_space:  global
        .offset:         104
        .size:           8
        .value_kind:     global_buffer
      - .offset:         112
        .size:           4
        .value_kind:     by_value
      - .offset:         116
        .size:           1
        .value_kind:     by_value
    .group_segment_fixed_size: 0
    .kernarg_segment_align: 8
    .kernarg_segment_size: 120
    .language:       OpenCL C
    .language_version:
      - 2
      - 0
    .max_flat_workgroup_size: 128
    .name:           _ZN9rocsparseL18bsrxmvn_4x4_kernelILj128ELj4E21rocsparse_complex_numIdElldS2_S2_EEvT3_20rocsparse_direction_NS_24const_host_device_scalarIT1_EES3_PKS3_PKT2_SC_S9_PKT4_PKT5_S7_PT6_21rocsparse_index_base_b
    .private_segment_fixed_size: 0
    .sgpr_count:     18
    .sgpr_spill_count: 0
    .symbol:         _ZN9rocsparseL18bsrxmvn_4x4_kernelILj128ELj4E21rocsparse_complex_numIdElldS2_S2_EEvT3_20rocsparse_direction_NS_24const_host_device_scalarIT1_EES3_PKS3_PKT2_SC_S9_PKT4_PKT5_S7_PT6_21rocsparse_index_base_b.kd
    .uniform_work_group_size: 1
    .uses_dynamic_stack: false
    .vgpr_count:     159
    .vgpr_spill_count: 0
    .wavefront_size: 32
    .workgroup_processor_mode: 1
  - .args:
      - .offset:         0
        .size:           8
        .value_kind:     by_value
      - .offset:         8
        .size:           4
        .value_kind:     by_value
      - .offset:         16
        .size:           16
        .value_kind:     by_value
      - .offset:         32
        .size:           8
        .value_kind:     by_value
      - .actual_access:  read_only
        .address_space:  global
        .offset:         40
        .size:           8
        .value_kind:     global_buffer
      - .actual_access:  read_only
        .address_space:  global
        .offset:         48
        .size:           8
        .value_kind:     global_buffer
      - .actual_access:  read_only
        .address_space:  global
        .offset:         56
        .size:           8
        .value_kind:     global_buffer
      - .actual_access:  read_only
        .address_space:  global
        .offset:         64
        .size:           8
        .value_kind:     global_buffer
      - .actual_access:  read_only
        .address_space:  global
        .offset:         72
        .size:           8
        .value_kind:     global_buffer
      - .actual_access:  read_only
        .address_space:  global
        .offset:         80
        .size:           8
        .value_kind:     global_buffer
      - .offset:         88
        .size:           16
        .value_kind:     by_value
      - .address_space:  global
        .offset:         104
        .size:           8
        .value_kind:     global_buffer
      - .offset:         112
        .size:           4
        .value_kind:     by_value
      - .offset:         116
        .size:           1
        .value_kind:     by_value
    .group_segment_fixed_size: 0
    .kernarg_segment_align: 8
    .kernarg_segment_size: 120
    .language:       OpenCL C
    .language_version:
      - 2
      - 0
    .max_flat_workgroup_size: 128
    .name:           _ZN9rocsparseL18bsrxmvn_4x4_kernelILj128ELj8E21rocsparse_complex_numIdElldS2_S2_EEvT3_20rocsparse_direction_NS_24const_host_device_scalarIT1_EES3_PKS3_PKT2_SC_S9_PKT4_PKT5_S7_PT6_21rocsparse_index_base_b
    .private_segment_fixed_size: 0
    .sgpr_count:     18
    .sgpr_spill_count: 0
    .symbol:         _ZN9rocsparseL18bsrxmvn_4x4_kernelILj128ELj8E21rocsparse_complex_numIdElldS2_S2_EEvT3_20rocsparse_direction_NS_24const_host_device_scalarIT1_EES3_PKS3_PKT2_SC_S9_PKT4_PKT5_S7_PT6_21rocsparse_index_base_b.kd
    .uniform_work_group_size: 1
    .uses_dynamic_stack: false
    .vgpr_count:     157
    .vgpr_spill_count: 0
    .wavefront_size: 32
    .workgroup_processor_mode: 1
  - .args:
      - .offset:         0
        .size:           8
        .value_kind:     by_value
      - .offset:         8
        .size:           4
        .value_kind:     by_value
      - .offset:         16
        .size:           16
        .value_kind:     by_value
      - .offset:         32
        .size:           8
        .value_kind:     by_value
      - .actual_access:  read_only
        .address_space:  global
        .offset:         40
        .size:           8
        .value_kind:     global_buffer
      - .actual_access:  read_only
        .address_space:  global
        .offset:         48
        .size:           8
        .value_kind:     global_buffer
      - .actual_access:  read_only
        .address_space:  global
        .offset:         56
        .size:           8
        .value_kind:     global_buffer
      - .actual_access:  read_only
        .address_space:  global
        .offset:         64
        .size:           8
        .value_kind:     global_buffer
      - .actual_access:  read_only
        .address_space:  global
        .offset:         72
        .size:           8
        .value_kind:     global_buffer
      - .actual_access:  read_only
        .address_space:  global
        .offset:         80
        .size:           8
        .value_kind:     global_buffer
      - .offset:         88
        .size:           16
        .value_kind:     by_value
      - .address_space:  global
        .offset:         104
        .size:           8
        .value_kind:     global_buffer
      - .offset:         112
        .size:           4
        .value_kind:     by_value
      - .offset:         116
        .size:           1
        .value_kind:     by_value
    .group_segment_fixed_size: 0
    .kernarg_segment_align: 8
    .kernarg_segment_size: 120
    .language:       OpenCL C
    .language_version:
      - 2
      - 0
    .max_flat_workgroup_size: 128
    .name:           _ZN9rocsparseL18bsrxmvn_4x4_kernelILj128ELj16E21rocsparse_complex_numIdElldS2_S2_EEvT3_20rocsparse_direction_NS_24const_host_device_scalarIT1_EES3_PKS3_PKT2_SC_S9_PKT4_PKT5_S7_PT6_21rocsparse_index_base_b
    .private_segment_fixed_size: 0
    .sgpr_count:     18
    .sgpr_spill_count: 0
    .symbol:         _ZN9rocsparseL18bsrxmvn_4x4_kernelILj128ELj16E21rocsparse_complex_numIdElldS2_S2_EEvT3_20rocsparse_direction_NS_24const_host_device_scalarIT1_EES3_PKS3_PKT2_SC_S9_PKT4_PKT5_S7_PT6_21rocsparse_index_base_b.kd
    .uniform_work_group_size: 1
    .uses_dynamic_stack: false
    .vgpr_count:     159
    .vgpr_spill_count: 0
    .wavefront_size: 32
    .workgroup_processor_mode: 1
  - .args:
      - .offset:         0
        .size:           8
        .value_kind:     by_value
      - .offset:         8
        .size:           4
        .value_kind:     by_value
      - .offset:         16
        .size:           16
        .value_kind:     by_value
      - .offset:         32
        .size:           8
        .value_kind:     by_value
      - .actual_access:  read_only
        .address_space:  global
        .offset:         40
        .size:           8
        .value_kind:     global_buffer
      - .actual_access:  read_only
        .address_space:  global
        .offset:         48
        .size:           8
        .value_kind:     global_buffer
      - .actual_access:  read_only
        .address_space:  global
        .offset:         56
        .size:           8
        .value_kind:     global_buffer
      - .actual_access:  read_only
        .address_space:  global
        .offset:         64
        .size:           8
        .value_kind:     global_buffer
      - .actual_access:  read_only
        .address_space:  global
        .offset:         72
        .size:           8
        .value_kind:     global_buffer
      - .actual_access:  read_only
        .address_space:  global
        .offset:         80
        .size:           8
        .value_kind:     global_buffer
      - .offset:         88
        .size:           16
        .value_kind:     by_value
      - .address_space:  global
        .offset:         104
        .size:           8
        .value_kind:     global_buffer
      - .offset:         112
        .size:           4
        .value_kind:     by_value
      - .offset:         116
        .size:           1
        .value_kind:     by_value
    .group_segment_fixed_size: 0
    .kernarg_segment_align: 8
    .kernarg_segment_size: 120
    .language:       OpenCL C
    .language_version:
      - 2
      - 0
    .max_flat_workgroup_size: 128
    .name:           _ZN9rocsparseL18bsrxmvn_4x4_kernelILj128ELj32E21rocsparse_complex_numIdElldS2_S2_EEvT3_20rocsparse_direction_NS_24const_host_device_scalarIT1_EES3_PKS3_PKT2_SC_S9_PKT4_PKT5_S7_PT6_21rocsparse_index_base_b
    .private_segment_fixed_size: 0
    .sgpr_count:     18
    .sgpr_spill_count: 0
    .symbol:         _ZN9rocsparseL18bsrxmvn_4x4_kernelILj128ELj32E21rocsparse_complex_numIdElldS2_S2_EEvT3_20rocsparse_direction_NS_24const_host_device_scalarIT1_EES3_PKS3_PKT2_SC_S9_PKT4_PKT5_S7_PT6_21rocsparse_index_base_b.kd
    .uniform_work_group_size: 1
    .uses_dynamic_stack: false
    .vgpr_count:     159
    .vgpr_spill_count: 0
    .wavefront_size: 32
    .workgroup_processor_mode: 1
  - .args:
      - .offset:         0
        .size:           8
        .value_kind:     by_value
      - .offset:         8
        .size:           4
        .value_kind:     by_value
      - .offset:         16
        .size:           16
        .value_kind:     by_value
      - .offset:         32
        .size:           8
        .value_kind:     by_value
      - .actual_access:  read_only
        .address_space:  global
        .offset:         40
        .size:           8
        .value_kind:     global_buffer
      - .actual_access:  read_only
        .address_space:  global
        .offset:         48
        .size:           8
        .value_kind:     global_buffer
      - .actual_access:  read_only
        .address_space:  global
        .offset:         56
        .size:           8
        .value_kind:     global_buffer
      - .actual_access:  read_only
        .address_space:  global
        .offset:         64
        .size:           8
        .value_kind:     global_buffer
      - .actual_access:  read_only
        .address_space:  global
        .offset:         72
        .size:           8
        .value_kind:     global_buffer
      - .actual_access:  read_only
        .address_space:  global
        .offset:         80
        .size:           8
        .value_kind:     global_buffer
      - .offset:         88
        .size:           16
        .value_kind:     by_value
      - .address_space:  global
        .offset:         104
        .size:           8
        .value_kind:     global_buffer
      - .offset:         112
        .size:           4
        .value_kind:     by_value
      - .offset:         116
        .size:           1
        .value_kind:     by_value
    .group_segment_fixed_size: 0
    .kernarg_segment_align: 8
    .kernarg_segment_size: 120
    .language:       OpenCL C
    .language_version:
      - 2
      - 0
    .max_flat_workgroup_size: 128
    .name:           _ZN9rocsparseL18bsrxmvn_4x4_kernelILj128ELj64E21rocsparse_complex_numIdElldS2_S2_EEvT3_20rocsparse_direction_NS_24const_host_device_scalarIT1_EES3_PKS3_PKT2_SC_S9_PKT4_PKT5_S7_PT6_21rocsparse_index_base_b
    .private_segment_fixed_size: 0
    .sgpr_count:     18
    .sgpr_spill_count: 0
    .symbol:         _ZN9rocsparseL18bsrxmvn_4x4_kernelILj128ELj64E21rocsparse_complex_numIdElldS2_S2_EEvT3_20rocsparse_direction_NS_24const_host_device_scalarIT1_EES3_PKS3_PKT2_SC_S9_PKT4_PKT5_S7_PT6_21rocsparse_index_base_b.kd
    .uniform_work_group_size: 1
    .uses_dynamic_stack: false
    .vgpr_count:     159
    .vgpr_spill_count: 0
    .wavefront_size: 32
    .workgroup_processor_mode: 1
  - .args:
      - .offset:         0
        .size:           4
        .value_kind:     by_value
      - .offset:         4
        .size:           4
        .value_kind:     by_value
      - .offset:         8
        .size:           8
        .value_kind:     by_value
      - .offset:         16
        .size:           4
        .value_kind:     by_value
      - .actual_access:  read_only
        .address_space:  global
        .offset:         24
        .size:           8
        .value_kind:     global_buffer
      - .actual_access:  read_only
        .address_space:  global
        .offset:         32
        .size:           8
        .value_kind:     global_buffer
      - .actual_access:  read_only
        .address_space:  global
        .offset:         40
        .size:           8
        .value_kind:     global_buffer
      - .actual_access:  read_only
        .address_space:  global
        .offset:         48
        .size:           8
        .value_kind:     global_buffer
      - .actual_access:  read_only
        .address_space:  global
        .offset:         56
        .size:           8
        .value_kind:     global_buffer
      - .actual_access:  read_only
        .address_space:  global
        .offset:         64
        .size:           8
        .value_kind:     global_buffer
      - .offset:         72
        .size:           8
        .value_kind:     by_value
      - .address_space:  global
        .offset:         80
        .size:           8
        .value_kind:     global_buffer
      - .offset:         88
        .size:           4
        .value_kind:     by_value
      - .offset:         92
        .size:           1
        .value_kind:     by_value
    .group_segment_fixed_size: 0
    .kernarg_segment_align: 8
    .kernarg_segment_size: 96
    .language:       OpenCL C
    .language_version:
      - 2
      - 0
    .max_flat_workgroup_size: 128
    .name:           _ZN9rocsparseL18bsrxmvn_4x4_kernelILj128ELj4EdiifddEEvT3_20rocsparse_direction_NS_24const_host_device_scalarIT1_EES1_PKS1_PKT2_SA_S7_PKT4_PKT5_S5_PT6_21rocsparse_index_base_b
    .private_segment_fixed_size: 0
    .sgpr_count:     18
    .sgpr_spill_count: 0
    .symbol:         _ZN9rocsparseL18bsrxmvn_4x4_kernelILj128ELj4EdiifddEEvT3_20rocsparse_direction_NS_24const_host_device_scalarIT1_EES1_PKS1_PKT2_SA_S7_PKT4_PKT5_S5_PT6_21rocsparse_index_base_b.kd
    .uniform_work_group_size: 1
    .uses_dynamic_stack: false
    .vgpr_count:     112
    .vgpr_spill_count: 0
    .wavefront_size: 32
    .workgroup_processor_mode: 1
  - .args:
      - .offset:         0
        .size:           4
        .value_kind:     by_value
      - .offset:         4
        .size:           4
        .value_kind:     by_value
      - .offset:         8
        .size:           8
        .value_kind:     by_value
      - .offset:         16
        .size:           4
        .value_kind:     by_value
      - .actual_access:  read_only
        .address_space:  global
        .offset:         24
        .size:           8
        .value_kind:     global_buffer
      - .actual_access:  read_only
        .address_space:  global
        .offset:         32
        .size:           8
        .value_kind:     global_buffer
      - .actual_access:  read_only
        .address_space:  global
        .offset:         40
        .size:           8
        .value_kind:     global_buffer
      - .actual_access:  read_only
        .address_space:  global
        .offset:         48
        .size:           8
        .value_kind:     global_buffer
      - .actual_access:  read_only
        .address_space:  global
        .offset:         56
        .size:           8
        .value_kind:     global_buffer
      - .actual_access:  read_only
        .address_space:  global
        .offset:         64
        .size:           8
        .value_kind:     global_buffer
      - .offset:         72
        .size:           8
        .value_kind:     by_value
      - .address_space:  global
        .offset:         80
        .size:           8
        .value_kind:     global_buffer
      - .offset:         88
        .size:           4
        .value_kind:     by_value
      - .offset:         92
        .size:           1
        .value_kind:     by_value
    .group_segment_fixed_size: 0
    .kernarg_segment_align: 8
    .kernarg_segment_size: 96
    .language:       OpenCL C
    .language_version:
      - 2
      - 0
    .max_flat_workgroup_size: 128
    .name:           _ZN9rocsparseL18bsrxmvn_4x4_kernelILj128ELj8EdiifddEEvT3_20rocsparse_direction_NS_24const_host_device_scalarIT1_EES1_PKS1_PKT2_SA_S7_PKT4_PKT5_S5_PT6_21rocsparse_index_base_b
    .private_segment_fixed_size: 0
    .sgpr_count:     18
    .sgpr_spill_count: 0
    .symbol:         _ZN9rocsparseL18bsrxmvn_4x4_kernelILj128ELj8EdiifddEEvT3_20rocsparse_direction_NS_24const_host_device_scalarIT1_EES1_PKS1_PKT2_SA_S7_PKT4_PKT5_S5_PT6_21rocsparse_index_base_b.kd
    .uniform_work_group_size: 1
    .uses_dynamic_stack: false
    .vgpr_count:     112
    .vgpr_spill_count: 0
    .wavefront_size: 32
    .workgroup_processor_mode: 1
  - .args:
      - .offset:         0
        .size:           4
        .value_kind:     by_value
      - .offset:         4
        .size:           4
        .value_kind:     by_value
      - .offset:         8
        .size:           8
        .value_kind:     by_value
      - .offset:         16
        .size:           4
        .value_kind:     by_value
      - .actual_access:  read_only
        .address_space:  global
        .offset:         24
        .size:           8
        .value_kind:     global_buffer
      - .actual_access:  read_only
        .address_space:  global
        .offset:         32
        .size:           8
        .value_kind:     global_buffer
      - .actual_access:  read_only
        .address_space:  global
        .offset:         40
        .size:           8
        .value_kind:     global_buffer
      - .actual_access:  read_only
        .address_space:  global
        .offset:         48
        .size:           8
        .value_kind:     global_buffer
      - .actual_access:  read_only
        .address_space:  global
        .offset:         56
        .size:           8
        .value_kind:     global_buffer
      - .actual_access:  read_only
        .address_space:  global
        .offset:         64
        .size:           8
        .value_kind:     global_buffer
      - .offset:         72
        .size:           8
        .value_kind:     by_value
      - .address_space:  global
        .offset:         80
        .size:           8
        .value_kind:     global_buffer
      - .offset:         88
        .size:           4
        .value_kind:     by_value
      - .offset:         92
        .size:           1
        .value_kind:     by_value
    .group_segment_fixed_size: 0
    .kernarg_segment_align: 8
    .kernarg_segment_size: 96
    .language:       OpenCL C
    .language_version:
      - 2
      - 0
    .max_flat_workgroup_size: 128
    .name:           _ZN9rocsparseL18bsrxmvn_4x4_kernelILj128ELj16EdiifddEEvT3_20rocsparse_direction_NS_24const_host_device_scalarIT1_EES1_PKS1_PKT2_SA_S7_PKT4_PKT5_S5_PT6_21rocsparse_index_base_b
    .private_segment_fixed_size: 0
    .sgpr_count:     18
    .sgpr_spill_count: 0
    .symbol:         _ZN9rocsparseL18bsrxmvn_4x4_kernelILj128ELj16EdiifddEEvT3_20rocsparse_direction_NS_24const_host_device_scalarIT1_EES1_PKS1_PKT2_SA_S7_PKT4_PKT5_S5_PT6_21rocsparse_index_base_b.kd
    .uniform_work_group_size: 1
    .uses_dynamic_stack: false
    .vgpr_count:     110
    .vgpr_spill_count: 0
    .wavefront_size: 32
    .workgroup_processor_mode: 1
  - .args:
      - .offset:         0
        .size:           4
        .value_kind:     by_value
      - .offset:         4
        .size:           4
        .value_kind:     by_value
      - .offset:         8
        .size:           8
        .value_kind:     by_value
      - .offset:         16
        .size:           4
        .value_kind:     by_value
      - .actual_access:  read_only
        .address_space:  global
        .offset:         24
        .size:           8
        .value_kind:     global_buffer
      - .actual_access:  read_only
        .address_space:  global
        .offset:         32
        .size:           8
        .value_kind:     global_buffer
      - .actual_access:  read_only
        .address_space:  global
        .offset:         40
        .size:           8
        .value_kind:     global_buffer
      - .actual_access:  read_only
        .address_space:  global
        .offset:         48
        .size:           8
        .value_kind:     global_buffer
      - .actual_access:  read_only
        .address_space:  global
        .offset:         56
        .size:           8
        .value_kind:     global_buffer
      - .actual_access:  read_only
        .address_space:  global
        .offset:         64
        .size:           8
        .value_kind:     global_buffer
      - .offset:         72
        .size:           8
        .value_kind:     by_value
      - .address_space:  global
        .offset:         80
        .size:           8
        .value_kind:     global_buffer
      - .offset:         88
        .size:           4
        .value_kind:     by_value
      - .offset:         92
        .size:           1
        .value_kind:     by_value
    .group_segment_fixed_size: 0
    .kernarg_segment_align: 8
    .kernarg_segment_size: 96
    .language:       OpenCL C
    .language_version:
      - 2
      - 0
    .max_flat_workgroup_size: 128
    .name:           _ZN9rocsparseL18bsrxmvn_4x4_kernelILj128ELj32EdiifddEEvT3_20rocsparse_direction_NS_24const_host_device_scalarIT1_EES1_PKS1_PKT2_SA_S7_PKT4_PKT5_S5_PT6_21rocsparse_index_base_b
    .private_segment_fixed_size: 0
    .sgpr_count:     18
    .sgpr_spill_count: 0
    .symbol:         _ZN9rocsparseL18bsrxmvn_4x4_kernelILj128ELj32EdiifddEEvT3_20rocsparse_direction_NS_24const_host_device_scalarIT1_EES1_PKS1_PKT2_SA_S7_PKT4_PKT5_S5_PT6_21rocsparse_index_base_b.kd
    .uniform_work_group_size: 1
    .uses_dynamic_stack: false
    .vgpr_count:     120
    .vgpr_spill_count: 0
    .wavefront_size: 32
    .workgroup_processor_mode: 1
  - .args:
      - .offset:         0
        .size:           4
        .value_kind:     by_value
      - .offset:         4
        .size:           4
        .value_kind:     by_value
      - .offset:         8
        .size:           8
        .value_kind:     by_value
      - .offset:         16
        .size:           4
        .value_kind:     by_value
      - .actual_access:  read_only
        .address_space:  global
        .offset:         24
        .size:           8
        .value_kind:     global_buffer
      - .actual_access:  read_only
        .address_space:  global
        .offset:         32
        .size:           8
        .value_kind:     global_buffer
      - .actual_access:  read_only
        .address_space:  global
        .offset:         40
        .size:           8
        .value_kind:     global_buffer
      - .actual_access:  read_only
        .address_space:  global
        .offset:         48
        .size:           8
        .value_kind:     global_buffer
      - .actual_access:  read_only
        .address_space:  global
        .offset:         56
        .size:           8
        .value_kind:     global_buffer
      - .actual_access:  read_only
        .address_space:  global
        .offset:         64
        .size:           8
        .value_kind:     global_buffer
      - .offset:         72
        .size:           8
        .value_kind:     by_value
      - .address_space:  global
        .offset:         80
        .size:           8
        .value_kind:     global_buffer
      - .offset:         88
        .size:           4
        .value_kind:     by_value
      - .offset:         92
        .size:           1
        .value_kind:     by_value
    .group_segment_fixed_size: 0
    .kernarg_segment_align: 8
    .kernarg_segment_size: 96
    .language:       OpenCL C
    .language_version:
      - 2
      - 0
    .max_flat_workgroup_size: 128
    .name:           _ZN9rocsparseL18bsrxmvn_4x4_kernelILj128ELj64EdiifddEEvT3_20rocsparse_direction_NS_24const_host_device_scalarIT1_EES1_PKS1_PKT2_SA_S7_PKT4_PKT5_S5_PT6_21rocsparse_index_base_b
    .private_segment_fixed_size: 0
    .sgpr_count:     18
    .sgpr_spill_count: 0
    .symbol:         _ZN9rocsparseL18bsrxmvn_4x4_kernelILj128ELj64EdiifddEEvT3_20rocsparse_direction_NS_24const_host_device_scalarIT1_EES1_PKS1_PKT2_SA_S7_PKT4_PKT5_S5_PT6_21rocsparse_index_base_b.kd
    .uniform_work_group_size: 1
    .uses_dynamic_stack: false
    .vgpr_count:     112
    .vgpr_spill_count: 0
    .wavefront_size: 32
    .workgroup_processor_mode: 1
  - .args:
      - .offset:         0
        .size:           4
        .value_kind:     by_value
      - .offset:         4
        .size:           4
        .value_kind:     by_value
      - .offset:         8
        .size:           8
        .value_kind:     by_value
      - .offset:         16
        .size:           4
        .value_kind:     by_value
      - .actual_access:  read_only
        .address_space:  global
        .offset:         24
        .size:           8
        .value_kind:     global_buffer
      - .actual_access:  read_only
        .address_space:  global
        .offset:         32
        .size:           8
        .value_kind:     global_buffer
      - .actual_access:  read_only
        .address_space:  global
        .offset:         40
        .size:           8
        .value_kind:     global_buffer
      - .actual_access:  read_only
        .address_space:  global
        .offset:         48
        .size:           8
        .value_kind:     global_buffer
      - .actual_access:  read_only
        .address_space:  global
        .offset:         56
        .size:           8
        .value_kind:     global_buffer
      - .actual_access:  read_only
        .address_space:  global
        .offset:         64
        .size:           8
        .value_kind:     global_buffer
      - .offset:         72
        .size:           8
        .value_kind:     by_value
      - .address_space:  global
        .offset:         80
        .size:           8
        .value_kind:     global_buffer
      - .offset:         88
        .size:           4
        .value_kind:     by_value
      - .offset:         92
        .size:           1
        .value_kind:     by_value
    .group_segment_fixed_size: 0
    .kernarg_segment_align: 8
    .kernarg_segment_size: 96
    .language:       OpenCL C
    .language_version:
      - 2
      - 0
    .max_flat_workgroup_size: 128
    .name:           _ZN9rocsparseL18bsrxmvn_4x4_kernelILj128ELj4EdlifddEEvT3_20rocsparse_direction_NS_24const_host_device_scalarIT1_EES1_PKS1_PKT2_SA_S7_PKT4_PKT5_S5_PT6_21rocsparse_index_base_b
    .private_segment_fixed_size: 0
    .sgpr_count:     18
    .sgpr_spill_count: 0
    .symbol:         _ZN9rocsparseL18bsrxmvn_4x4_kernelILj128ELj4EdlifddEEvT3_20rocsparse_direction_NS_24const_host_device_scalarIT1_EES1_PKS1_PKT2_SA_S7_PKT4_PKT5_S5_PT6_21rocsparse_index_base_b.kd
    .uniform_work_group_size: 1
    .uses_dynamic_stack: false
    .vgpr_count:     132
    .vgpr_spill_count: 0
    .wavefront_size: 32
    .workgroup_processor_mode: 1
  - .args:
      - .offset:         0
        .size:           4
        .value_kind:     by_value
      - .offset:         4
        .size:           4
        .value_kind:     by_value
      - .offset:         8
        .size:           8
        .value_kind:     by_value
      - .offset:         16
        .size:           4
        .value_kind:     by_value
      - .actual_access:  read_only
        .address_space:  global
        .offset:         24
        .size:           8
        .value_kind:     global_buffer
      - .actual_access:  read_only
        .address_space:  global
        .offset:         32
        .size:           8
        .value_kind:     global_buffer
      - .actual_access:  read_only
        .address_space:  global
        .offset:         40
        .size:           8
        .value_kind:     global_buffer
      - .actual_access:  read_only
        .address_space:  global
        .offset:         48
        .size:           8
        .value_kind:     global_buffer
      - .actual_access:  read_only
        .address_space:  global
        .offset:         56
        .size:           8
        .value_kind:     global_buffer
      - .actual_access:  read_only
        .address_space:  global
        .offset:         64
        .size:           8
        .value_kind:     global_buffer
      - .offset:         72
        .size:           8
        .value_kind:     by_value
      - .address_space:  global
        .offset:         80
        .size:           8
        .value_kind:     global_buffer
      - .offset:         88
        .size:           4
        .value_kind:     by_value
      - .offset:         92
        .size:           1
        .value_kind:     by_value
    .group_segment_fixed_size: 0
    .kernarg_segment_align: 8
    .kernarg_segment_size: 96
    .language:       OpenCL C
    .language_version:
      - 2
      - 0
    .max_flat_workgroup_size: 128
    .name:           _ZN9rocsparseL18bsrxmvn_4x4_kernelILj128ELj8EdlifddEEvT3_20rocsparse_direction_NS_24const_host_device_scalarIT1_EES1_PKS1_PKT2_SA_S7_PKT4_PKT5_S5_PT6_21rocsparse_index_base_b
    .private_segment_fixed_size: 0
    .sgpr_count:     18
    .sgpr_spill_count: 0
    .symbol:         _ZN9rocsparseL18bsrxmvn_4x4_kernelILj128ELj8EdlifddEEvT3_20rocsparse_direction_NS_24const_host_device_scalarIT1_EES1_PKS1_PKT2_SA_S7_PKT4_PKT5_S5_PT6_21rocsparse_index_base_b.kd
    .uniform_work_group_size: 1
    .uses_dynamic_stack: false
    .vgpr_count:     132
    .vgpr_spill_count: 0
    .wavefront_size: 32
    .workgroup_processor_mode: 1
  - .args:
      - .offset:         0
        .size:           4
        .value_kind:     by_value
      - .offset:         4
        .size:           4
        .value_kind:     by_value
      - .offset:         8
        .size:           8
        .value_kind:     by_value
      - .offset:         16
        .size:           4
        .value_kind:     by_value
      - .actual_access:  read_only
        .address_space:  global
        .offset:         24
        .size:           8
        .value_kind:     global_buffer
      - .actual_access:  read_only
        .address_space:  global
        .offset:         32
        .size:           8
        .value_kind:     global_buffer
      - .actual_access:  read_only
        .address_space:  global
        .offset:         40
        .size:           8
        .value_kind:     global_buffer
      - .actual_access:  read_only
        .address_space:  global
        .offset:         48
        .size:           8
        .value_kind:     global_buffer
      - .actual_access:  read_only
        .address_space:  global
        .offset:         56
        .size:           8
        .value_kind:     global_buffer
      - .actual_access:  read_only
        .address_space:  global
        .offset:         64
        .size:           8
        .value_kind:     global_buffer
      - .offset:         72
        .size:           8
        .value_kind:     by_value
      - .address_space:  global
        .offset:         80
        .size:           8
        .value_kind:     global_buffer
      - .offset:         88
        .size:           4
        .value_kind:     by_value
      - .offset:         92
        .size:           1
        .value_kind:     by_value
    .group_segment_fixed_size: 0
    .kernarg_segment_align: 8
    .kernarg_segment_size: 96
    .language:       OpenCL C
    .language_version:
      - 2
      - 0
    .max_flat_workgroup_size: 128
    .name:           _ZN9rocsparseL18bsrxmvn_4x4_kernelILj128ELj16EdlifddEEvT3_20rocsparse_direction_NS_24const_host_device_scalarIT1_EES1_PKS1_PKT2_SA_S7_PKT4_PKT5_S5_PT6_21rocsparse_index_base_b
    .private_segment_fixed_size: 0
    .sgpr_count:     18
    .sgpr_spill_count: 0
    .symbol:         _ZN9rocsparseL18bsrxmvn_4x4_kernelILj128ELj16EdlifddEEvT3_20rocsparse_direction_NS_24const_host_device_scalarIT1_EES1_PKS1_PKT2_SA_S7_PKT4_PKT5_S5_PT6_21rocsparse_index_base_b.kd
    .uniform_work_group_size: 1
    .uses_dynamic_stack: false
    .vgpr_count:     132
    .vgpr_spill_count: 0
    .wavefront_size: 32
    .workgroup_processor_mode: 1
  - .args:
      - .offset:         0
        .size:           4
        .value_kind:     by_value
      - .offset:         4
        .size:           4
        .value_kind:     by_value
      - .offset:         8
        .size:           8
        .value_kind:     by_value
      - .offset:         16
        .size:           4
        .value_kind:     by_value
      - .actual_access:  read_only
        .address_space:  global
        .offset:         24
        .size:           8
        .value_kind:     global_buffer
      - .actual_access:  read_only
        .address_space:  global
        .offset:         32
        .size:           8
        .value_kind:     global_buffer
      - .actual_access:  read_only
        .address_space:  global
        .offset:         40
        .size:           8
        .value_kind:     global_buffer
      - .actual_access:  read_only
        .address_space:  global
        .offset:         48
        .size:           8
        .value_kind:     global_buffer
      - .actual_access:  read_only
        .address_space:  global
        .offset:         56
        .size:           8
        .value_kind:     global_buffer
      - .actual_access:  read_only
        .address_space:  global
        .offset:         64
        .size:           8
        .value_kind:     global_buffer
      - .offset:         72
        .size:           8
        .value_kind:     by_value
      - .address_space:  global
        .offset:         80
        .size:           8
        .value_kind:     global_buffer
      - .offset:         88
        .size:           4
        .value_kind:     by_value
      - .offset:         92
        .size:           1
        .value_kind:     by_value
    .group_segment_fixed_size: 0
    .kernarg_segment_align: 8
    .kernarg_segment_size: 96
    .language:       OpenCL C
    .language_version:
      - 2
      - 0
    .max_flat_workgroup_size: 128
    .name:           _ZN9rocsparseL18bsrxmvn_4x4_kernelILj128ELj32EdlifddEEvT3_20rocsparse_direction_NS_24const_host_device_scalarIT1_EES1_PKS1_PKT2_SA_S7_PKT4_PKT5_S5_PT6_21rocsparse_index_base_b
    .private_segment_fixed_size: 0
    .sgpr_count:     18
    .sgpr_spill_count: 0
    .symbol:         _ZN9rocsparseL18bsrxmvn_4x4_kernelILj128ELj32EdlifddEEvT3_20rocsparse_direction_NS_24const_host_device_scalarIT1_EES1_PKS1_PKT2_SA_S7_PKT4_PKT5_S5_PT6_21rocsparse_index_base_b.kd
    .uniform_work_group_size: 1
    .uses_dynamic_stack: false
    .vgpr_count:     132
    .vgpr_spill_count: 0
    .wavefront_size: 32
    .workgroup_processor_mode: 1
  - .args:
      - .offset:         0
        .size:           4
        .value_kind:     by_value
      - .offset:         4
        .size:           4
        .value_kind:     by_value
      - .offset:         8
        .size:           8
        .value_kind:     by_value
      - .offset:         16
        .size:           4
        .value_kind:     by_value
      - .actual_access:  read_only
        .address_space:  global
        .offset:         24
        .size:           8
        .value_kind:     global_buffer
      - .actual_access:  read_only
        .address_space:  global
        .offset:         32
        .size:           8
        .value_kind:     global_buffer
      - .actual_access:  read_only
        .address_space:  global
        .offset:         40
        .size:           8
        .value_kind:     global_buffer
      - .actual_access:  read_only
        .address_space:  global
        .offset:         48
        .size:           8
        .value_kind:     global_buffer
      - .actual_access:  read_only
        .address_space:  global
        .offset:         56
        .size:           8
        .value_kind:     global_buffer
      - .actual_access:  read_only
        .address_space:  global
        .offset:         64
        .size:           8
        .value_kind:     global_buffer
      - .offset:         72
        .size:           8
        .value_kind:     by_value
      - .address_space:  global
        .offset:         80
        .size:           8
        .value_kind:     global_buffer
      - .offset:         88
        .size:           4
        .value_kind:     by_value
      - .offset:         92
        .size:           1
        .value_kind:     by_value
    .group_segment_fixed_size: 0
    .kernarg_segment_align: 8
    .kernarg_segment_size: 96
    .language:       OpenCL C
    .language_version:
      - 2
      - 0
    .max_flat_workgroup_size: 128
    .name:           _ZN9rocsparseL18bsrxmvn_4x4_kernelILj128ELj64EdlifddEEvT3_20rocsparse_direction_NS_24const_host_device_scalarIT1_EES1_PKS1_PKT2_SA_S7_PKT4_PKT5_S5_PT6_21rocsparse_index_base_b
    .private_segment_fixed_size: 0
    .sgpr_count:     18
    .sgpr_spill_count: 0
    .symbol:         _ZN9rocsparseL18bsrxmvn_4x4_kernelILj128ELj64EdlifddEEvT3_20rocsparse_direction_NS_24const_host_device_scalarIT1_EES1_PKS1_PKT2_SA_S7_PKT4_PKT5_S5_PT6_21rocsparse_index_base_b.kd
    .uniform_work_group_size: 1
    .uses_dynamic_stack: false
    .vgpr_count:     132
    .vgpr_spill_count: 0
    .wavefront_size: 32
    .workgroup_processor_mode: 1
  - .args:
      - .offset:         0
        .size:           8
        .value_kind:     by_value
      - .offset:         8
        .size:           4
        .value_kind:     by_value
      - .offset:         16
        .size:           8
        .value_kind:     by_value
      - .offset:         24
        .size:           8
        .value_kind:     by_value
      - .actual_access:  read_only
        .address_space:  global
        .offset:         32
        .size:           8
        .value_kind:     global_buffer
      - .actual_access:  read_only
        .address_space:  global
        .offset:         40
        .size:           8
        .value_kind:     global_buffer
      - .actual_access:  read_only
        .address_space:  global
        .offset:         48
        .size:           8
        .value_kind:     global_buffer
      - .actual_access:  read_only
        .address_space:  global
        .offset:         56
        .size:           8
        .value_kind:     global_buffer
      - .actual_access:  read_only
        .address_space:  global
        .offset:         64
        .size:           8
        .value_kind:     global_buffer
      - .actual_access:  read_only
        .address_space:  global
        .offset:         72
        .size:           8
        .value_kind:     global_buffer
      - .offset:         80
        .size:           8
        .value_kind:     by_value
      - .address_space:  global
        .offset:         88
        .size:           8
        .value_kind:     global_buffer
      - .offset:         96
        .size:           4
        .value_kind:     by_value
      - .offset:         100
        .size:           1
        .value_kind:     by_value
    .group_segment_fixed_size: 0
    .kernarg_segment_align: 8
    .kernarg_segment_size: 104
    .language:       OpenCL C
    .language_version:
      - 2
      - 0
    .max_flat_workgroup_size: 128
    .name:           _ZN9rocsparseL18bsrxmvn_4x4_kernelILj128ELj4EdllfddEEvT3_20rocsparse_direction_NS_24const_host_device_scalarIT1_EES1_PKS1_PKT2_SA_S7_PKT4_PKT5_S5_PT6_21rocsparse_index_base_b
    .private_segment_fixed_size: 0
    .sgpr_count:     18
    .sgpr_spill_count: 0
    .symbol:         _ZN9rocsparseL18bsrxmvn_4x4_kernelILj128ELj4EdllfddEEvT3_20rocsparse_direction_NS_24const_host_device_scalarIT1_EES1_PKS1_PKT2_SA_S7_PKT4_PKT5_S5_PT6_21rocsparse_index_base_b.kd
    .uniform_work_group_size: 1
    .uses_dynamic_stack: false
    .vgpr_count:     135
    .vgpr_spill_count: 0
    .wavefront_size: 32
    .workgroup_processor_mode: 1
  - .args:
      - .offset:         0
        .size:           8
        .value_kind:     by_value
      - .offset:         8
        .size:           4
        .value_kind:     by_value
      - .offset:         16
        .size:           8
        .value_kind:     by_value
      - .offset:         24
        .size:           8
        .value_kind:     by_value
      - .actual_access:  read_only
        .address_space:  global
        .offset:         32
        .size:           8
        .value_kind:     global_buffer
      - .actual_access:  read_only
        .address_space:  global
        .offset:         40
        .size:           8
        .value_kind:     global_buffer
      - .actual_access:  read_only
        .address_space:  global
        .offset:         48
        .size:           8
        .value_kind:     global_buffer
      - .actual_access:  read_only
        .address_space:  global
        .offset:         56
        .size:           8
        .value_kind:     global_buffer
      - .actual_access:  read_only
        .address_space:  global
        .offset:         64
        .size:           8
        .value_kind:     global_buffer
      - .actual_access:  read_only
        .address_space:  global
        .offset:         72
        .size:           8
        .value_kind:     global_buffer
      - .offset:         80
        .size:           8
        .value_kind:     by_value
      - .address_space:  global
        .offset:         88
        .size:           8
        .value_kind:     global_buffer
      - .offset:         96
        .size:           4
        .value_kind:     by_value
      - .offset:         100
        .size:           1
        .value_kind:     by_value
    .group_segment_fixed_size: 0
    .kernarg_segment_align: 8
    .kernarg_segment_size: 104
    .language:       OpenCL C
    .language_version:
      - 2
      - 0
    .max_flat_workgroup_size: 128
    .name:           _ZN9rocsparseL18bsrxmvn_4x4_kernelILj128ELj8EdllfddEEvT3_20rocsparse_direction_NS_24const_host_device_scalarIT1_EES1_PKS1_PKT2_SA_S7_PKT4_PKT5_S5_PT6_21rocsparse_index_base_b
    .private_segment_fixed_size: 0
    .sgpr_count:     18
    .sgpr_spill_count: 0
    .symbol:         _ZN9rocsparseL18bsrxmvn_4x4_kernelILj128ELj8EdllfddEEvT3_20rocsparse_direction_NS_24const_host_device_scalarIT1_EES1_PKS1_PKT2_SA_S7_PKT4_PKT5_S5_PT6_21rocsparse_index_base_b.kd
    .uniform_work_group_size: 1
    .uses_dynamic_stack: false
    .vgpr_count:     135
    .vgpr_spill_count: 0
    .wavefront_size: 32
    .workgroup_processor_mode: 1
  - .args:
      - .offset:         0
        .size:           8
        .value_kind:     by_value
      - .offset:         8
        .size:           4
        .value_kind:     by_value
      - .offset:         16
        .size:           8
        .value_kind:     by_value
      - .offset:         24
        .size:           8
        .value_kind:     by_value
      - .actual_access:  read_only
        .address_space:  global
        .offset:         32
        .size:           8
        .value_kind:     global_buffer
      - .actual_access:  read_only
        .address_space:  global
        .offset:         40
        .size:           8
        .value_kind:     global_buffer
      - .actual_access:  read_only
        .address_space:  global
        .offset:         48
        .size:           8
        .value_kind:     global_buffer
      - .actual_access:  read_only
        .address_space:  global
        .offset:         56
        .size:           8
        .value_kind:     global_buffer
      - .actual_access:  read_only
        .address_space:  global
        .offset:         64
        .size:           8
        .value_kind:     global_buffer
      - .actual_access:  read_only
        .address_space:  global
        .offset:         72
        .size:           8
        .value_kind:     global_buffer
      - .offset:         80
        .size:           8
        .value_kind:     by_value
      - .address_space:  global
        .offset:         88
        .size:           8
        .value_kind:     global_buffer
      - .offset:         96
        .size:           4
        .value_kind:     by_value
      - .offset:         100
        .size:           1
        .value_kind:     by_value
    .group_segment_fixed_size: 0
    .kernarg_segment_align: 8
    .kernarg_segment_size: 104
    .language:       OpenCL C
    .language_version:
      - 2
      - 0
    .max_flat_workgroup_size: 128
    .name:           _ZN9rocsparseL18bsrxmvn_4x4_kernelILj128ELj16EdllfddEEvT3_20rocsparse_direction_NS_24const_host_device_scalarIT1_EES1_PKS1_PKT2_SA_S7_PKT4_PKT5_S5_PT6_21rocsparse_index_base_b
    .private_segment_fixed_size: 0
    .sgpr_count:     18
    .sgpr_spill_count: 0
    .symbol:         _ZN9rocsparseL18bsrxmvn_4x4_kernelILj128ELj16EdllfddEEvT3_20rocsparse_direction_NS_24const_host_device_scalarIT1_EES1_PKS1_PKT2_SA_S7_PKT4_PKT5_S5_PT6_21rocsparse_index_base_b.kd
    .uniform_work_group_size: 1
    .uses_dynamic_stack: false
    .vgpr_count:     135
    .vgpr_spill_count: 0
    .wavefront_size: 32
    .workgroup_processor_mode: 1
  - .args:
      - .offset:         0
        .size:           8
        .value_kind:     by_value
      - .offset:         8
        .size:           4
        .value_kind:     by_value
      - .offset:         16
        .size:           8
        .value_kind:     by_value
      - .offset:         24
        .size:           8
        .value_kind:     by_value
      - .actual_access:  read_only
        .address_space:  global
        .offset:         32
        .size:           8
        .value_kind:     global_buffer
      - .actual_access:  read_only
        .address_space:  global
        .offset:         40
        .size:           8
        .value_kind:     global_buffer
      - .actual_access:  read_only
        .address_space:  global
        .offset:         48
        .size:           8
        .value_kind:     global_buffer
      - .actual_access:  read_only
        .address_space:  global
        .offset:         56
        .size:           8
        .value_kind:     global_buffer
      - .actual_access:  read_only
        .address_space:  global
        .offset:         64
        .size:           8
        .value_kind:     global_buffer
      - .actual_access:  read_only
        .address_space:  global
        .offset:         72
        .size:           8
        .value_kind:     global_buffer
      - .offset:         80
        .size:           8
        .value_kind:     by_value
      - .address_space:  global
        .offset:         88
        .size:           8
        .value_kind:     global_buffer
      - .offset:         96
        .size:           4
        .value_kind:     by_value
      - .offset:         100
        .size:           1
        .value_kind:     by_value
    .group_segment_fixed_size: 0
    .kernarg_segment_align: 8
    .kernarg_segment_size: 104
    .language:       OpenCL C
    .language_version:
      - 2
      - 0
    .max_flat_workgroup_size: 128
    .name:           _ZN9rocsparseL18bsrxmvn_4x4_kernelILj128ELj32EdllfddEEvT3_20rocsparse_direction_NS_24const_host_device_scalarIT1_EES1_PKS1_PKT2_SA_S7_PKT4_PKT5_S5_PT6_21rocsparse_index_base_b
    .private_segment_fixed_size: 0
    .sgpr_count:     18
    .sgpr_spill_count: 0
    .symbol:         _ZN9rocsparseL18bsrxmvn_4x4_kernelILj128ELj32EdllfddEEvT3_20rocsparse_direction_NS_24const_host_device_scalarIT1_EES1_PKS1_PKT2_SA_S7_PKT4_PKT5_S5_PT6_21rocsparse_index_base_b.kd
    .uniform_work_group_size: 1
    .uses_dynamic_stack: false
    .vgpr_count:     135
    .vgpr_spill_count: 0
    .wavefront_size: 32
    .workgroup_processor_mode: 1
  - .args:
      - .offset:         0
        .size:           8
        .value_kind:     by_value
      - .offset:         8
        .size:           4
        .value_kind:     by_value
      - .offset:         16
        .size:           8
        .value_kind:     by_value
      - .offset:         24
        .size:           8
        .value_kind:     by_value
      - .actual_access:  read_only
        .address_space:  global
        .offset:         32
        .size:           8
        .value_kind:     global_buffer
      - .actual_access:  read_only
        .address_space:  global
        .offset:         40
        .size:           8
        .value_kind:     global_buffer
      - .actual_access:  read_only
        .address_space:  global
        .offset:         48
        .size:           8
        .value_kind:     global_buffer
      - .actual_access:  read_only
        .address_space:  global
        .offset:         56
        .size:           8
        .value_kind:     global_buffer
      - .actual_access:  read_only
        .address_space:  global
        .offset:         64
        .size:           8
        .value_kind:     global_buffer
      - .actual_access:  read_only
        .address_space:  global
        .offset:         72
        .size:           8
        .value_kind:     global_buffer
      - .offset:         80
        .size:           8
        .value_kind:     by_value
      - .address_space:  global
        .offset:         88
        .size:           8
        .value_kind:     global_buffer
      - .offset:         96
        .size:           4
        .value_kind:     by_value
      - .offset:         100
        .size:           1
        .value_kind:     by_value
    .group_segment_fixed_size: 0
    .kernarg_segment_align: 8
    .kernarg_segment_size: 104
    .language:       OpenCL C
    .language_version:
      - 2
      - 0
    .max_flat_workgroup_size: 128
    .name:           _ZN9rocsparseL18bsrxmvn_4x4_kernelILj128ELj64EdllfddEEvT3_20rocsparse_direction_NS_24const_host_device_scalarIT1_EES1_PKS1_PKT2_SA_S7_PKT4_PKT5_S5_PT6_21rocsparse_index_base_b
    .private_segment_fixed_size: 0
    .sgpr_count:     18
    .sgpr_spill_count: 0
    .symbol:         _ZN9rocsparseL18bsrxmvn_4x4_kernelILj128ELj64EdllfddEEvT3_20rocsparse_direction_NS_24const_host_device_scalarIT1_EES1_PKS1_PKT2_SA_S7_PKT4_PKT5_S5_PT6_21rocsparse_index_base_b.kd
    .uniform_work_group_size: 1
    .uses_dynamic_stack: false
    .vgpr_count:     135
    .vgpr_spill_count: 0
    .wavefront_size: 32
    .workgroup_processor_mode: 1
  - .args:
      - .offset:         0
        .size:           4
        .value_kind:     by_value
      - .offset:         4
        .size:           4
        .value_kind:     by_value
      - .offset:         8
        .size:           16
        .value_kind:     by_value
      - .offset:         24
        .size:           4
        .value_kind:     by_value
      - .actual_access:  read_only
        .address_space:  global
        .offset:         32
        .size:           8
        .value_kind:     global_buffer
      - .actual_access:  read_only
        .address_space:  global
        .offset:         40
        .size:           8
        .value_kind:     global_buffer
      - .actual_access:  read_only
        .address_space:  global
        .offset:         48
        .size:           8
        .value_kind:     global_buffer
      - .actual_access:  read_only
        .address_space:  global
        .offset:         56
        .size:           8
        .value_kind:     global_buffer
      - .actual_access:  read_only
        .address_space:  global
        .offset:         64
        .size:           8
        .value_kind:     global_buffer
      - .actual_access:  read_only
        .address_space:  global
        .offset:         72
        .size:           8
        .value_kind:     global_buffer
      - .offset:         80
        .size:           16
        .value_kind:     by_value
      - .address_space:  global
        .offset:         96
        .size:           8
        .value_kind:     global_buffer
      - .offset:         104
        .size:           4
        .value_kind:     by_value
      - .offset:         108
        .size:           1
        .value_kind:     by_value
    .group_segment_fixed_size: 0
    .kernarg_segment_align: 8
    .kernarg_segment_size: 112
    .language:       OpenCL C
    .language_version:
      - 2
      - 0
    .max_flat_workgroup_size: 128
    .name:           _ZN9rocsparseL18bsrxmvn_4x4_kernelILj128ELj4E21rocsparse_complex_numIdEiiS1_IfES2_S2_EEvT3_20rocsparse_direction_NS_24const_host_device_scalarIT1_EES4_PKS4_PKT2_SD_SA_PKT4_PKT5_S8_PT6_21rocsparse_index_base_b
    .private_segment_fixed_size: 0
    .sgpr_count:     18
    .sgpr_spill_count: 0
    .symbol:         _ZN9rocsparseL18bsrxmvn_4x4_kernelILj128ELj4E21rocsparse_complex_numIdEiiS1_IfES2_S2_EEvT3_20rocsparse_direction_NS_24const_host_device_scalarIT1_EES4_PKS4_PKT2_SD_SA_PKT4_PKT5_S8_PT6_21rocsparse_index_base_b.kd
    .uniform_work_group_size: 1
    .uses_dynamic_stack: false
    .vgpr_count:     196
    .vgpr_spill_count: 0
    .wavefront_size: 32
    .workgroup_processor_mode: 1
  - .args:
      - .offset:         0
        .size:           4
        .value_kind:     by_value
      - .offset:         4
        .size:           4
        .value_kind:     by_value
      - .offset:         8
        .size:           16
        .value_kind:     by_value
      - .offset:         24
        .size:           4
        .value_kind:     by_value
      - .actual_access:  read_only
        .address_space:  global
        .offset:         32
        .size:           8
        .value_kind:     global_buffer
      - .actual_access:  read_only
        .address_space:  global
        .offset:         40
        .size:           8
        .value_kind:     global_buffer
      - .actual_access:  read_only
        .address_space:  global
        .offset:         48
        .size:           8
        .value_kind:     global_buffer
      - .actual_access:  read_only
        .address_space:  global
        .offset:         56
        .size:           8
        .value_kind:     global_buffer
      - .actual_access:  read_only
        .address_space:  global
        .offset:         64
        .size:           8
        .value_kind:     global_buffer
      - .actual_access:  read_only
        .address_space:  global
        .offset:         72
        .size:           8
        .value_kind:     global_buffer
      - .offset:         80
        .size:           16
        .value_kind:     by_value
      - .address_space:  global
        .offset:         96
        .size:           8
        .value_kind:     global_buffer
      - .offset:         104
        .size:           4
        .value_kind:     by_value
      - .offset:         108
        .size:           1
        .value_kind:     by_value
    .group_segment_fixed_size: 0
    .kernarg_segment_align: 8
    .kernarg_segment_size: 112
    .language:       OpenCL C
    .language_version:
      - 2
      - 0
    .max_flat_workgroup_size: 128
    .name:           _ZN9rocsparseL18bsrxmvn_4x4_kernelILj128ELj8E21rocsparse_complex_numIdEiiS1_IfES2_S2_EEvT3_20rocsparse_direction_NS_24const_host_device_scalarIT1_EES4_PKS4_PKT2_SD_SA_PKT4_PKT5_S8_PT6_21rocsparse_index_base_b
    .private_segment_fixed_size: 0
    .sgpr_count:     18
    .sgpr_spill_count: 0
    .symbol:         _ZN9rocsparseL18bsrxmvn_4x4_kernelILj128ELj8E21rocsparse_complex_numIdEiiS1_IfES2_S2_EEvT3_20rocsparse_direction_NS_24const_host_device_scalarIT1_EES4_PKS4_PKT2_SD_SA_PKT4_PKT5_S8_PT6_21rocsparse_index_base_b.kd
    .uniform_work_group_size: 1
    .uses_dynamic_stack: false
    .vgpr_count:     202
    .vgpr_spill_count: 0
    .wavefront_size: 32
    .workgroup_processor_mode: 1
  - .args:
      - .offset:         0
        .size:           4
        .value_kind:     by_value
      - .offset:         4
        .size:           4
        .value_kind:     by_value
      - .offset:         8
        .size:           16
        .value_kind:     by_value
      - .offset:         24
        .size:           4
        .value_kind:     by_value
      - .actual_access:  read_only
        .address_space:  global
        .offset:         32
        .size:           8
        .value_kind:     global_buffer
      - .actual_access:  read_only
        .address_space:  global
        .offset:         40
        .size:           8
        .value_kind:     global_buffer
      - .actual_access:  read_only
        .address_space:  global
        .offset:         48
        .size:           8
        .value_kind:     global_buffer
      - .actual_access:  read_only
        .address_space:  global
        .offset:         56
        .size:           8
        .value_kind:     global_buffer
      - .actual_access:  read_only
        .address_space:  global
        .offset:         64
        .size:           8
        .value_kind:     global_buffer
      - .actual_access:  read_only
        .address_space:  global
        .offset:         72
        .size:           8
        .value_kind:     global_buffer
      - .offset:         80
        .size:           16
        .value_kind:     by_value
      - .address_space:  global
        .offset:         96
        .size:           8
        .value_kind:     global_buffer
      - .offset:         104
        .size:           4
        .value_kind:     by_value
      - .offset:         108
        .size:           1
        .value_kind:     by_value
    .group_segment_fixed_size: 0
    .kernarg_segment_align: 8
    .kernarg_segment_size: 112
    .language:       OpenCL C
    .language_version:
      - 2
      - 0
    .max_flat_workgroup_size: 128
    .name:           _ZN9rocsparseL18bsrxmvn_4x4_kernelILj128ELj16E21rocsparse_complex_numIdEiiS1_IfES2_S2_EEvT3_20rocsparse_direction_NS_24const_host_device_scalarIT1_EES4_PKS4_PKT2_SD_SA_PKT4_PKT5_S8_PT6_21rocsparse_index_base_b
    .private_segment_fixed_size: 0
    .sgpr_count:     18
    .sgpr_spill_count: 0
    .symbol:         _ZN9rocsparseL18bsrxmvn_4x4_kernelILj128ELj16E21rocsparse_complex_numIdEiiS1_IfES2_S2_EEvT3_20rocsparse_direction_NS_24const_host_device_scalarIT1_EES4_PKS4_PKT2_SD_SA_PKT4_PKT5_S8_PT6_21rocsparse_index_base_b.kd
    .uniform_work_group_size: 1
    .uses_dynamic_stack: false
    .vgpr_count:     199
    .vgpr_spill_count: 0
    .wavefront_size: 32
    .workgroup_processor_mode: 1
  - .args:
      - .offset:         0
        .size:           4
        .value_kind:     by_value
      - .offset:         4
        .size:           4
        .value_kind:     by_value
      - .offset:         8
        .size:           16
        .value_kind:     by_value
      - .offset:         24
        .size:           4
        .value_kind:     by_value
      - .actual_access:  read_only
        .address_space:  global
        .offset:         32
        .size:           8
        .value_kind:     global_buffer
      - .actual_access:  read_only
        .address_space:  global
        .offset:         40
        .size:           8
        .value_kind:     global_buffer
      - .actual_access:  read_only
        .address_space:  global
        .offset:         48
        .size:           8
        .value_kind:     global_buffer
      - .actual_access:  read_only
        .address_space:  global
        .offset:         56
        .size:           8
        .value_kind:     global_buffer
      - .actual_access:  read_only
        .address_space:  global
        .offset:         64
        .size:           8
        .value_kind:     global_buffer
      - .actual_access:  read_only
        .address_space:  global
        .offset:         72
        .size:           8
        .value_kind:     global_buffer
      - .offset:         80
        .size:           16
        .value_kind:     by_value
      - .address_space:  global
        .offset:         96
        .size:           8
        .value_kind:     global_buffer
      - .offset:         104
        .size:           4
        .value_kind:     by_value
      - .offset:         108
        .size:           1
        .value_kind:     by_value
    .group_segment_fixed_size: 0
    .kernarg_segment_align: 8
    .kernarg_segment_size: 112
    .language:       OpenCL C
    .language_version:
      - 2
      - 0
    .max_flat_workgroup_size: 128
    .name:           _ZN9rocsparseL18bsrxmvn_4x4_kernelILj128ELj32E21rocsparse_complex_numIdEiiS1_IfES2_S2_EEvT3_20rocsparse_direction_NS_24const_host_device_scalarIT1_EES4_PKS4_PKT2_SD_SA_PKT4_PKT5_S8_PT6_21rocsparse_index_base_b
    .private_segment_fixed_size: 0
    .sgpr_count:     18
    .sgpr_spill_count: 0
    .symbol:         _ZN9rocsparseL18bsrxmvn_4x4_kernelILj128ELj32E21rocsparse_complex_numIdEiiS1_IfES2_S2_EEvT3_20rocsparse_direction_NS_24const_host_device_scalarIT1_EES4_PKS4_PKT2_SD_SA_PKT4_PKT5_S8_PT6_21rocsparse_index_base_b.kd
    .uniform_work_group_size: 1
    .uses_dynamic_stack: false
    .vgpr_count:     199
    .vgpr_spill_count: 0
    .wavefront_size: 32
    .workgroup_processor_mode: 1
  - .args:
      - .offset:         0
        .size:           4
        .value_kind:     by_value
      - .offset:         4
        .size:           4
        .value_kind:     by_value
      - .offset:         8
        .size:           16
        .value_kind:     by_value
      - .offset:         24
        .size:           4
        .value_kind:     by_value
      - .actual_access:  read_only
        .address_space:  global
        .offset:         32
        .size:           8
        .value_kind:     global_buffer
      - .actual_access:  read_only
        .address_space:  global
        .offset:         40
        .size:           8
        .value_kind:     global_buffer
      - .actual_access:  read_only
        .address_space:  global
        .offset:         48
        .size:           8
        .value_kind:     global_buffer
      - .actual_access:  read_only
        .address_space:  global
        .offset:         56
        .size:           8
        .value_kind:     global_buffer
      - .actual_access:  read_only
        .address_space:  global
        .offset:         64
        .size:           8
        .value_kind:     global_buffer
      - .actual_access:  read_only
        .address_space:  global
        .offset:         72
        .size:           8
        .value_kind:     global_buffer
      - .offset:         80
        .size:           16
        .value_kind:     by_value
      - .address_space:  global
        .offset:         96
        .size:           8
        .value_kind:     global_buffer
      - .offset:         104
        .size:           4
        .value_kind:     by_value
      - .offset:         108
        .size:           1
        .value_kind:     by_value
    .group_segment_fixed_size: 0
    .kernarg_segment_align: 8
    .kernarg_segment_size: 112
    .language:       OpenCL C
    .language_version:
      - 2
      - 0
    .max_flat_workgroup_size: 128
    .name:           _ZN9rocsparseL18bsrxmvn_4x4_kernelILj128ELj64E21rocsparse_complex_numIdEiiS1_IfES2_S2_EEvT3_20rocsparse_direction_NS_24const_host_device_scalarIT1_EES4_PKS4_PKT2_SD_SA_PKT4_PKT5_S8_PT6_21rocsparse_index_base_b
    .private_segment_fixed_size: 0
    .sgpr_count:     18
    .sgpr_spill_count: 0
    .symbol:         _ZN9rocsparseL18bsrxmvn_4x4_kernelILj128ELj64E21rocsparse_complex_numIdEiiS1_IfES2_S2_EEvT3_20rocsparse_direction_NS_24const_host_device_scalarIT1_EES4_PKS4_PKT2_SD_SA_PKT4_PKT5_S8_PT6_21rocsparse_index_base_b.kd
    .uniform_work_group_size: 1
    .uses_dynamic_stack: false
    .vgpr_count:     199
    .vgpr_spill_count: 0
    .wavefront_size: 32
    .workgroup_processor_mode: 1
  - .args:
      - .offset:         0
        .size:           4
        .value_kind:     by_value
      - .offset:         4
        .size:           4
        .value_kind:     by_value
      - .offset:         8
        .size:           16
        .value_kind:     by_value
      - .offset:         24
        .size:           4
        .value_kind:     by_value
      - .actual_access:  read_only
        .address_space:  global
        .offset:         32
        .size:           8
        .value_kind:     global_buffer
      - .actual_access:  read_only
        .address_space:  global
        .offset:         40
        .size:           8
        .value_kind:     global_buffer
      - .actual_access:  read_only
        .address_space:  global
        .offset:         48
        .size:           8
        .value_kind:     global_buffer
      - .actual_access:  read_only
        .address_space:  global
        .offset:         56
        .size:           8
        .value_kind:     global_buffer
      - .actual_access:  read_only
        .address_space:  global
        .offset:         64
        .size:           8
        .value_kind:     global_buffer
      - .actual_access:  read_only
        .address_space:  global
        .offset:         72
        .size:           8
        .value_kind:     global_buffer
      - .offset:         80
        .size:           16
        .value_kind:     by_value
      - .address_space:  global
        .offset:         96
        .size:           8
        .value_kind:     global_buffer
      - .offset:         104
        .size:           4
        .value_kind:     by_value
      - .offset:         108
        .size:           1
        .value_kind:     by_value
    .group_segment_fixed_size: 0
    .kernarg_segment_align: 8
    .kernarg_segment_size: 112
    .language:       OpenCL C
    .language_version:
      - 2
      - 0
    .max_flat_workgroup_size: 128
    .name:           _ZN9rocsparseL18bsrxmvn_4x4_kernelILj128ELj4E21rocsparse_complex_numIdEliS1_IfES2_S2_EEvT3_20rocsparse_direction_NS_24const_host_device_scalarIT1_EES4_PKS4_PKT2_SD_SA_PKT4_PKT5_S8_PT6_21rocsparse_index_base_b
    .private_segment_fixed_size: 0
    .sgpr_count:     18
    .sgpr_spill_count: 0
    .symbol:         _ZN9rocsparseL18bsrxmvn_4x4_kernelILj128ELj4E21rocsparse_complex_numIdEliS1_IfES2_S2_EEvT3_20rocsparse_direction_NS_24const_host_device_scalarIT1_EES4_PKS4_PKT2_SD_SA_PKT4_PKT5_S8_PT6_21rocsparse_index_base_b.kd
    .uniform_work_group_size: 1
    .uses_dynamic_stack: false
    .vgpr_count:     205
    .vgpr_spill_count: 0
    .wavefront_size: 32
    .workgroup_processor_mode: 1
  - .args:
      - .offset:         0
        .size:           4
        .value_kind:     by_value
      - .offset:         4
        .size:           4
        .value_kind:     by_value
      - .offset:         8
        .size:           16
        .value_kind:     by_value
      - .offset:         24
        .size:           4
        .value_kind:     by_value
      - .actual_access:  read_only
        .address_space:  global
        .offset:         32
        .size:           8
        .value_kind:     global_buffer
      - .actual_access:  read_only
        .address_space:  global
        .offset:         40
        .size:           8
        .value_kind:     global_buffer
      - .actual_access:  read_only
        .address_space:  global
        .offset:         48
        .size:           8
        .value_kind:     global_buffer
      - .actual_access:  read_only
        .address_space:  global
        .offset:         56
        .size:           8
        .value_kind:     global_buffer
      - .actual_access:  read_only
        .address_space:  global
        .offset:         64
        .size:           8
        .value_kind:     global_buffer
      - .actual_access:  read_only
        .address_space:  global
        .offset:         72
        .size:           8
        .value_kind:     global_buffer
      - .offset:         80
        .size:           16
        .value_kind:     by_value
      - .address_space:  global
        .offset:         96
        .size:           8
        .value_kind:     global_buffer
      - .offset:         104
        .size:           4
        .value_kind:     by_value
      - .offset:         108
        .size:           1
        .value_kind:     by_value
    .group_segment_fixed_size: 0
    .kernarg_segment_align: 8
    .kernarg_segment_size: 112
    .language:       OpenCL C
    .language_version:
      - 2
      - 0
    .max_flat_workgroup_size: 128
    .name:           _ZN9rocsparseL18bsrxmvn_4x4_kernelILj128ELj8E21rocsparse_complex_numIdEliS1_IfES2_S2_EEvT3_20rocsparse_direction_NS_24const_host_device_scalarIT1_EES4_PKS4_PKT2_SD_SA_PKT4_PKT5_S8_PT6_21rocsparse_index_base_b
    .private_segment_fixed_size: 0
    .sgpr_count:     18
    .sgpr_spill_count: 0
    .symbol:         _ZN9rocsparseL18bsrxmvn_4x4_kernelILj128ELj8E21rocsparse_complex_numIdEliS1_IfES2_S2_EEvT3_20rocsparse_direction_NS_24const_host_device_scalarIT1_EES4_PKS4_PKT2_SD_SA_PKT4_PKT5_S8_PT6_21rocsparse_index_base_b.kd
    .uniform_work_group_size: 1
    .uses_dynamic_stack: false
    .vgpr_count:     207
    .vgpr_spill_count: 0
    .wavefront_size: 32
    .workgroup_processor_mode: 1
  - .args:
      - .offset:         0
        .size:           4
        .value_kind:     by_value
      - .offset:         4
        .size:           4
        .value_kind:     by_value
      - .offset:         8
        .size:           16
        .value_kind:     by_value
      - .offset:         24
        .size:           4
        .value_kind:     by_value
      - .actual_access:  read_only
        .address_space:  global
        .offset:         32
        .size:           8
        .value_kind:     global_buffer
      - .actual_access:  read_only
        .address_space:  global
        .offset:         40
        .size:           8
        .value_kind:     global_buffer
      - .actual_access:  read_only
        .address_space:  global
        .offset:         48
        .size:           8
        .value_kind:     global_buffer
      - .actual_access:  read_only
        .address_space:  global
        .offset:         56
        .size:           8
        .value_kind:     global_buffer
      - .actual_access:  read_only
        .address_space:  global
        .offset:         64
        .size:           8
        .value_kind:     global_buffer
      - .actual_access:  read_only
        .address_space:  global
        .offset:         72
        .size:           8
        .value_kind:     global_buffer
      - .offset:         80
        .size:           16
        .value_kind:     by_value
      - .address_space:  global
        .offset:         96
        .size:           8
        .value_kind:     global_buffer
      - .offset:         104
        .size:           4
        .value_kind:     by_value
      - .offset:         108
        .size:           1
        .value_kind:     by_value
    .group_segment_fixed_size: 0
    .kernarg_segment_align: 8
    .kernarg_segment_size: 112
    .language:       OpenCL C
    .language_version:
      - 2
      - 0
    .max_flat_workgroup_size: 128
    .name:           _ZN9rocsparseL18bsrxmvn_4x4_kernelILj128ELj16E21rocsparse_complex_numIdEliS1_IfES2_S2_EEvT3_20rocsparse_direction_NS_24const_host_device_scalarIT1_EES4_PKS4_PKT2_SD_SA_PKT4_PKT5_S8_PT6_21rocsparse_index_base_b
    .private_segment_fixed_size: 0
    .sgpr_count:     18
    .sgpr_spill_count: 0
    .symbol:         _ZN9rocsparseL18bsrxmvn_4x4_kernelILj128ELj16E21rocsparse_complex_numIdEliS1_IfES2_S2_EEvT3_20rocsparse_direction_NS_24const_host_device_scalarIT1_EES4_PKS4_PKT2_SD_SA_PKT4_PKT5_S8_PT6_21rocsparse_index_base_b.kd
    .uniform_work_group_size: 1
    .uses_dynamic_stack: false
    .vgpr_count:     207
    .vgpr_spill_count: 0
    .wavefront_size: 32
    .workgroup_processor_mode: 1
  - .args:
      - .offset:         0
        .size:           4
        .value_kind:     by_value
      - .offset:         4
        .size:           4
        .value_kind:     by_value
      - .offset:         8
        .size:           16
        .value_kind:     by_value
      - .offset:         24
        .size:           4
        .value_kind:     by_value
      - .actual_access:  read_only
        .address_space:  global
        .offset:         32
        .size:           8
        .value_kind:     global_buffer
      - .actual_access:  read_only
        .address_space:  global
        .offset:         40
        .size:           8
        .value_kind:     global_buffer
      - .actual_access:  read_only
        .address_space:  global
        .offset:         48
        .size:           8
        .value_kind:     global_buffer
      - .actual_access:  read_only
        .address_space:  global
        .offset:         56
        .size:           8
        .value_kind:     global_buffer
      - .actual_access:  read_only
        .address_space:  global
        .offset:         64
        .size:           8
        .value_kind:     global_buffer
      - .actual_access:  read_only
        .address_space:  global
        .offset:         72
        .size:           8
        .value_kind:     global_buffer
      - .offset:         80
        .size:           16
        .value_kind:     by_value
      - .address_space:  global
        .offset:         96
        .size:           8
        .value_kind:     global_buffer
      - .offset:         104
        .size:           4
        .value_kind:     by_value
      - .offset:         108
        .size:           1
        .value_kind:     by_value
    .group_segment_fixed_size: 0
    .kernarg_segment_align: 8
    .kernarg_segment_size: 112
    .language:       OpenCL C
    .language_version:
      - 2
      - 0
    .max_flat_workgroup_size: 128
    .name:           _ZN9rocsparseL18bsrxmvn_4x4_kernelILj128ELj32E21rocsparse_complex_numIdEliS1_IfES2_S2_EEvT3_20rocsparse_direction_NS_24const_host_device_scalarIT1_EES4_PKS4_PKT2_SD_SA_PKT4_PKT5_S8_PT6_21rocsparse_index_base_b
    .private_segment_fixed_size: 0
    .sgpr_count:     18
    .sgpr_spill_count: 0
    .symbol:         _ZN9rocsparseL18bsrxmvn_4x4_kernelILj128ELj32E21rocsparse_complex_numIdEliS1_IfES2_S2_EEvT3_20rocsparse_direction_NS_24const_host_device_scalarIT1_EES4_PKS4_PKT2_SD_SA_PKT4_PKT5_S8_PT6_21rocsparse_index_base_b.kd
    .uniform_work_group_size: 1
    .uses_dynamic_stack: false
    .vgpr_count:     207
    .vgpr_spill_count: 0
    .wavefront_size: 32
    .workgroup_processor_mode: 1
  - .args:
      - .offset:         0
        .size:           4
        .value_kind:     by_value
      - .offset:         4
        .size:           4
        .value_kind:     by_value
      - .offset:         8
        .size:           16
        .value_kind:     by_value
      - .offset:         24
        .size:           4
        .value_kind:     by_value
      - .actual_access:  read_only
        .address_space:  global
        .offset:         32
        .size:           8
        .value_kind:     global_buffer
      - .actual_access:  read_only
        .address_space:  global
        .offset:         40
        .size:           8
        .value_kind:     global_buffer
      - .actual_access:  read_only
        .address_space:  global
        .offset:         48
        .size:           8
        .value_kind:     global_buffer
      - .actual_access:  read_only
        .address_space:  global
        .offset:         56
        .size:           8
        .value_kind:     global_buffer
      - .actual_access:  read_only
        .address_space:  global
        .offset:         64
        .size:           8
        .value_kind:     global_buffer
      - .actual_access:  read_only
        .address_space:  global
        .offset:         72
        .size:           8
        .value_kind:     global_buffer
      - .offset:         80
        .size:           16
        .value_kind:     by_value
      - .address_space:  global
        .offset:         96
        .size:           8
        .value_kind:     global_buffer
      - .offset:         104
        .size:           4
        .value_kind:     by_value
      - .offset:         108
        .size:           1
        .value_kind:     by_value
    .group_segment_fixed_size: 0
    .kernarg_segment_align: 8
    .kernarg_segment_size: 112
    .language:       OpenCL C
    .language_version:
      - 2
      - 0
    .max_flat_workgroup_size: 128
    .name:           _ZN9rocsparseL18bsrxmvn_4x4_kernelILj128ELj64E21rocsparse_complex_numIdEliS1_IfES2_S2_EEvT3_20rocsparse_direction_NS_24const_host_device_scalarIT1_EES4_PKS4_PKT2_SD_SA_PKT4_PKT5_S8_PT6_21rocsparse_index_base_b
    .private_segment_fixed_size: 0
    .sgpr_count:     18
    .sgpr_spill_count: 0
    .symbol:         _ZN9rocsparseL18bsrxmvn_4x4_kernelILj128ELj64E21rocsparse_complex_numIdEliS1_IfES2_S2_EEvT3_20rocsparse_direction_NS_24const_host_device_scalarIT1_EES4_PKS4_PKT2_SD_SA_PKT4_PKT5_S8_PT6_21rocsparse_index_base_b.kd
    .uniform_work_group_size: 1
    .uses_dynamic_stack: false
    .vgpr_count:     207
    .vgpr_spill_count: 0
    .wavefront_size: 32
    .workgroup_processor_mode: 1
  - .args:
      - .offset:         0
        .size:           8
        .value_kind:     by_value
      - .offset:         8
        .size:           4
        .value_kind:     by_value
      - .offset:         16
        .size:           16
        .value_kind:     by_value
      - .offset:         32
        .size:           8
        .value_kind:     by_value
      - .actual_access:  read_only
        .address_space:  global
        .offset:         40
        .size:           8
        .value_kind:     global_buffer
      - .actual_access:  read_only
        .address_space:  global
        .offset:         48
        .size:           8
        .value_kind:     global_buffer
      - .actual_access:  read_only
        .address_space:  global
        .offset:         56
        .size:           8
        .value_kind:     global_buffer
      - .actual_access:  read_only
        .address_space:  global
        .offset:         64
        .size:           8
        .value_kind:     global_buffer
      - .actual_access:  read_only
        .address_space:  global
        .offset:         72
        .size:           8
        .value_kind:     global_buffer
      - .actual_access:  read_only
        .address_space:  global
        .offset:         80
        .size:           8
        .value_kind:     global_buffer
      - .offset:         88
        .size:           16
        .value_kind:     by_value
      - .address_space:  global
        .offset:         104
        .size:           8
        .value_kind:     global_buffer
      - .offset:         112
        .size:           4
        .value_kind:     by_value
      - .offset:         116
        .size:           1
        .value_kind:     by_value
    .group_segment_fixed_size: 0
    .kernarg_segment_align: 8
    .kernarg_segment_size: 120
    .language:       OpenCL C
    .language_version:
      - 2
      - 0
    .max_flat_workgroup_size: 128
    .name:           _ZN9rocsparseL18bsrxmvn_4x4_kernelILj128ELj4E21rocsparse_complex_numIdEllS1_IfES2_S2_EEvT3_20rocsparse_direction_NS_24const_host_device_scalarIT1_EES4_PKS4_PKT2_SD_SA_PKT4_PKT5_S8_PT6_21rocsparse_index_base_b
    .private_segment_fixed_size: 0
    .sgpr_count:     18
    .sgpr_spill_count: 0
    .symbol:         _ZN9rocsparseL18bsrxmvn_4x4_kernelILj128ELj4E21rocsparse_complex_numIdEllS1_IfES2_S2_EEvT3_20rocsparse_direction_NS_24const_host_device_scalarIT1_EES4_PKS4_PKT2_SD_SA_PKT4_PKT5_S8_PT6_21rocsparse_index_base_b.kd
    .uniform_work_group_size: 1
    .uses_dynamic_stack: false
    .vgpr_count:     209
    .vgpr_spill_count: 0
    .wavefront_size: 32
    .workgroup_processor_mode: 1
  - .args:
      - .offset:         0
        .size:           8
        .value_kind:     by_value
      - .offset:         8
        .size:           4
        .value_kind:     by_value
      - .offset:         16
        .size:           16
        .value_kind:     by_value
      - .offset:         32
        .size:           8
        .value_kind:     by_value
      - .actual_access:  read_only
        .address_space:  global
        .offset:         40
        .size:           8
        .value_kind:     global_buffer
      - .actual_access:  read_only
        .address_space:  global
        .offset:         48
        .size:           8
        .value_kind:     global_buffer
      - .actual_access:  read_only
        .address_space:  global
        .offset:         56
        .size:           8
        .value_kind:     global_buffer
      - .actual_access:  read_only
        .address_space:  global
        .offset:         64
        .size:           8
        .value_kind:     global_buffer
      - .actual_access:  read_only
        .address_space:  global
        .offset:         72
        .size:           8
        .value_kind:     global_buffer
      - .actual_access:  read_only
        .address_space:  global
        .offset:         80
        .size:           8
        .value_kind:     global_buffer
      - .offset:         88
        .size:           16
        .value_kind:     by_value
      - .address_space:  global
        .offset:         104
        .size:           8
        .value_kind:     global_buffer
      - .offset:         112
        .size:           4
        .value_kind:     by_value
      - .offset:         116
        .size:           1
        .value_kind:     by_value
    .group_segment_fixed_size: 0
    .kernarg_segment_align: 8
    .kernarg_segment_size: 120
    .language:       OpenCL C
    .language_version:
      - 2
      - 0
    .max_flat_workgroup_size: 128
    .name:           _ZN9rocsparseL18bsrxmvn_4x4_kernelILj128ELj8E21rocsparse_complex_numIdEllS1_IfES2_S2_EEvT3_20rocsparse_direction_NS_24const_host_device_scalarIT1_EES4_PKS4_PKT2_SD_SA_PKT4_PKT5_S8_PT6_21rocsparse_index_base_b
    .private_segment_fixed_size: 0
    .sgpr_count:     18
    .sgpr_spill_count: 0
    .symbol:         _ZN9rocsparseL18bsrxmvn_4x4_kernelILj128ELj8E21rocsparse_complex_numIdEllS1_IfES2_S2_EEvT3_20rocsparse_direction_NS_24const_host_device_scalarIT1_EES4_PKS4_PKT2_SD_SA_PKT4_PKT5_S8_PT6_21rocsparse_index_base_b.kd
    .uniform_work_group_size: 1
    .uses_dynamic_stack: false
    .vgpr_count:     211
    .vgpr_spill_count: 0
    .wavefront_size: 32
    .workgroup_processor_mode: 1
  - .args:
      - .offset:         0
        .size:           8
        .value_kind:     by_value
      - .offset:         8
        .size:           4
        .value_kind:     by_value
      - .offset:         16
        .size:           16
        .value_kind:     by_value
      - .offset:         32
        .size:           8
        .value_kind:     by_value
      - .actual_access:  read_only
        .address_space:  global
        .offset:         40
        .size:           8
        .value_kind:     global_buffer
      - .actual_access:  read_only
        .address_space:  global
        .offset:         48
        .size:           8
        .value_kind:     global_buffer
      - .actual_access:  read_only
        .address_space:  global
        .offset:         56
        .size:           8
        .value_kind:     global_buffer
      - .actual_access:  read_only
        .address_space:  global
        .offset:         64
        .size:           8
        .value_kind:     global_buffer
      - .actual_access:  read_only
        .address_space:  global
        .offset:         72
        .size:           8
        .value_kind:     global_buffer
      - .actual_access:  read_only
        .address_space:  global
        .offset:         80
        .size:           8
        .value_kind:     global_buffer
      - .offset:         88
        .size:           16
        .value_kind:     by_value
      - .address_space:  global
        .offset:         104
        .size:           8
        .value_kind:     global_buffer
      - .offset:         112
        .size:           4
        .value_kind:     by_value
      - .offset:         116
        .size:           1
        .value_kind:     by_value
    .group_segment_fixed_size: 0
    .kernarg_segment_align: 8
    .kernarg_segment_size: 120
    .language:       OpenCL C
    .language_version:
      - 2
      - 0
    .max_flat_workgroup_size: 128
    .name:           _ZN9rocsparseL18bsrxmvn_4x4_kernelILj128ELj16E21rocsparse_complex_numIdEllS1_IfES2_S2_EEvT3_20rocsparse_direction_NS_24const_host_device_scalarIT1_EES4_PKS4_PKT2_SD_SA_PKT4_PKT5_S8_PT6_21rocsparse_index_base_b
    .private_segment_fixed_size: 0
    .sgpr_count:     18
    .sgpr_spill_count: 0
    .symbol:         _ZN9rocsparseL18bsrxmvn_4x4_kernelILj128ELj16E21rocsparse_complex_numIdEllS1_IfES2_S2_EEvT3_20rocsparse_direction_NS_24const_host_device_scalarIT1_EES4_PKS4_PKT2_SD_SA_PKT4_PKT5_S8_PT6_21rocsparse_index_base_b.kd
    .uniform_work_group_size: 1
    .uses_dynamic_stack: false
    .vgpr_count:     195
    .vgpr_spill_count: 0
    .wavefront_size: 32
    .workgroup_processor_mode: 1
  - .args:
      - .offset:         0
        .size:           8
        .value_kind:     by_value
      - .offset:         8
        .size:           4
        .value_kind:     by_value
      - .offset:         16
        .size:           16
        .value_kind:     by_value
      - .offset:         32
        .size:           8
        .value_kind:     by_value
      - .actual_access:  read_only
        .address_space:  global
        .offset:         40
        .size:           8
        .value_kind:     global_buffer
      - .actual_access:  read_only
        .address_space:  global
        .offset:         48
        .size:           8
        .value_kind:     global_buffer
      - .actual_access:  read_only
        .address_space:  global
        .offset:         56
        .size:           8
        .value_kind:     global_buffer
      - .actual_access:  read_only
        .address_space:  global
        .offset:         64
        .size:           8
        .value_kind:     global_buffer
      - .actual_access:  read_only
        .address_space:  global
        .offset:         72
        .size:           8
        .value_kind:     global_buffer
      - .actual_access:  read_only
        .address_space:  global
        .offset:         80
        .size:           8
        .value_kind:     global_buffer
      - .offset:         88
        .size:           16
        .value_kind:     by_value
      - .address_space:  global
        .offset:         104
        .size:           8
        .value_kind:     global_buffer
      - .offset:         112
        .size:           4
        .value_kind:     by_value
      - .offset:         116
        .size:           1
        .value_kind:     by_value
    .group_segment_fixed_size: 0
    .kernarg_segment_align: 8
    .kernarg_segment_size: 120
    .language:       OpenCL C
    .language_version:
      - 2
      - 0
    .max_flat_workgroup_size: 128
    .name:           _ZN9rocsparseL18bsrxmvn_4x4_kernelILj128ELj32E21rocsparse_complex_numIdEllS1_IfES2_S2_EEvT3_20rocsparse_direction_NS_24const_host_device_scalarIT1_EES4_PKS4_PKT2_SD_SA_PKT4_PKT5_S8_PT6_21rocsparse_index_base_b
    .private_segment_fixed_size: 0
    .sgpr_count:     18
    .sgpr_spill_count: 0
    .symbol:         _ZN9rocsparseL18bsrxmvn_4x4_kernelILj128ELj32E21rocsparse_complex_numIdEllS1_IfES2_S2_EEvT3_20rocsparse_direction_NS_24const_host_device_scalarIT1_EES4_PKS4_PKT2_SD_SA_PKT4_PKT5_S8_PT6_21rocsparse_index_base_b.kd
    .uniform_work_group_size: 1
    .uses_dynamic_stack: false
    .vgpr_count:     196
    .vgpr_spill_count: 0
    .wavefront_size: 32
    .workgroup_processor_mode: 1
  - .args:
      - .offset:         0
        .size:           8
        .value_kind:     by_value
      - .offset:         8
        .size:           4
        .value_kind:     by_value
      - .offset:         16
        .size:           16
        .value_kind:     by_value
      - .offset:         32
        .size:           8
        .value_kind:     by_value
      - .actual_access:  read_only
        .address_space:  global
        .offset:         40
        .size:           8
        .value_kind:     global_buffer
      - .actual_access:  read_only
        .address_space:  global
        .offset:         48
        .size:           8
        .value_kind:     global_buffer
      - .actual_access:  read_only
        .address_space:  global
        .offset:         56
        .size:           8
        .value_kind:     global_buffer
      - .actual_access:  read_only
        .address_space:  global
        .offset:         64
        .size:           8
        .value_kind:     global_buffer
      - .actual_access:  read_only
        .address_space:  global
        .offset:         72
        .size:           8
        .value_kind:     global_buffer
      - .actual_access:  read_only
        .address_space:  global
        .offset:         80
        .size:           8
        .value_kind:     global_buffer
      - .offset:         88
        .size:           16
        .value_kind:     by_value
      - .address_space:  global
        .offset:         104
        .size:           8
        .value_kind:     global_buffer
      - .offset:         112
        .size:           4
        .value_kind:     by_value
      - .offset:         116
        .size:           1
        .value_kind:     by_value
    .group_segment_fixed_size: 0
    .kernarg_segment_align: 8
    .kernarg_segment_size: 120
    .language:       OpenCL C
    .language_version:
      - 2
      - 0
    .max_flat_workgroup_size: 128
    .name:           _ZN9rocsparseL18bsrxmvn_4x4_kernelILj128ELj64E21rocsparse_complex_numIdEllS1_IfES2_S2_EEvT3_20rocsparse_direction_NS_24const_host_device_scalarIT1_EES4_PKS4_PKT2_SD_SA_PKT4_PKT5_S8_PT6_21rocsparse_index_base_b
    .private_segment_fixed_size: 0
    .sgpr_count:     18
    .sgpr_spill_count: 0
    .symbol:         _ZN9rocsparseL18bsrxmvn_4x4_kernelILj128ELj64E21rocsparse_complex_numIdEllS1_IfES2_S2_EEvT3_20rocsparse_direction_NS_24const_host_device_scalarIT1_EES4_PKS4_PKT2_SD_SA_PKT4_PKT5_S8_PT6_21rocsparse_index_base_b.kd
    .uniform_work_group_size: 1
    .uses_dynamic_stack: false
    .vgpr_count:     196
    .vgpr_spill_count: 0
    .wavefront_size: 32
    .workgroup_processor_mode: 1
amdhsa.target:   amdgcn-amd-amdhsa--gfx1030
amdhsa.version:
  - 1
  - 2
...

	.end_amdgpu_metadata
